;; amdgpu-corpus repo=ggml-org/llama.cpp kind=compiled arch=gfx1100 opt=O3
	.text
	.amdgcn_target "amdgcn-amd-amdhsa--gfx1100"
	.amdhsa_code_object_version 6
	.section	.text._ZL15flash_attn_tileILi64ELi64ELi8ELi8ELb0EEvPKcS1_S1_S1_S1_PKiPfP15HIP_vector_typeIfLj2EEffffjfiS5_IjLj3EEiiiiiiiiiiiliiliiiiil,"axG",@progbits,_ZL15flash_attn_tileILi64ELi64ELi8ELi8ELb0EEvPKcS1_S1_S1_S1_PKiPfP15HIP_vector_typeIfLj2EEffffjfiS5_IjLj3EEiiiiiiiiiiiliiliiiiil,comdat
	.globl	_ZL15flash_attn_tileILi64ELi64ELi8ELi8ELb0EEvPKcS1_S1_S1_S1_PKiPfP15HIP_vector_typeIfLj2EEffffjfiS5_IjLj3EEiiiiiiiiiiiliiliiiiil ; -- Begin function _ZL15flash_attn_tileILi64ELi64ELi8ELi8ELb0EEvPKcS1_S1_S1_S1_PKiPfP15HIP_vector_typeIfLj2EEffffjfiS5_IjLj3EEiiiiiiiiiiiliiliiiiil
	.p2align	8
	.type	_ZL15flash_attn_tileILi64ELi64ELi8ELi8ELb0EEvPKcS1_S1_S1_S1_PKiPfP15HIP_vector_typeIfLj2EEffffjfiS5_IjLj3EEiiiiiiiiiiiliiliiiiil,@function
_ZL15flash_attn_tileILi64ELi64ELi8ELi8ELb0EEvPKcS1_S1_S1_S1_PKiPfP15HIP_vector_typeIfLj2EEffffjfiS5_IjLj3EEiiiiiiiiiiiliiliiiiil: ; @_ZL15flash_attn_tileILi64ELi64ELi8ELi8ELb0EEvPKcS1_S1_S1_S1_PKiPfP15HIP_vector_typeIfLj2EEffffjfiS5_IjLj3EEiiiiiiiiiiiliiliiiiil
; %bb.0:
	s_clause 0x3
	s_load_b128 s[4:7], s[0:1], 0x5c
	s_load_b64 s[34:35], s[0:1], 0x80
	s_load_b512 s[16:31], s[0:1], 0x0
	s_load_b64 s[54:55], s[0:1], 0xb8
	s_mov_b64 s[52:53], 0
	s_waitcnt lgkmcnt(0)
	s_ashr_i32 s2, s7, 31
	s_delay_alu instid0(SALU_CYCLE_1) | instskip(NEXT) | instid1(SALU_CYCLE_1)
	s_lshr_b32 s2, s2, 29
	s_add_i32 s2, s7, s2
	s_delay_alu instid0(SALU_CYCLE_1) | instskip(NEXT) | instid1(SALU_CYCLE_1)
	s_ashr_i32 s2, s2, 3
	v_cvt_f32_u32_e32 v1, s2
	s_sub_i32 s8, 0, s2
	s_delay_alu instid0(VALU_DEP_1) | instskip(SKIP_2) | instid1(VALU_DEP_1)
	v_rcp_iflag_f32_e32 v1, v1
	s_waitcnt_depctr 0xfff
	v_mul_f32_e32 v1, 0x4f7ffffe, v1
	v_cvt_u32_f32_e32 v1, v1
	s_delay_alu instid0(VALU_DEP_1) | instskip(NEXT) | instid1(VALU_DEP_1)
	v_readfirstlane_b32 s3, v1
	s_mul_i32 s8, s8, s3
	s_delay_alu instid0(SALU_CYCLE_1) | instskip(NEXT) | instid1(SALU_CYCLE_1)
	s_mul_hi_u32 s8, s3, s8
	s_add_i32 s3, s3, s8
	s_delay_alu instid0(SALU_CYCLE_1) | instskip(NEXT) | instid1(SALU_CYCLE_1)
	s_mul_hi_u32 s3, s15, s3
	s_mul_i32 s8, s3, s2
	s_add_i32 s9, s3, 1
	s_sub_i32 s8, s15, s8
	s_delay_alu instid0(SALU_CYCLE_1)
	s_sub_i32 s10, s8, s2
	s_cmp_ge_u32 s8, s2
	s_cselect_b32 s3, s9, s3
	s_cselect_b32 s8, s10, s8
	s_add_i32 s9, s3, 1
	s_cmp_ge_u32 s8, s2
	s_cselect_b32 s33, s9, s3
	s_abs_i32 s3, s35
	s_abs_i32 s11, s7
	v_cvt_f32_u32_e32 v1, s3
	s_sub_i32 s8, 0, s3
	s_lshl_b32 s9, s15, 3
	s_mul_i32 s10, s33, s7
	s_delay_alu instid0(VALU_DEP_1) | instskip(SKIP_2) | instid1(VALU_DEP_1)
	v_rcp_iflag_f32_e32 v1, v1
	s_waitcnt_depctr 0xfff
	v_mul_f32_e32 v1, 0x4f7ffffe, v1
	v_cvt_u32_f32_e32 v1, v1
	s_delay_alu instid0(VALU_DEP_1) | instskip(NEXT) | instid1(VALU_DEP_1)
	v_readfirstlane_b32 s2, v1
	s_mul_i32 s8, s8, s2
	s_delay_alu instid0(SALU_CYCLE_1) | instskip(NEXT) | instid1(SALU_CYCLE_1)
	s_mul_hi_u32 s8, s2, s8
	s_add_i32 s8, s2, s8
	s_sub_i32 s2, s9, s10
	s_mul_hi_u32 s8, s11, s8
	s_xor_b32 s9, s7, s35
	s_mul_i32 s10, s8, s3
	s_ashr_i32 s9, s9, 31
	s_sub_i32 s10, s11, s10
	s_add_i32 s11, s8, 1
	s_sub_i32 s12, s10, s3
	s_cmp_ge_u32 s10, s3
	s_cselect_b32 s8, s11, s8
	s_cselect_b32 s10, s12, s10
	s_add_i32 s11, s8, 1
	s_cmp_ge_u32 s10, s3
	s_cselect_b32 s3, s11, s8
	s_delay_alu instid0(SALU_CYCLE_1) | instskip(NEXT) | instid1(SALU_CYCLE_1)
	s_xor_b32 s3, s3, s9
	s_sub_i32 s56, s3, s9
	s_delay_alu instid0(SALU_CYCLE_1) | instskip(SKIP_2) | instid1(VALU_DEP_1)
	s_abs_i32 s35, s56
	s_cmp_eq_u64 s[22:23], 0
	v_cvt_f32_u32_e32 v1, s35
	v_rcp_iflag_f32_e32 v1, v1
	s_waitcnt_depctr 0xfff
	v_mul_f32_e32 v1, 0x4f7ffffe, v1
	s_delay_alu instid0(VALU_DEP_1) | instskip(NEXT) | instid1(VALU_DEP_1)
	v_cvt_u32_f32_e32 v1, v1
	v_readfirstlane_b32 s57, v1
	s_cbranch_scc1 .LBB0_2
; %bb.1:
	s_abs_i32 s3, s54
	s_abs_i32 s10, s33
	v_cvt_f32_u32_e32 v1, s3
	s_sub_i32 s9, 0, s3
	s_delay_alu instid0(VALU_DEP_1) | instskip(SKIP_2) | instid1(VALU_DEP_1)
	v_rcp_iflag_f32_e32 v1, v1
	s_waitcnt_depctr 0xfff
	v_mul_f32_e32 v1, 0x4f7ffffe, v1
	v_cvt_u32_f32_e32 v1, v1
	s_delay_alu instid0(VALU_DEP_1) | instskip(NEXT) | instid1(VALU_DEP_1)
	v_readfirstlane_b32 s8, v1
	s_mul_i32 s9, s9, s8
	s_delay_alu instid0(SALU_CYCLE_1) | instskip(NEXT) | instid1(SALU_CYCLE_1)
	s_mul_hi_u32 s9, s8, s9
	s_add_i32 s11, s8, s9
	s_load_b64 s[8:9], s[0:1], 0xc8
	s_mul_hi_u32 s11, s10, s11
	s_delay_alu instid0(SALU_CYCLE_1) | instskip(NEXT) | instid1(SALU_CYCLE_1)
	s_mul_i32 s11, s11, s3
	s_sub_i32 s10, s10, s11
	s_ashr_i32 s11, s33, 31
	s_sub_i32 s12, s10, s3
	s_cmp_ge_u32 s10, s3
	s_cselect_b32 s10, s12, s10
	s_delay_alu instid0(SALU_CYCLE_1) | instskip(SKIP_2) | instid1(SALU_CYCLE_1)
	s_sub_i32 s12, s10, s3
	s_cmp_ge_u32 s10, s3
	s_cselect_b32 s3, s12, s10
	s_xor_b32 s3, s3, s11
	s_delay_alu instid0(SALU_CYCLE_1)
	s_sub_i32 s3, s3, s11
	s_waitcnt lgkmcnt(0)
	s_mul_i32 s9, s3, s9
	s_mul_hi_u32 s10, s3, s8
	s_ashr_i32 s11, s3, 31
	s_add_i32 s9, s10, s9
	s_mul_i32 s11, s11, s8
	s_mul_i32 s3, s3, s8
	s_add_i32 s9, s9, s11
	s_add_u32 s52, s22, s3
	s_addc_u32 s53, s23, s9
.LBB0_2:
	v_bfe_u32 v16, v0, 10, 10
	s_lshl_b32 s15, s13, 3
	s_load_b128 s[8:11], s[0:1], 0x70
	v_and_b32_e32 v79, 0x3ff, v0
	s_delay_alu instid0(VALU_DEP_2) | instskip(SKIP_1) | instid1(VALU_DEP_3)
	v_lshlrev_b32_e32 v61, 1, v16
	v_lshlrev_b32_e32 v28, 4, v16
	;; [unrolled: 1-line block ×3, first 2 shown]
	s_delay_alu instid0(VALU_DEP_3) | instskip(NEXT) | instid1(VALU_DEP_3)
	v_add_nc_u32_e32 v80, s15, v61
	v_or_b32_e32 v39, 8, v28
	v_or_b32_e32 v42, 9, v28
	;; [unrolled: 1-line block ×3, first 2 shown]
	s_delay_alu instid0(VALU_DEP_4) | instskip(NEXT) | instid1(VALU_DEP_4)
	v_mul_hi_u32 v1, v80, s4
	v_lshrrev_b32_e32 v77, 3, v39
	s_delay_alu instid0(VALU_DEP_4) | instskip(NEXT) | instid1(VALU_DEP_4)
	v_lshrrev_b32_e32 v75, 3, v42
	v_lshrrev_b32_e32 v73, 3, v45
	s_delay_alu instid0(VALU_DEP_3)
	v_add_nc_u32_e32 v78, s15, v77
	s_waitcnt lgkmcnt(0)
	s_mul_i32 s3, s33, s10
	v_add_nc_u32_e32 v1, v80, v1
	s_mul_i32 s10, s2, s9
	s_ashr_i32 s11, s3, 31
	s_add_u32 s3, s16, s3
	s_addc_u32 s11, s17, s11
	v_lshrrev_b32_e32 v1, s5, v1
	s_ashr_i32 s16, s10, 31
	s_add_u32 s12, s3, s10
	s_addc_u32 s16, s11, s16
	s_ashr_i32 s3, s8, 31
	v_mul_lo_u32 v1, v1, s6
	v_alignbit_b32 v34, s3, s8, 2
	s_ashr_i32 s11, s9, 31
	s_mov_b32 s10, s9
	v_alignbit_b32 v18, s11, s9, 2
	s_and_b32 s36, s9, -4
	s_lshr_b32 s3, s3, 2
	s_lshr_b64 s[38:39], s[10:11], 2
	v_sub_nc_u32_e32 v17, v80, v1
	s_add_u32 s17, s12, s36
	s_addc_u32 s22, s16, s11
	s_lshl_b64 s[8:9], s[38:39], 3
	v_mul_hi_u32 v12, v18, 20
	v_mad_u64_u32 v[1:2], null, v34, v17, 0
	s_add_u32 s8, s12, s8
	s_addc_u32 s9, s16, s9
	s_lshr_b32 s23, s11, 2
	s_and_b32 s37, s11, 0x3fffffff
	s_mul_i32 s38, s23, 12
	s_lshl_b64 s[10:11], s[36:37], 2
	s_delay_alu instid0(VALU_DEP_1)
	v_mov_b32_e32 v0, v2
	s_add_u32 s10, s12, s10
	s_addc_u32 s11, s16, s11
	v_mul_lo_u32 v13, v18, 20
	s_mul_i32 s36, s23, 20
	v_mad_u64_u32 v[2:3], null, s3, v17, v[0:1]
	v_mul_hi_u32 v0, v18, 12
	v_mul_lo_u32 v3, v18, 12
	v_add_nc_u32_e32 v12, s36, v12
	v_mul_hi_u32 v19, v78, s4
	v_mul_lo_u32 v14, v18, 24
	v_mul_hi_u32 v15, v18, 24
	v_add_nc_u32_e32 v76, s15, v75
	s_mul_i32 s36, s23, 24
	v_add_nc_u32_e32 v4, s38, v0
	v_lshlrev_b64 v[0:1], 2, v[1:2]
	v_add_co_u32 v32, vcc_lo, s12, v3
	v_add_nc_u32_e32 v19, v78, v19
	s_delay_alu instid0(VALU_DEP_4) | instskip(NEXT) | instid1(VALU_DEP_4)
	v_add_co_ci_u32_e32 v33, vcc_lo, s16, v4, vcc_lo
	v_add_co_u32 v2, vcc_lo, s12, v0
	v_add_co_ci_u32_e32 v3, vcc_lo, s16, v1, vcc_lo
	v_add_co_u32 v4, vcc_lo, s17, v0
	;; [unrolled: 2-line block ×9, first 2 shown]
	v_add_co_ci_u32_e32 v11, vcc_lo, s11, v1, vcc_lo
	s_clause 0x3
	global_load_b64 v[2:3], v[2:3], off
	global_load_b64 v[4:5], v[4:5], off
	;; [unrolled: 1-line block ×4, first 2 shown]
	v_add_co_u32 v10, vcc_lo, v10, v38
	v_add_co_ci_u32_e32 v11, vcc_lo, 0, v11, vcc_lo
	v_add_co_u32 v40, vcc_lo, s12, v13
	v_add_co_ci_u32_e32 v41, vcc_lo, s16, v12, vcc_lo
	v_add_nc_u32_e32 v15, s36, v15
	s_delay_alu instid0(VALU_DEP_3) | instskip(NEXT) | instid1(VALU_DEP_3)
	v_add_co_u32 v12, vcc_lo, v40, v0
	v_add_co_ci_u32_e32 v13, vcc_lo, v41, v1, vcc_lo
	v_mul_hi_u32 v21, v76, s4
	s_delay_alu instid0(VALU_DEP_3) | instskip(NEXT) | instid1(VALU_DEP_3)
	v_add_co_u32 v12, vcc_lo, v12, v38
	v_add_co_ci_u32_e32 v13, vcc_lo, 0, v13, vcc_lo
	v_add_co_u32 v43, vcc_lo, s12, v14
	v_lshrrev_b32_e32 v14, s5, v19
	v_add_co_ci_u32_e32 v44, vcc_lo, s16, v15, vcc_lo
	v_mul_hi_u32 v22, v18, 28
	s_delay_alu instid0(VALU_DEP_4) | instskip(NEXT) | instid1(VALU_DEP_4)
	v_add_co_u32 v15, vcc_lo, v43, v0
	v_mul_lo_u32 v20, v14, s6
	v_mul_lo_u32 v23, v18, 28
	v_add_co_ci_u32_e32 v19, vcc_lo, v44, v1, vcc_lo
	v_add_nc_u32_e32 v21, v76, v21
	s_mul_i32 s23, s23, 28
	v_add_co_u32 v14, vcc_lo, v15, v38
	v_sub_nc_u32_e32 v20, v78, v20
	v_add_nc_u32_e32 v22, s23, v22
	v_add_co_ci_u32_e32 v15, vcc_lo, 0, v19, vcc_lo
	v_lshrrev_b32_e32 v21, s5, v21
	v_add_co_u32 v46, vcc_lo, s12, v23
	v_mad_u64_u32 v[18:19], null, v34, v20, 0
	v_add_co_ci_u32_e32 v47, vcc_lo, s16, v22, vcc_lo
	s_delay_alu instid0(VALU_DEP_4) | instskip(NEXT) | instid1(VALU_DEP_4)
	v_mul_lo_u32 v21, v21, s6
	v_add_co_u32 v22, vcc_lo, v46, v0
	s_delay_alu instid0(VALU_DEP_3) | instskip(SKIP_1) | instid1(VALU_DEP_3)
	v_add_co_ci_u32_e32 v23, vcc_lo, v47, v1, vcc_lo
	v_mad_u64_u32 v[0:1], null, s3, v20, v[19:20]
	v_add_co_u32 v20, vcc_lo, v22, v38
	v_sub_nc_u32_e32 v24, v76, v21
	s_delay_alu instid0(VALU_DEP_4)
	v_add_co_ci_u32_e32 v21, vcc_lo, 0, v23, vcc_lo
	s_clause 0x3
	global_load_b64 v[10:11], v[10:11], off
	global_load_b64 v[12:13], v[12:13], off
	;; [unrolled: 1-line block ×4, first 2 shown]
	v_dual_mov_b32 v19, v0 :: v_dual_add_nc_u32 v74, s15, v73
	v_mad_u64_u32 v[0:1], null, v34, v24, 0
	s_cmp_eq_u64 s[26:27], 0
	s_delay_alu instid0(VALU_DEP_2) | instskip(NEXT) | instid1(VALU_DEP_3)
	v_mul_hi_u32 v25, v74, s4
	v_lshlrev_b64 v[18:19], 2, v[18:19]
	s_delay_alu instid0(VALU_DEP_2) | instskip(NEXT) | instid1(VALU_DEP_1)
	v_add_nc_u32_e32 v22, v74, v25
	v_lshrrev_b32_e32 v22, s5, v22
	s_delay_alu instid0(VALU_DEP_1) | instskip(NEXT) | instid1(VALU_DEP_1)
	v_mul_lo_u32 v25, v22, s6
	v_sub_nc_u32_e32 v25, v74, v25
	s_waitcnt vmcnt(7)
	v_mad_u64_u32 v[22:23], null, s3, v24, v[1:2]
	v_add_co_u32 v23, vcc_lo, s12, v18
	v_add_co_ci_u32_e32 v24, vcc_lo, s16, v19, vcc_lo
	v_mad_u64_u32 v[18:19], null, v34, v25, 0
	s_delay_alu instid0(VALU_DEP_4) | instskip(SKIP_3) | instid1(VALU_DEP_4)
	v_mov_b32_e32 v1, v22
	v_or_b32_e32 v48, 11, v28
	v_or_b32_e32 v49, 12, v28
	v_add_co_u32 v22, vcc_lo, v23, v38
	v_lshlrev_b64 v[0:1], 2, v[0:1]
	s_delay_alu instid0(VALU_DEP_4) | instskip(NEXT) | instid1(VALU_DEP_4)
	v_lshrrev_b32_e32 v71, 3, v48
	v_lshrrev_b32_e32 v69, 3, v49
	v_or_b32_e32 v50, 13, v28
	v_add_co_ci_u32_e32 v23, vcc_lo, 0, v24, vcc_lo
	s_delay_alu instid0(VALU_DEP_4) | instskip(NEXT) | instid1(VALU_DEP_4)
	v_add_nc_u32_e32 v72, s15, v71
	v_add_nc_u32_e32 v70, s15, v69
	s_delay_alu instid0(VALU_DEP_4)
	v_lshrrev_b32_e32 v66, 3, v50
	v_or_b32_e32 v52, 15, v28
	v_or_b32_e32 v51, 14, v28
	v_mul_hi_u32 v26, v72, s4
	v_mul_hi_u32 v27, v70, s4
	v_add_nc_u32_e32 v68, s15, v66
	v_lshrrev_b32_e32 v63, 3, v52
	v_lshrrev_b32_e32 v65, 3, v51
	v_add_nc_u32_e32 v26, v72, v26
	s_delay_alu instid0(VALU_DEP_3) | instskip(NEXT) | instid1(VALU_DEP_3)
	v_add_nc_u32_e32 v64, s15, v63
	v_add_nc_u32_e32 v67, s15, v65
	s_delay_alu instid0(VALU_DEP_3) | instskip(NEXT) | instid1(VALU_DEP_1)
	v_lshrrev_b32_e32 v26, s5, v26
	v_mul_lo_u32 v24, v26, s6
	v_add_nc_u32_e32 v26, v70, v27
	v_add_co_u32 v27, vcc_lo, s17, v0
	v_add_co_ci_u32_e32 v29, vcc_lo, s22, v1, vcc_lo
	s_delay_alu instid0(VALU_DEP_3) | instskip(SKIP_3) | instid1(VALU_DEP_3)
	v_lshrrev_b32_e32 v26, s5, v26
	v_sub_nc_u32_e32 v30, v72, v24
	s_waitcnt vmcnt(0)
	v_mad_u64_u32 v[0:1], null, s3, v25, v[19:20]
	v_mul_lo_u32 v1, v26, s6
	s_delay_alu instid0(VALU_DEP_2)
	v_mov_b32_e32 v19, v0
	v_add_co_u32 v24, vcc_lo, v27, v38
	v_add_co_ci_u32_e32 v25, vcc_lo, 0, v29, vcc_lo
	v_mul_hi_u32 v29, v68, s4
	v_mad_u64_u32 v[26:27], null, v34, v30, 0
	v_sub_nc_u32_e32 v31, v70, v1
	v_lshlrev_b64 v[18:19], 2, v[18:19]
	s_delay_alu instid0(VALU_DEP_4) | instskip(NEXT) | instid1(VALU_DEP_3)
	v_add_nc_u32_e32 v35, v68, v29
	v_mad_u64_u32 v[0:1], null, v34, v31, 0
	v_mad_u64_u32 v[28:29], null, s3, v30, v[27:28]
	s_delay_alu instid0(VALU_DEP_3)
	v_lshrrev_b32_e32 v29, s5, v35
	v_mul_hi_u32 v35, v64, s4
	v_mul_hi_u32 v30, v67, s4
	v_add_co_u32 v36, vcc_lo, s8, v18
	v_add_co_ci_u32_e32 v37, vcc_lo, s9, v19, vcc_lo
	v_mul_lo_u32 v53, v29, s6
	v_mad_u64_u32 v[18:19], null, s3, v31, v[1:2]
	v_add_nc_u32_e32 v19, v64, v35
	v_add_nc_u32_e32 v1, v67, v30
	v_mov_b32_e32 v27, v28
	v_add_co_u32 v28, vcc_lo, v36, v38
	s_delay_alu instid0(VALU_DEP_4)
	v_lshrrev_b32_e32 v19, s5, v19
	v_sub_nc_u32_e32 v35, v68, v53
	v_lshrrev_b32_e32 v36, s5, v1
	v_lshlrev_b64 v[26:27], 2, v[26:27]
	v_mov_b32_e32 v1, v18
	v_mul_lo_u32 v19, v19, s6
	v_mad_u64_u32 v[30:31], null, v34, v35, 0
	v_mul_lo_u32 v36, v36, s6
	v_add_co_ci_u32_e32 v29, vcc_lo, 0, v37, vcc_lo
	v_add_co_u32 v37, vcc_lo, v32, v26
	v_sub_nc_u32_e32 v54, v64, v19
	v_mov_b32_e32 v18, v31
	v_add_co_ci_u32_e32 v53, vcc_lo, v33, v27, vcc_lo
	v_sub_nc_u32_e32 v36, v67, v36
	v_lshlrev_b64 v[0:1], 2, v[0:1]
	v_mad_u64_u32 v[32:33], null, v34, v54, 0
	v_mad_u64_u32 v[26:27], null, s3, v35, v[18:19]
	s_delay_alu instid0(VALU_DEP_4)
	v_mad_u64_u32 v[18:19], null, v34, v36, 0
	v_add_co_u32 v34, vcc_lo, v37, v38
	v_add_co_ci_u32_e32 v35, vcc_lo, 0, v53, vcc_lo
	v_add_co_u32 v53, vcc_lo, s10, v0
	v_add_co_ci_u32_e32 v1, vcc_lo, s11, v1, vcc_lo
	v_dual_mov_b32 v0, v33 :: v_dual_mov_b32 v31, v26
	v_mad_u64_u32 v[26:27], null, s3, v36, v[19:20]
	v_lshlrev_b32_e32 v60, 2, v79
	s_delay_alu instid0(VALU_DEP_3) | instskip(NEXT) | instid1(VALU_DEP_4)
	v_mad_u64_u32 v[36:37], null, s3, v54, v[0:1]
	v_lshlrev_b64 v[30:31], 2, v[30:31]
	v_add_co_u32 v0, vcc_lo, v53, v38
	v_mov_b32_e32 v19, v26
	v_add_co_ci_u32_e32 v1, vcc_lo, 0, v1, vcc_lo
	v_mov_b32_e32 v33, v36
	v_add_co_u32 v26, vcc_lo, v40, v30
	v_add_co_ci_u32_e32 v27, vcc_lo, v41, v31, vcc_lo
	v_lshlrev_b64 v[18:19], 2, v[18:19]
	s_delay_alu instid0(VALU_DEP_3) | instskip(SKIP_1) | instid1(VALU_DEP_4)
	v_add_co_u32 v26, vcc_lo, v26, v38
	v_lshlrev_b64 v[30:31], 2, v[32:33]
	v_add_co_ci_u32_e32 v27, vcc_lo, 0, v27, vcc_lo
	s_delay_alu instid0(VALU_DEP_4) | instskip(SKIP_1) | instid1(VALU_DEP_4)
	v_add_co_u32 v18, vcc_lo, v43, v18
	v_add_co_ci_u32_e32 v19, vcc_lo, v44, v19, vcc_lo
	v_add_co_u32 v30, vcc_lo, v46, v30
	v_add_co_ci_u32_e32 v31, vcc_lo, v47, v31, vcc_lo
	s_delay_alu instid0(VALU_DEP_4) | instskip(NEXT) | instid1(VALU_DEP_4)
	v_add_co_u32 v18, vcc_lo, v18, v38
	v_add_co_ci_u32_e32 v19, vcc_lo, 0, v19, vcc_lo
	s_delay_alu instid0(VALU_DEP_4) | instskip(NEXT) | instid1(VALU_DEP_4)
	v_add_co_u32 v30, vcc_lo, v30, v38
	v_add_co_ci_u32_e32 v31, vcc_lo, 0, v31, vcc_lo
	s_clause 0x7
	global_load_b64 v[22:23], v[22:23], off
	global_load_b64 v[24:25], v[24:25], off
	global_load_b64 v[28:29], v[28:29], off
	global_load_b64 v[32:33], v[34:35], off
	global_load_b64 v[0:1], v[0:1], off
	global_load_b64 v[26:27], v[26:27], off
	global_load_b64 v[18:19], v[18:19], off
	global_load_b64 v[30:31], v[30:31], off
	s_load_b32 s3, s[0:1], 0x40
	v_lshl_or_b32 v34, v16, 11, v60
	v_lshlrev_b32_e32 v36, 5, v42
	v_lshlrev_b32_e32 v37, 5, v45
	;; [unrolled: 1-line block ×3, first 2 shown]
	v_lshl_or_b32 v35, v39, 7, v60
	v_add_nc_u32_e32 v34, 0x4400, v34
	v_lshlrev_b32_e32 v40, 5, v50
	v_lshlrev_b32_e32 v41, 5, v51
	;; [unrolled: 1-line block ×3, first 2 shown]
	v_add_lshl_u32 v36, v36, v79, 2
	v_add_lshl_u32 v37, v37, v79, 2
	v_add_lshl_u32 v38, v38, v79, 2
	v_lshl_or_b32 v39, v49, 7, v60
	v_add_lshl_u32 v40, v40, v79, 2
	v_add_lshl_u32 v41, v41, v79, 2
	v_add_lshl_u32 v42, v42, v79, 2
	s_waitcnt lgkmcnt(0)
	v_fma_mixlo_f16 v2, v2, s3, 0
	v_fma_mixlo_f16 v4, v4, s3, 0
	;; [unrolled: 1-line block ×8, first 2 shown]
	v_fma_mixhi_f16 v2, v3, s3, 0
	v_fma_mixhi_f16 v4, v5, s3, 0
	;; [unrolled: 1-line block ×8, first 2 shown]
	ds_store_2addr_b32 v34, v2, v4 offset1:32
	ds_store_2addr_b32 v34, v6, v8 offset0:64 offset1:96
	ds_store_2addr_b32 v34, v10, v12 offset0:128 offset1:160
	;; [unrolled: 1-line block ×3, first 2 shown]
	s_waitcnt vmcnt(7)
	v_fma_mixlo_f16 v2, v22, s3, 0
	s_waitcnt vmcnt(6)
	v_fma_mixlo_f16 v3, v24, s3, 0
	;; [unrolled: 2-line block ×8, first 2 shown]
	v_fma_mixhi_f16 v2, v23, s3, 0
	v_fma_mixhi_f16 v3, v25, s3, 0
	;; [unrolled: 1-line block ×8, first 2 shown]
	ds_store_b32 v35, v2 offset:17408
	ds_store_b32 v36, v3 offset:17408
	;; [unrolled: 1-line block ×8, first 2 shown]
	s_waitcnt lgkmcnt(0)
	s_barrier
	buffer_gl0_inv
	s_cbranch_scc1 .LBB0_4
; %bb.3:
	s_load_b32 s3, s[0:1], 0xd0
	s_mov_b32 s9, 0
	s_waitcnt lgkmcnt(0)
	s_mul_i32 s3, s3, s33
	s_delay_alu instid0(SALU_CYCLE_1) | instskip(NEXT) | instid1(SALU_CYCLE_1)
	s_add_i32 s8, s3, s13
	s_lshl_b64 s[8:9], s[8:9], 2
	s_delay_alu instid0(SALU_CYCLE_1)
	s_add_u32 s8, s26, s8
	s_addc_u32 s9, s27, s9
	s_load_b32 s34, s[8:9], 0x0
.LBB0_4:
	v_mbcnt_lo_u32_b32 v62, -1, 0
	s_lshl_b32 s3, s14, 6
	s_waitcnt lgkmcnt(0)
	s_cmp_lt_i32 s3, s34
	s_cbranch_scc1 .LBB0_6
; %bb.5:
	v_mbcnt_lo_u32_b32 v33, -1, 0
	v_mov_b32_e32 v82, 32
	s_mov_b32 s36, 0xfeffffff
	s_mov_b32 s8, 0
	;; [unrolled: 1-line block ×3, first 2 shown]
	v_xor_b32_e32 v86, 16, v33
	v_xor_b32_e32 v87, 8, v33
	;; [unrolled: 1-line block ×5, first 2 shown]
	s_mov_b32 s38, s36
	s_mov_b32 s39, s36
	;; [unrolled: 1-line block ×14, first 2 shown]
	s_branch .LBB0_7
.LBB0_6:
	s_mov_b32 s8, -1
                                        ; implicit-def: $sgpr36_sgpr37_sgpr38_sgpr39_sgpr40_sgpr41_sgpr42_sgpr43_sgpr44_sgpr45_sgpr46_sgpr47_sgpr48_sgpr49_sgpr50_sgpr51
                                        ; implicit-def: $vgpr33
                                        ; implicit-def: $vgpr82
                                        ; implicit-def: $vgpr86
                                        ; implicit-def: $vgpr87
                                        ; implicit-def: $vgpr84
                                        ; implicit-def: $vgpr85
                                        ; implicit-def: $vgpr83
.LBB0_7:
	s_delay_alu instid0(SALU_CYCLE_1) | instskip(SKIP_2) | instid1(VALU_DEP_3)
	v_cndmask_b32_e64 v18, 0, 1, s8
	v_dual_mov_b32 v81, s8 :: v_dual_mov_b32 v0, s36
	v_dual_mov_b32 v1, s37 :: v_dual_mov_b32 v2, s38
	v_cmp_ne_u32_e32 vcc_lo, 1, v18
	v_dual_mov_b32 v3, s39 :: v_dual_mov_b32 v4, s40
	v_dual_mov_b32 v5, s41 :: v_dual_mov_b32 v6, s42
	;; [unrolled: 1-line block ×22, first 2 shown]
	s_cbranch_vccnz .LBB0_11
; %bb.8:
	s_clause 0x1
	s_load_b128 s[8:11], s[0:1], 0x98
	s_load_b64 s[12:13], s[0:1], 0x8c
	s_sub_i32 s16, 0, s35
	s_abs_i32 s22, s2
	s_mul_i32 s16, s16, s57
	s_ashr_i32 s37, s33, 31
	s_mul_hi_u32 s27, s57, s16
	s_ashr_i32 s23, s2, 31
	s_add_i32 s57, s57, s27
	s_ashr_i32 s26, s56, 31
	s_mul_hi_u32 s36, s22, s57
	s_load_b64 s[16:17], s[0:1], 0xa8
	s_ashr_i32 s27, s55, 1
	s_mul_i32 s38, s36, s35
	v_add3_u32 v10, s15, v61, 1
	v_lshrrev_b32_e32 v0, 3, v79
	v_dual_mov_b32 v115, 0 :: v_dual_and_b32 v18, 28, v60
	v_mov_b32_e32 v111, 0
	s_delay_alu instid0(VALU_DEP_4)
	v_mul_hi_u32 v2, s4, v10
	s_waitcnt lgkmcnt(0)
	s_mul_i32 s9, s33, s9
	s_mul_hi_u32 s39, s33, s8
	s_mul_i32 s40, s37, s8
	s_add_i32 s9, s39, s9
	s_mul_i32 s8, s33, s8
	s_ashr_i32 s10, s10, 2
	s_ashr_i32 s12, s12, 2
	s_add_i32 s9, s9, s40
	s_add_u32 s8, s18, s8
	s_addc_u32 s9, s19, s9
	s_sub_i32 s19, s22, s38
	s_xor_b32 s18, s23, s26
	s_add_i32 s22, s36, 1
	s_sub_i32 s23, s19, s35
	s_cmp_ge_u32 s19, s35
	v_lshl_add_u32 v0, v16, 2, v0
	s_cselect_b32 s22, s22, s36
	s_cselect_b32 s19, s23, s19
	s_add_i32 s23, s22, 1
	s_cmp_ge_u32 s19, s35
	s_mul_i32 s17, s33, s17
	s_cselect_b32 s19, s23, s22
	s_mul_i32 s37, s37, s16
	s_xor_b32 s19, s19, s18
	v_mul_lo_u32 v1, s12, v0
	s_sub_i32 s18, s19, s18
	s_mul_hi_u32 s19, s33, s16
	s_mul_i32 s13, s18, s13
	s_mul_i32 s16, s33, s16
	s_ashr_i32 s22, s13, 31
	s_add_u32 s8, s8, s13
	s_addc_u32 s9, s9, s22
	s_add_i32 s13, s19, s17
	s_mul_i32 s18, s18, s11
	s_add_i32 s13, s13, s37
	v_add_nc_u32_e32 v2, v10, v2
	s_add_u32 s16, s20, s16
	s_addc_u32 s4, s21, s13
	s_ashr_i32 s13, s18, 31
	s_add_u32 s11, s16, s18
	s_addc_u32 s13, s4, s13
	s_lshl_b32 s4, s12, 4
	v_lshrrev_b32_e32 v6, s5, v2
	v_dual_mov_b32 v110, 0 :: v_dual_add_nc_u32 v3, s4, v1
	v_mul_lo_u32 v9, s10, v0
	v_dual_mov_b32 v113, 0 :: v_dual_lshlrev_b32 v12, 2, v18
	s_delay_alu instid0(VALU_DEP_4) | instskip(NEXT) | instid1(VALU_DEP_4)
	v_mul_lo_u32 v11, v6, s6
	v_dual_mov_b32 v116, 0 :: v_dual_add_nc_u32 v5, s4, v3
	s_delay_alu instid0(VALU_DEP_3) | instskip(SKIP_1) | instid1(VALU_DEP_3)
	v_mad_u32_u24 v88, 0x90, v0, v12
	v_lshl_or_b32 v96, v0, 7, v12
	v_dual_mov_b32 v0, 0xfeffffff :: v_dual_add_nc_u32 v7, s4, v5
	v_mov_b32_e32 v112, 0
	s_lshl_b32 s4, s10, 4
	v_sub_nc_u32_e32 v10, v10, v11
	v_add_nc_u32_e32 v11, s4, v9
	v_ashrrev_i32_e32 v2, 31, v1
	v_dual_mov_b32 v119, 0 :: v_dual_lshlrev_b32 v14, 11, v16
	s_delay_alu instid0(VALU_DEP_3)
	v_dual_mov_b32 v120, 0 :: v_dual_add_nc_u32 v13, s4, v11
	v_ashrrev_i32_e32 v4, 31, v3
	v_ashrrev_i32_e32 v6, 31, v5
	;; [unrolled: 1-line block ×3, first 2 shown]
	v_dual_mov_b32 v118, 0 :: v_dual_add_nc_u32 v93, 0x4400, v14
	v_add_nc_u32_e32 v15, s4, v13
	v_mul_lo_u32 v95, v10, s27
	v_dual_mov_b32 v124, 0 :: v_dual_add_nc_u32 v97, 0x2400, v14
	v_ashrrev_i32_e32 v10, 31, v9
	v_ashrrev_i32_e32 v12, 31, v11
	;; [unrolled: 1-line block ×3, first 2 shown]
	v_lshlrev_b64 v[44:45], 2, v[1:2]
	v_mov_b32_e32 v2, 0xfeffffff
	v_ashrrev_i32_e32 v16, 31, v15
	v_mul_lo_u32 v94, v17, s27
	v_dual_mov_b32 v122, 0 :: v_dual_lshlrev_b32 v17, 4, v79
	v_lshlrev_b64 v[46:47], 2, v[3:4]
	v_lshlrev_b64 v[48:49], 2, v[5:6]
	;; [unrolled: 1-line block ×7, first 2 shown]
	v_dual_mov_b32 v82, 32 :: v_dual_add_nc_u32 v89, 0x900, v88
	v_dual_mov_b32 v117, 0 :: v_dual_add_nc_u32 v90, 0x1200, v88
	;; [unrolled: 1-line block ×3, first 2 shown]
	v_mul_u32_u24_e32 v92, 0x90, v79
	v_dual_mov_b32 v121, 0 :: v_dual_add_nc_u32 v98, 0x800, v96
	v_add_nc_u32_e32 v99, 0x1000, v96
	v_dual_mov_b32 v123, 0 :: v_dual_add_nc_u32 v100, 0x1800, v96
	v_dual_mov_b32 v4, 0xfeffffff :: v_dual_lshlrev_b32 v101, 2, v18
	v_xor_b32_e32 v86, 16, v62
	v_xor_b32_e32 v87, 8, v62
	;; [unrolled: 1-line block ×5, first 2 shown]
	v_dual_mov_b32 v127, 0 :: v_dual_add_nc_u32 v102, v97, v17
	v_dual_mov_b32 v20, 0 :: v_dual_add_nc_u32 v103, 0x400, v60
	;; [unrolled: 1-line block ×8, first 2 shown]
	v_dual_mov_b32 v1, 0xfeffffff :: v_dual_mov_b32 v6, 0xfeffffff
	v_dual_mov_b32 v3, 0xfeffffff :: v_dual_mov_b32 v8, 0xfeffffff
	v_dual_mov_b32 v5, 0xfeffffff :: v_dual_mov_b32 v10, 0xfeffffff
	v_dual_mov_b32 v7, 0xfeffffff :: v_dual_mov_b32 v12, 0xfeffffff
	v_dual_mov_b32 v9, 0xfeffffff :: v_dual_mov_b32 v14, 0xfeffffff
	v_dual_mov_b32 v11, 0xfeffffff :: v_dual_mov_b32 v28, 0
	v_dual_mov_b32 v13, 0xfeffffff :: v_dual_mov_b32 v30, 0
	v_dual_mov_b32 v15, 0xfeffffff :: v_dual_mov_b32 v32, 0
	v_dual_mov_b32 v18, 0 :: v_dual_mov_b32 v25, 0
	v_mov_b32_e32 v27, 0
	v_mov_b32_e32 v29, 0
	v_mov_b32_e32 v31, 0
	v_mov_b32_e32 v81, 0
	s_add_u32 s4, s0, 0xd0
	s_addc_u32 s5, s1, 0
.LBB0_9:                                ; =>This Inner Loop Header: Depth=1
	s_mul_hi_i32 s17, s3, s12
	s_mul_i32 s16, s3, s12
	v_dual_mov_b32 v162, v2 :: v_dual_mov_b32 v169, v0
	s_lshl_b64 s[16:17], s[16:17], 2
	v_dual_mov_b32 v168, v1 :: v_dual_mov_b32 v177, 0
	s_add_u32 s16, s8, s16
	s_addc_u32 s17, s9, s17
	v_add_co_u32 v0, vcc_lo, s16, v44
	v_add_co_ci_u32_e32 v1, vcc_lo, s17, v45, vcc_lo
	v_dual_mov_b32 v156, v4 :: v_dual_mov_b32 v161, v3
	s_delay_alu instid0(VALU_DEP_3) | instskip(NEXT) | instid1(VALU_DEP_3)
	v_add_co_u32 v0, vcc_lo, v0, v101
	v_add_co_ci_u32_e32 v1, vcc_lo, 0, v1, vcc_lo
	v_dual_mov_b32 v125, v32 :: v_dual_mov_b32 v130, v30
	v_dual_mov_b32 v129, v31 :: v_dual_mov_b32 v134, v28
	global_load_b128 v[0:3], v[0:1], off
	v_dual_mov_b32 v133, v29 :: v_dual_mov_b32 v140, v26
	v_dual_mov_b32 v139, v27 :: v_dual_mov_b32 v148, v24
	;; [unrolled: 1-line block ×18, first 2 shown]
	v_mov_b32_e32 v137, 0
	v_dual_mov_b32 v175, 0 :: v_dual_mov_b32 v170, 0
	v_dual_mov_b32 v172, 0 :: v_dual_mov_b32 v163, 0
	v_mov_b32_e32 v176, 0
	s_waitcnt vmcnt(0)
	ds_store_b128 v88, v[0:3]
	v_add_co_u32 v0, vcc_lo, s16, v46
	v_add_co_ci_u32_e32 v1, vcc_lo, s17, v47, vcc_lo
	s_delay_alu instid0(VALU_DEP_2) | instskip(NEXT) | instid1(VALU_DEP_2)
	v_add_co_u32 v0, vcc_lo, v0, v101
	v_add_co_ci_u32_e32 v1, vcc_lo, 0, v1, vcc_lo
	global_load_b128 v[0:3], v[0:1], off
	s_waitcnt vmcnt(0)
	ds_store_b128 v89, v[0:3]
	v_add_co_u32 v0, vcc_lo, s16, v48
	v_add_co_ci_u32_e32 v1, vcc_lo, s17, v49, vcc_lo
	s_delay_alu instid0(VALU_DEP_2) | instskip(NEXT) | instid1(VALU_DEP_2)
	v_add_co_u32 v0, vcc_lo, v0, v101
	v_add_co_ci_u32_e32 v1, vcc_lo, 0, v1, vcc_lo
	global_load_b128 v[0:3], v[0:1], off
	s_waitcnt vmcnt(0)
	ds_store_b128 v90, v[0:3]
	v_add_co_u32 v0, vcc_lo, s16, v50
	v_add_co_ci_u32_e32 v1, vcc_lo, s17, v51, vcc_lo
	s_mul_hi_i32 s17, s3, s10
	s_delay_alu instid0(VALU_DEP_2) | instskip(NEXT) | instid1(VALU_DEP_2)
	v_add_co_u32 v0, vcc_lo, v0, v101
	v_add_co_ci_u32_e32 v1, vcc_lo, 0, v1, vcc_lo
	v_cmp_gt_i32_e32 vcc_lo, 32, v86
	s_mul_i32 s16, s3, s10
	global_load_b128 v[0:3], v[0:1], off
	s_lshl_b64 s[16:17], s[16:17], 2
	s_delay_alu instid0(SALU_CYCLE_1)
	s_add_u32 s16, s11, s16
	s_addc_u32 s17, s13, s17
	s_waitcnt vmcnt(0)
	ds_store_b128 v91, v[0:3]
	s_waitcnt lgkmcnt(0)
	s_barrier
	buffer_gl0_inv
	ds_load_b128 v[178:181], v92
	ds_load_b128 v[0:3], v92 offset:4608
	ds_load_b128 v[182:185], v93
	ds_load_b128 v[186:189], v93 offset:128
	ds_load_b128 v[190:193], v93 offset:256
	;; [unrolled: 1-line block ×15, first 2 shown]
	s_waitcnt lgkmcnt(15)
	;;#ASMSTART
	v_dot2_f32_f16 v174, v178, v182, v174
	;;#ASMEND
	;;#ASMSTART
	v_dot2_f32_f16 v174, v179, v183, v174
	;;#ASMEND
	;;#ASMSTART
	v_dot2_f32_f16 v174, v180, v184, v174
	;;#ASMEND
	;;#ASMSTART
	v_dot2_f32_f16 v174, v181, v185, v174
	;;#ASMEND
	s_waitcnt lgkmcnt(14)
	;;#ASMSTART
	v_dot2_f32_f16 v177, v178, v186, v177
	;;#ASMEND
	;;#ASMSTART
	v_dot2_f32_f16 v177, v179, v187, v177
	;;#ASMEND
	;;#ASMSTART
	v_dot2_f32_f16 v177, v180, v188, v177
	;;#ASMEND
	;;#ASMSTART
	v_dot2_f32_f16 v177, v181, v189, v177
	;;#ASMEND
	;; [unrolled: 13-line block ×15, first 2 shown]
	s_waitcnt lgkmcnt(0)
	;;#ASMSTART
	v_dot2_f32_f16 v138, v178, v4, v138
	;;#ASMEND
	;;#ASMSTART
	v_dot2_f32_f16 v138, v179, v5, v138
	;;#ASMEND
	;; [unrolled: 3-line block ×3, first 2 shown]
	v_mov_b32_e32 v178, 0
	;;#ASMSTART
	v_dot2_f32_f16 v138, v181, v7, v138
	;;#ASMEND
	;;#ASMSTART
	v_dot2_f32_f16 v178, v0, v182, v178
	;;#ASMEND
	;; [unrolled: 3-line block ×4, first 2 shown]
	v_mov_b32_e32 v179, 0
	;;#ASMSTART
	v_dot2_f32_f16 v178, v3, v185, v178
	;;#ASMEND
	;;#ASMSTART
	v_dot2_f32_f16 v179, v0, v186, v179
	;;#ASMEND
	;; [unrolled: 3-line block ×24, first 2 shown]
	v_mov_b32_e32 v40, 0
	;;#ASMSTART
	v_dot2_f32_f16 v163, v3, v43, v163
	;;#ASMEND
	;;#ASMSTART
	v_dot2_f32_f16 v40, v0, v36, v40
	;;#ASMEND
	;; [unrolled: 3-line block ×5, first 2 shown]
	v_mov_b32_e32 v39, 0
	;;#ASMSTART
	v_dot2_f32_f16 v39, v0, v32, v39
	;;#ASMEND
	;;#ASMSTART
	v_dot2_f32_f16 v39, v1, v33, v39
	;;#ASMEND
	;; [unrolled: 3-line block ×3, first 2 shown]
	v_mov_b32_e32 v32, 0
	;;#ASMSTART
	v_dot2_f32_f16 v39, v3, v35, v39
	;;#ASMEND
	;;#ASMSTART
	v_dot2_f32_f16 v32, v0, v28, v32
	;;#ASMEND
	;; [unrolled: 3-line block ×3, first 2 shown]
	v_mov_b32_e32 v29, 0
	;;#ASMSTART
	v_dot2_f32_f16 v32, v2, v30, v32
	;;#ASMEND
	v_mov_b32_e32 v28, 0
	;;#ASMSTART
	v_dot2_f32_f16 v32, v3, v31, v32
	;;#ASMEND
	;;#ASMSTART
	v_dot2_f32_f16 v28, v0, v24, v28
	;;#ASMEND
	;; [unrolled: 3-line block ×8, first 2 shown]
	v_mov_b32_e32 v30, 0
	;;#ASMSTART
	v_dot2_f32_f16 v29, v3, v23, v29
	;;#ASMEND
	;;#ASMSTART
	v_dot2_f32_f16 v30, v0, v16, v30
	;;#ASMEND
	;;#ASMSTART
	v_dot2_f32_f16 v30, v1, v17, v30
	;;#ASMEND
	;;#ASMSTART
	v_dot2_f32_f16 v30, v2, v18, v30
	;;#ASMEND
	v_mov_b32_e32 v16, 0
	;;#ASMSTART
	v_dot2_f32_f16 v30, v3, v19, v30
	;;#ASMEND
	;;#ASMSTART
	v_dot2_f32_f16 v16, v0, v12, v16
	;;#ASMEND
	;;#ASMSTART
	v_dot2_f32_f16 v16, v1, v13, v16
	;;#ASMEND
	;;#ASMSTART
	v_dot2_f32_f16 v16, v2, v14, v16
	;;#ASMEND
	;; [unrolled: 13-line block ×4, first 2 shown]
	;;#ASMSTART
	v_dot2_f32_f16 v15, v3, v7, v15
	;;#ASMEND
	ds_load_b128 v[0:3], v92 offset:16
	ds_load_b128 v[4:7], v92 offset:4624
	;; [unrolled: 1-line block ×18, first 2 shown]
	s_waitcnt lgkmcnt(15)
	;;#ASMSTART
	v_dot2_f32_f16 v174, v0, v8, v174
	;;#ASMEND
	;;#ASMSTART
	v_dot2_f32_f16 v174, v1, v9, v174
	;;#ASMEND
	;;#ASMSTART
	v_dot2_f32_f16 v174, v2, v10, v174
	;;#ASMEND
	;;#ASMSTART
	v_dot2_f32_f16 v174, v3, v11, v174
	;;#ASMEND
	s_waitcnt lgkmcnt(14)
	;;#ASMSTART
	v_dot2_f32_f16 v177, v0, v17, v177
	;;#ASMEND
	;;#ASMSTART
	v_dot2_f32_f16 v177, v1, v18, v177
	;;#ASMEND
	;;#ASMSTART
	v_dot2_f32_f16 v177, v2, v19, v177
	;;#ASMEND
	;;#ASMSTART
	v_dot2_f32_f16 v177, v3, v20, v177
	;;#ASMEND
	;; [unrolled: 13-line block ×16, first 2 shown]
	;;#ASMSTART
	v_dot2_f32_f16 v178, v4, v8, v178
	;;#ASMEND
	;;#ASMSTART
	v_dot2_f32_f16 v178, v5, v9, v178
	;;#ASMEND
	;; [unrolled: 3-line block ×64, first 2 shown]
	ds_load_b128 v[0:3], v92 offset:32
	ds_load_b128 v[4:7], v92 offset:4640
	;; [unrolled: 1-line block ×18, first 2 shown]
	s_waitcnt lgkmcnt(15)
	;;#ASMSTART
	v_dot2_f32_f16 v174, v0, v8, v174
	;;#ASMEND
	;;#ASMSTART
	v_dot2_f32_f16 v174, v1, v9, v174
	;;#ASMEND
	;;#ASMSTART
	v_dot2_f32_f16 v174, v2, v10, v174
	;;#ASMEND
	;;#ASMSTART
	v_dot2_f32_f16 v174, v3, v11, v174
	;;#ASMEND
	s_waitcnt lgkmcnt(14)
	;;#ASMSTART
	v_dot2_f32_f16 v177, v0, v17, v177
	;;#ASMEND
	;;#ASMSTART
	v_dot2_f32_f16 v177, v1, v18, v177
	;;#ASMEND
	;;#ASMSTART
	v_dot2_f32_f16 v177, v2, v19, v177
	;;#ASMEND
	;;#ASMSTART
	v_dot2_f32_f16 v177, v3, v20, v177
	;;#ASMEND
	;; [unrolled: 13-line block ×16, first 2 shown]
	;;#ASMSTART
	v_dot2_f32_f16 v178, v4, v8, v178
	;;#ASMEND
	;;#ASMSTART
	v_dot2_f32_f16 v178, v5, v9, v178
	;;#ASMEND
	;; [unrolled: 3-line block ×64, first 2 shown]
	ds_load_b128 v[0:3], v92 offset:48
	ds_load_b128 v[4:7], v92 offset:4656
	;; [unrolled: 1-line block ×18, first 2 shown]
	s_waitcnt lgkmcnt(15)
	;;#ASMSTART
	v_dot2_f32_f16 v174, v0, v8, v174
	;;#ASMEND
	;;#ASMSTART
	v_dot2_f32_f16 v174, v1, v9, v174
	;;#ASMEND
	;;#ASMSTART
	v_dot2_f32_f16 v174, v2, v10, v174
	;;#ASMEND
	;;#ASMSTART
	v_dot2_f32_f16 v174, v3, v11, v174
	;;#ASMEND
	s_waitcnt lgkmcnt(14)
	;;#ASMSTART
	v_dot2_f32_f16 v177, v0, v17, v177
	;;#ASMEND
	;;#ASMSTART
	v_dot2_f32_f16 v177, v1, v18, v177
	;;#ASMEND
	;;#ASMSTART
	v_dot2_f32_f16 v177, v2, v19, v177
	;;#ASMEND
	;;#ASMSTART
	v_dot2_f32_f16 v177, v3, v20, v177
	;;#ASMEND
	;; [unrolled: 13-line block ×16, first 2 shown]
	;;#ASMSTART
	v_dot2_f32_f16 v178, v4, v8, v178
	;;#ASMEND
	;;#ASMSTART
	v_dot2_f32_f16 v178, v5, v9, v178
	;;#ASMEND
	;; [unrolled: 3-line block ×64, first 2 shown]
	ds_load_b128 v[0:3], v92 offset:64
	ds_load_b128 v[4:7], v92 offset:4672
	;; [unrolled: 1-line block ×18, first 2 shown]
	s_waitcnt lgkmcnt(15)
	;;#ASMSTART
	v_dot2_f32_f16 v174, v0, v8, v174
	;;#ASMEND
	;;#ASMSTART
	v_dot2_f32_f16 v174, v1, v9, v174
	;;#ASMEND
	;;#ASMSTART
	v_dot2_f32_f16 v174, v2, v10, v174
	;;#ASMEND
	;;#ASMSTART
	v_dot2_f32_f16 v174, v3, v11, v174
	;;#ASMEND
	s_waitcnt lgkmcnt(14)
	;;#ASMSTART
	v_dot2_f32_f16 v177, v0, v17, v177
	;;#ASMEND
	;;#ASMSTART
	v_dot2_f32_f16 v177, v1, v18, v177
	;;#ASMEND
	;;#ASMSTART
	v_dot2_f32_f16 v177, v2, v19, v177
	;;#ASMEND
	;;#ASMSTART
	v_dot2_f32_f16 v177, v3, v20, v177
	;;#ASMEND
	;; [unrolled: 13-line block ×16, first 2 shown]
	;;#ASMSTART
	v_dot2_f32_f16 v178, v4, v8, v178
	;;#ASMEND
	;;#ASMSTART
	v_dot2_f32_f16 v178, v5, v9, v178
	;;#ASMEND
	;; [unrolled: 3-line block ×64, first 2 shown]
	ds_load_b128 v[0:3], v92 offset:80
	ds_load_b128 v[4:7], v92 offset:4688
	;; [unrolled: 1-line block ×18, first 2 shown]
	s_waitcnt lgkmcnt(15)
	;;#ASMSTART
	v_dot2_f32_f16 v174, v0, v8, v174
	;;#ASMEND
	;;#ASMSTART
	v_dot2_f32_f16 v174, v1, v9, v174
	;;#ASMEND
	;;#ASMSTART
	v_dot2_f32_f16 v174, v2, v10, v174
	;;#ASMEND
	;;#ASMSTART
	v_dot2_f32_f16 v174, v3, v11, v174
	;;#ASMEND
	s_waitcnt lgkmcnt(14)
	;;#ASMSTART
	v_dot2_f32_f16 v177, v0, v17, v177
	;;#ASMEND
	;;#ASMSTART
	v_dot2_f32_f16 v177, v1, v18, v177
	;;#ASMEND
	;;#ASMSTART
	v_dot2_f32_f16 v177, v2, v19, v177
	;;#ASMEND
	;;#ASMSTART
	v_dot2_f32_f16 v177, v3, v20, v177
	;;#ASMEND
	;; [unrolled: 13-line block ×16, first 2 shown]
	;;#ASMSTART
	v_dot2_f32_f16 v178, v4, v8, v178
	;;#ASMEND
	;;#ASMSTART
	v_dot2_f32_f16 v178, v5, v9, v178
	;;#ASMEND
	;; [unrolled: 3-line block ×64, first 2 shown]
	ds_load_b128 v[0:3], v92 offset:96
	ds_load_b128 v[4:7], v92 offset:4704
	;; [unrolled: 1-line block ×18, first 2 shown]
	s_waitcnt lgkmcnt(15)
	;;#ASMSTART
	v_dot2_f32_f16 v174, v0, v8, v174
	;;#ASMEND
	;;#ASMSTART
	v_dot2_f32_f16 v174, v1, v9, v174
	;;#ASMEND
	;;#ASMSTART
	v_dot2_f32_f16 v174, v2, v10, v174
	;;#ASMEND
	;;#ASMSTART
	v_dot2_f32_f16 v174, v3, v11, v174
	;;#ASMEND
	s_waitcnt lgkmcnt(14)
	;;#ASMSTART
	v_dot2_f32_f16 v177, v0, v17, v177
	;;#ASMEND
	;;#ASMSTART
	v_dot2_f32_f16 v177, v1, v18, v177
	;;#ASMEND
	;;#ASMSTART
	v_dot2_f32_f16 v177, v2, v19, v177
	;;#ASMEND
	;;#ASMSTART
	v_dot2_f32_f16 v177, v3, v20, v177
	;;#ASMEND
	;; [unrolled: 13-line block ×16, first 2 shown]
	;;#ASMSTART
	v_dot2_f32_f16 v178, v4, v8, v178
	;;#ASMEND
	;;#ASMSTART
	v_dot2_f32_f16 v178, v5, v9, v178
	;;#ASMEND
	;;#ASMSTART
	v_dot2_f32_f16 v178, v6, v10, v178
	;;#ASMEND
	;;#ASMSTART
	v_dot2_f32_f16 v178, v7, v11, v178
	;;#ASMEND
	;;#ASMSTART
	v_dot2_f32_f16 v179, v4, v17, v179
	;;#ASMEND
	;;#ASMSTART
	v_dot2_f32_f16 v179, v5, v18, v179
	;;#ASMEND
	;;#ASMSTART
	v_dot2_f32_f16 v179, v6, v19, v179
	;;#ASMEND
	;;#ASMSTART
	v_dot2_f32_f16 v179, v7, v20, v179
	;;#ASMEND
	;;#ASMSTART
	v_dot2_f32_f16 v175, v4, v21, v175
	;;#ASMEND
	;;#ASMSTART
	v_dot2_f32_f16 v175, v5, v22, v175
	;;#ASMEND
	;;#ASMSTART
	v_dot2_f32_f16 v175, v6, v23, v175
	;;#ASMEND
	;;#ASMSTART
	v_dot2_f32_f16 v175, v7, v24, v175
	;;#ASMEND
	;;#ASMSTART
	v_dot2_f32_f16 v176, v4, v33, v176
	;;#ASMEND
	;;#ASMSTART
	v_dot2_f32_f16 v176, v5, v34, v176
	;;#ASMEND
	;;#ASMSTART
	v_dot2_f32_f16 v176, v6, v35, v176
	;;#ASMEND
	;;#ASMSTART
	v_dot2_f32_f16 v176, v7, v36, v176
	;;#ASMEND
	;;#ASMSTART
	v_dot2_f32_f16 v170, v4, v180, v170
	;;#ASMEND
	;;#ASMSTART
	v_dot2_f32_f16 v170, v5, v181, v170
	;;#ASMEND
	;;#ASMSTART
	v_dot2_f32_f16 v170, v6, v182, v170
	;;#ASMEND
	;;#ASMSTART
	v_dot2_f32_f16 v170, v7, v183, v170
	;;#ASMEND
	;;#ASMSTART
	v_dot2_f32_f16 v172, v4, v184, v172
	;;#ASMEND
	;;#ASMSTART
	v_dot2_f32_f16 v172, v5, v185, v172
	;;#ASMEND
	;;#ASMSTART
	v_dot2_f32_f16 v172, v6, v186, v172
	;;#ASMEND
	;;#ASMSTART
	v_dot2_f32_f16 v172, v7, v187, v172
	;;#ASMEND
	;;#ASMSTART
	v_dot2_f32_f16 v163, v4, v188, v163
	;;#ASMEND
	;;#ASMSTART
	v_dot2_f32_f16 v163, v5, v189, v163
	;;#ASMEND
	;;#ASMSTART
	v_dot2_f32_f16 v163, v6, v190, v163
	;;#ASMEND
	;;#ASMSTART
	v_dot2_f32_f16 v163, v7, v191, v163
	;;#ASMEND
	;;#ASMSTART
	v_dot2_f32_f16 v40, v4, v192, v40
	;;#ASMEND
	;;#ASMSTART
	v_dot2_f32_f16 v40, v5, v193, v40
	;;#ASMEND
	;;#ASMSTART
	v_dot2_f32_f16 v40, v6, v194, v40
	;;#ASMEND
	;;#ASMSTART
	v_dot2_f32_f16 v40, v7, v195, v40
	;;#ASMEND
	;;#ASMSTART
	v_dot2_f32_f16 v39, v4, v196, v39
	;;#ASMEND
	;;#ASMSTART
	v_dot2_f32_f16 v39, v5, v197, v39
	;;#ASMEND
	;;#ASMSTART
	v_dot2_f32_f16 v39, v6, v198, v39
	;;#ASMEND
	;;#ASMSTART
	v_dot2_f32_f16 v39, v7, v199, v39
	;;#ASMEND
	;;#ASMSTART
	v_dot2_f32_f16 v32, v4, v200, v32
	;;#ASMEND
	;;#ASMSTART
	v_dot2_f32_f16 v32, v5, v201, v32
	;;#ASMEND
	;;#ASMSTART
	v_dot2_f32_f16 v32, v6, v202, v32
	;;#ASMEND
	;;#ASMSTART
	v_dot2_f32_f16 v32, v7, v203, v32
	;;#ASMEND
	;;#ASMSTART
	v_dot2_f32_f16 v28, v4, v204, v28
	;;#ASMEND
	;;#ASMSTART
	v_dot2_f32_f16 v28, v5, v205, v28
	;;#ASMEND
	;;#ASMSTART
	v_dot2_f32_f16 v28, v6, v206, v28
	;;#ASMEND
	;;#ASMSTART
	v_dot2_f32_f16 v28, v7, v207, v28
	;;#ASMEND
	;;#ASMSTART
	v_dot2_f32_f16 v29, v4, v208, v29
	;;#ASMEND
	;;#ASMSTART
	v_dot2_f32_f16 v29, v5, v209, v29
	;;#ASMEND
	;;#ASMSTART
	v_dot2_f32_f16 v29, v6, v210, v29
	;;#ASMEND
	;;#ASMSTART
	v_dot2_f32_f16 v29, v7, v211, v29
	;;#ASMEND
	;;#ASMSTART
	v_dot2_f32_f16 v30, v4, v212, v30
	;;#ASMEND
	;;#ASMSTART
	v_dot2_f32_f16 v30, v5, v213, v30
	;;#ASMEND
	;;#ASMSTART
	v_dot2_f32_f16 v30, v6, v214, v30
	;;#ASMEND
	;;#ASMSTART
	v_dot2_f32_f16 v30, v7, v215, v30
	;;#ASMEND
	;;#ASMSTART
	v_dot2_f32_f16 v16, v4, v216, v16
	;;#ASMEND
	;;#ASMSTART
	v_dot2_f32_f16 v16, v5, v217, v16
	;;#ASMEND
	;;#ASMSTART
	v_dot2_f32_f16 v16, v6, v218, v16
	;;#ASMEND
	;;#ASMSTART
	v_dot2_f32_f16 v16, v7, v219, v16
	;;#ASMEND
	;;#ASMSTART
	v_dot2_f32_f16 v14, v4, v220, v14
	;;#ASMEND
	;;#ASMSTART
	v_dot2_f32_f16 v14, v5, v221, v14
	;;#ASMEND
	;;#ASMSTART
	v_dot2_f32_f16 v14, v6, v222, v14
	;;#ASMEND
	;;#ASMSTART
	v_dot2_f32_f16 v14, v7, v223, v14
	;;#ASMEND
	;;#ASMSTART
	v_dot2_f32_f16 v15, v4, v224, v15
	;;#ASMEND
	;;#ASMSTART
	v_dot2_f32_f16 v15, v5, v225, v15
	;;#ASMEND
	;;#ASMSTART
	v_dot2_f32_f16 v15, v6, v226, v15
	;;#ASMEND
	;;#ASMSTART
	v_dot2_f32_f16 v15, v7, v227, v15
	;;#ASMEND
	ds_load_b128 v[0:3], v92 offset:112
	ds_load_b128 v[4:7], v92 offset:4720
	;; [unrolled: 1-line block ×18, first 2 shown]
	s_waitcnt lgkmcnt(15)
	;;#ASMSTART
	v_dot2_f32_f16 v174, v0, v8, v174
	;;#ASMEND
	;;#ASMSTART
	v_dot2_f32_f16 v174, v1, v9, v174
	;;#ASMEND
	;;#ASMSTART
	v_dot2_f32_f16 v174, v2, v10, v174
	;;#ASMEND
	;;#ASMSTART
	v_dot2_f32_f16 v174, v3, v11, v174
	;;#ASMEND
	s_waitcnt lgkmcnt(14)
	;;#ASMSTART
	v_dot2_f32_f16 v177, v0, v17, v177
	;;#ASMEND
	;;#ASMSTART
	v_dot2_f32_f16 v177, v1, v18, v177
	;;#ASMEND
	;;#ASMSTART
	v_dot2_f32_f16 v177, v2, v19, v177
	;;#ASMEND
	;;#ASMSTART
	v_dot2_f32_f16 v177, v3, v20, v177
	;;#ASMEND
	;; [unrolled: 13-line block ×16, first 2 shown]
	;;#ASMSTART
	v_dot2_f32_f16 v178, v4, v8, v178
	;;#ASMEND
	;;#ASMSTART
	v_dot2_f32_f16 v178, v5, v9, v178
	;;#ASMEND
	;; [unrolled: 3-line block ×14, first 2 shown]
	v_cndmask_b32_e32 v0, v62, v86, vcc_lo
	v_cmp_gt_i32_e32 vcc_lo, 32, v87
	;;#ASMSTART
	v_dot2_f32_f16 v176, v6, v35, v176
	;;#ASMEND
	;;#ASMSTART
	v_dot2_f32_f16 v176, v7, v36, v176
	;;#ASMEND
	;; [unrolled: 3-line block ×7, first 2 shown]
	v_lshlrev_b32_e32 v184, 2, v0
	v_cndmask_b32_e32 v0, v62, v87, vcc_lo
	v_cmp_gt_i32_e32 vcc_lo, 32, v84
	;;#ASMSTART
	v_dot2_f32_f16 v172, v5, v185, v172
	;;#ASMEND
	;;#ASMSTART
	v_dot2_f32_f16 v172, v6, v186, v172
	;;#ASMEND
	;; [unrolled: 3-line block ×3, first 2 shown]
	v_lshlrev_b32_e32 v183, 2, v0
	v_cndmask_b32_e32 v0, v62, v84, vcc_lo
	v_cmp_gt_i32_e32 vcc_lo, 32, v85
	;;#ASMSTART
	v_dot2_f32_f16 v163, v4, v188, v163
	;;#ASMEND
	;;#ASMSTART
	v_dot2_f32_f16 v163, v5, v189, v163
	;;#ASMEND
	;;#ASMSTART
	v_dot2_f32_f16 v163, v6, v190, v163
	;;#ASMEND
	v_lshlrev_b32_e32 v182, 2, v0
	v_cndmask_b32_e32 v0, v62, v85, vcc_lo
	v_cmp_gt_i32_e32 vcc_lo, 32, v83
	v_add_nc_u32_e32 v2, s3, v79
	;;#ASMSTART
	v_dot2_f32_f16 v163, v7, v191, v163
	;;#ASMEND
	;;#ASMSTART
	v_dot2_f32_f16 v40, v4, v192, v40
	;;#ASMEND
	v_dual_cndmask_b32 v0, v62, v83 :: v_dual_lshlrev_b32 v181, 2, v0
	;;#ASMSTART
	v_dot2_f32_f16 v40, v5, v193, v40
	;;#ASMEND
	;;#ASMSTART
	v_dot2_f32_f16 v40, v6, v194, v40
	;;#ASMEND
	;; [unrolled: 3-line block ×5, first 2 shown]
	v_lshlrev_b32_e32 v180, 2, v0
	v_add_nc_u32_e32 v0, v2, v94
	;;#ASMSTART
	v_dot2_f32_f16 v39, v6, v198, v39
	;;#ASMEND
	;;#ASMSTART
	v_dot2_f32_f16 v39, v7, v199, v39
	;;#ASMEND
	;; [unrolled: 3-line block ×7, first 2 shown]
	v_ashrrev_i32_e32 v1, 31, v0
	;;#ASMSTART
	v_dot2_f32_f16 v28, v5, v205, v28
	;;#ASMEND
	;;#ASMSTART
	v_dot2_f32_f16 v28, v6, v206, v28
	;;#ASMEND
	;; [unrolled: 3-line block ×6, first 2 shown]
	v_lshlrev_b64 v[0:1], 1, v[0:1]
	;;#ASMSTART
	v_dot2_f32_f16 v29, v7, v211, v29
	;;#ASMEND
	;;#ASMSTART
	v_dot2_f32_f16 v30, v4, v212, v30
	;;#ASMEND
	;; [unrolled: 3-line block ×8, first 2 shown]
	v_add_co_u32 v0, vcc_lo, s52, v0
	;;#ASMSTART
	v_dot2_f32_f16 v16, v7, v219, v16
	;;#ASMEND
	;;#ASMSTART
	v_dot2_f32_f16 v14, v4, v220, v14
	;;#ASMEND
	;;#ASMSTART
	v_dot2_f32_f16 v14, v5, v221, v14
	;;#ASMEND
	v_add_co_ci_u32_e32 v1, vcc_lo, s53, v1, vcc_lo
	;;#ASMSTART
	v_dot2_f32_f16 v14, v6, v222, v14
	;;#ASMEND
	;;#ASMSTART
	v_dot2_f32_f16 v14, v7, v223, v14
	;;#ASMEND
	;; [unrolled: 3-line block ×6, first 2 shown]
	s_clause 0x1
	flat_load_u16 v3, v[0:1]
	flat_load_u16 v0, v[0:1] offset:64
	s_waitcnt vmcnt(1) lgkmcnt(1)
	v_cvt_f32_f16_e32 v7, v3
	s_waitcnt vmcnt(0) lgkmcnt(0)
	v_cvt_f32_f16_e32 v6, v0
	s_delay_alu instid0(VALU_DEP_2) | instskip(NEXT) | instid1(VALU_DEP_2)
	v_add_f32_e32 v3, v174, v7
	v_add_f32_e32 v5, v178, v6
	v_add_nc_u32_e32 v0, v2, v95
	v_add_f32_e32 v4, v179, v6
	v_add_f32_e32 v24, v172, v6
	s_delay_alu instid0(VALU_DEP_4) | instskip(NEXT) | instid1(VALU_DEP_4)
	v_dual_add_f32 v13, v176, v6 :: v_dual_add_f32 v8, 0x40051340, v5
	v_ashrrev_i32_e32 v1, 31, v0
	s_delay_alu instid0(VALU_DEP_4) | instskip(NEXT) | instid1(VALU_DEP_3)
	v_add_f32_e32 v9, 0x40051340, v4
	v_dual_add_f32 v25, v170, v6 :: v_dual_add_f32 v20, 0x40051340, v13
	v_add_f32_e32 v31, 0x40051340, v24
	s_delay_alu instid0(VALU_DEP_4) | instskip(NEXT) | instid1(VALU_DEP_3)
	v_lshlrev_b64 v[0:1], 1, v[0:1]
	v_add_f32_e32 v27, 0x40051340, v25
	s_delay_alu instid0(VALU_DEP_2) | instskip(NEXT) | instid1(VALU_DEP_3)
	v_add_co_u32 v0, vcc_lo, s52, v0
	v_add_co_ci_u32_e32 v1, vcc_lo, s53, v1, vcc_lo
	s_clause 0x1
	flat_load_u16 v2, v[0:1]
	flat_load_u16 v0, v[0:1] offset:64
	s_waitcnt vmcnt(0) lgkmcnt(0)
	s_barrier
	buffer_gl0_inv
	v_cvt_f32_f16_e64 v186, v2
	v_add_f32_e32 v2, v177, v7
	v_cvt_f32_f16_e64 v185, v0
	s_delay_alu instid0(VALU_DEP_2) | instskip(NEXT) | instid1(VALU_DEP_2)
	v_add_f32_e32 v1, 0x40051340, v2
	v_add_f32_e32 v29, v29, v185
	;; [unrolled: 1-line block ×3, first 2 shown]
	s_delay_alu instid0(VALU_DEP_3) | instskip(SKIP_3) | instid1(VALU_DEP_1)
	v_max3_f32 v1, v168, v1, v9
	ds_bpermute_b32 v9, v184, v1
	s_waitcnt lgkmcnt(0)
	v_max_f32_e32 v9, v9, v9
	v_max_f32_e32 v1, v1, v9
	ds_bpermute_b32 v9, v183, v1
	s_waitcnt lgkmcnt(0)
	v_max_f32_e32 v9, v9, v9
	s_delay_alu instid0(VALU_DEP_1) | instskip(SKIP_3) | instid1(VALU_DEP_1)
	v_max_f32_e32 v1, v1, v9
	ds_bpermute_b32 v9, v182, v1
	s_waitcnt lgkmcnt(0)
	v_max_f32_e32 v9, v9, v9
	v_max_f32_e32 v1, v1, v9
	ds_bpermute_b32 v9, v181, v1
	s_waitcnt lgkmcnt(0)
	v_dual_max_f32 v9, v9, v9 :: v_dual_add_f32 v0, 0x40051340, v3
	s_delay_alu instid0(VALU_DEP_1) | instskip(NEXT) | instid1(VALU_DEP_2)
	v_max_f32_e32 v1, v1, v9
	v_max3_f32 v0, v169, v0, v8
	ds_bpermute_b32 v9, v180, v1
	ds_bpermute_b32 v8, v184, v0
	s_waitcnt lgkmcnt(0)
	v_dual_max_f32 v9, v9, v9 :: v_dual_max_f32 v8, v8, v8
	s_delay_alu instid0(VALU_DEP_1) | instskip(SKIP_3) | instid1(VALU_DEP_1)
	v_dual_max_f32 v1, v1, v9 :: v_dual_max_f32 v0, v0, v8
	ds_bpermute_b32 v8, v183, v0
	s_waitcnt lgkmcnt(0)
	v_max_f32_e32 v8, v8, v8
	v_max_f32_e32 v0, v0, v8
	ds_bpermute_b32 v8, v182, v0
	s_waitcnt lgkmcnt(0)
	v_max_f32_e32 v8, v8, v8
	s_delay_alu instid0(VALU_DEP_1) | instskip(SKIP_3) | instid1(VALU_DEP_1)
	v_max_f32_e32 v0, v0, v8
	ds_bpermute_b32 v8, v181, v0
	s_waitcnt lgkmcnt(0)
	v_max_f32_e32 v8, v8, v8
	v_max_f32_e32 v0, v0, v8
	ds_bpermute_b32 v8, v180, v0
	s_waitcnt lgkmcnt(0)
	v_max_f32_e32 v8, v8, v8
	s_delay_alu instid0(VALU_DEP_1) | instskip(NEXT) | instid1(VALU_DEP_1)
	v_max_f32_e32 v0, v0, v8
	v_sub_f32_e32 v5, v5, v0
	v_sub_f32_e32 v3, v3, v0
	s_delay_alu instid0(VALU_DEP_2) | instskip(NEXT) | instid1(VALU_DEP_1)
	v_dual_sub_f32 v9, v169, v0 :: v_dual_mul_f32 v8, 0x3fb8aa3b, v5
	v_fma_f32 v10, 0x3fb8aa3b, v5, -v8
	v_rndne_f32_e32 v11, v8
	s_delay_alu instid0(VALU_DEP_1) | instskip(NEXT) | instid1(VALU_DEP_3)
	v_sub_f32_e32 v8, v8, v11
	v_fmac_f32_e32 v10, 0x32a5705f, v5
	v_cmp_ngt_f32_e32 vcc_lo, 0xc2ce8ed0, v5
	s_delay_alu instid0(VALU_DEP_2) | instskip(SKIP_1) | instid1(VALU_DEP_2)
	v_add_f32_e32 v8, v8, v10
	v_cvt_i32_f32_e32 v10, v11
	v_exp_f32_e32 v8, v8
	s_waitcnt_depctr 0xfff
	v_ldexp_f32 v8, v8, v10
	s_delay_alu instid0(VALU_DEP_1) | instskip(SKIP_1) | instid1(VALU_DEP_2)
	v_cndmask_b32_e32 v8, 0, v8, vcc_lo
	v_cmp_nlt_f32_e32 vcc_lo, 0x42b17218, v5
	v_dual_cndmask_b32 v5, 0x7f800000, v8 :: v_dual_sub_f32 v2, v2, v1
	s_delay_alu instid0(VALU_DEP_1) | instskip(SKIP_1) | instid1(VALU_DEP_2)
	v_mul_f32_e32 v8, 0x3fb8aa3b, v2
	v_cmp_ngt_f32_e32 vcc_lo, 0xc2ce8ed0, v2
	v_fma_f32 v10, 0x3fb8aa3b, v2, -v8
	v_rndne_f32_e32 v11, v8
	s_delay_alu instid0(VALU_DEP_2) | instskip(NEXT) | instid1(VALU_DEP_2)
	v_fmac_f32_e32 v10, 0x32a5705f, v2
	v_sub_f32_e32 v8, v8, v11
	s_delay_alu instid0(VALU_DEP_1) | instskip(SKIP_1) | instid1(VALU_DEP_2)
	v_add_f32_e32 v8, v8, v10
	v_cvt_i32_f32_e32 v10, v11
	v_exp_f32_e32 v8, v8
	s_waitcnt_depctr 0xfff
	v_ldexp_f32 v8, v8, v10
	s_delay_alu instid0(VALU_DEP_1) | instskip(SKIP_1) | instid1(VALU_DEP_2)
	v_cndmask_b32_e32 v8, 0, v8, vcc_lo
	v_cmp_nlt_f32_e32 vcc_lo, 0x42b17218, v2
	v_cndmask_b32_e32 v2, 0x7f800000, v8, vcc_lo
	v_mul_f32_e32 v8, 0x3fb8aa3b, v3
	v_cmp_ngt_f32_e32 vcc_lo, 0xc2ce8ed0, v3
	s_delay_alu instid0(VALU_DEP_2) | instskip(SKIP_1) | instid1(VALU_DEP_2)
	v_fma_f32 v10, 0x3fb8aa3b, v3, -v8
	v_rndne_f32_e32 v11, v8
	v_fmac_f32_e32 v10, 0x32a5705f, v3
	s_delay_alu instid0(VALU_DEP_2) | instskip(NEXT) | instid1(VALU_DEP_1)
	v_sub_f32_e32 v8, v8, v11
	v_add_f32_e32 v8, v8, v10
	v_cvt_i32_f32_e32 v10, v11
	s_delay_alu instid0(VALU_DEP_2) | instskip(SKIP_2) | instid1(VALU_DEP_1)
	v_exp_f32_e32 v8, v8
	s_waitcnt_depctr 0xfff
	v_ldexp_f32 v8, v8, v10
	v_cndmask_b32_e32 v8, 0, v8, vcc_lo
	v_cmp_nlt_f32_e32 vcc_lo, 0x42b17218, v3
	s_delay_alu instid0(VALU_DEP_2) | instskip(SKIP_2) | instid1(VALU_DEP_3)
	v_cndmask_b32_e32 v3, 0x7f800000, v8, vcc_lo
	v_cvt_f16_f32_e32 v8, v5
	v_cmp_ngt_f32_e32 vcc_lo, 0xc2ce8ed0, v9
	v_add_f32_e32 v18, v3, v5
	v_mul_f32_e32 v5, 0x3fb8aa3b, v9
	s_delay_alu instid0(VALU_DEP_1) | instskip(SKIP_1) | instid1(VALU_DEP_1)
	v_fma_f32 v10, 0x3fb8aa3b, v9, -v5
	v_rndne_f32_e32 v11, v5
	v_dual_fmac_f32 v10, 0x32a5705f, v9 :: v_dual_sub_f32 v5, v5, v11
	s_delay_alu instid0(VALU_DEP_1) | instskip(SKIP_3) | instid1(VALU_DEP_4)
	v_add_f32_e32 v5, v5, v10
	v_cvt_i32_f32_e32 v10, v11
	v_cvt_f16_f32_e32 v11, v3
	v_sub_f32_e32 v3, v4, v1
	v_exp_f32_e32 v5, v5
	s_delay_alu instid0(VALU_DEP_1) | instskip(NEXT) | instid1(VALU_DEP_1)
	v_mul_f32_e32 v4, 0x3fb8aa3b, v3
	v_rndne_f32_e32 v12, v4
	s_waitcnt_depctr 0xfff
	v_ldexp_f32 v5, v5, v10
	v_cvt_f16_f32_e32 v10, v2
	s_delay_alu instid0(VALU_DEP_2) | instskip(SKIP_2) | instid1(VALU_DEP_3)
	v_cndmask_b32_e32 v5, 0, v5, vcc_lo
	v_cmp_nlt_f32_e32 vcc_lo, 0x42b17218, v9
	v_fma_f32 v9, 0x3fb8aa3b, v3, -v4
	v_dual_sub_f32 v4, v4, v12 :: v_dual_cndmask_b32 v5, 0x7f800000, v5
	s_delay_alu instid0(VALU_DEP_2) | instskip(SKIP_1) | instid1(VALU_DEP_3)
	v_fmac_f32_e32 v9, 0x32a5705f, v3
	v_cmp_ngt_f32_e32 vcc_lo, 0xc2ce8ed0, v3
	v_fmac_f32_e32 v18, v167, v5
	s_delay_alu instid0(VALU_DEP_3) | instskip(SKIP_3) | instid1(VALU_DEP_4)
	v_add_f32_e32 v4, v4, v9
	v_cvt_i32_f32_e32 v9, v12
	v_cvt_f16_f32_e32 v5, v5
	v_add_f32_e32 v12, v175, v6
	v_exp_f32_e32 v4, v4
	s_delay_alu instid0(VALU_DEP_2) | instskip(SKIP_1) | instid1(VALU_DEP_3)
	v_pk_mul_f16 v33, v5, v127 op_sel_hi:[0,1]
	v_sub_f32_e32 v5, v168, v1
	v_add_f32_e32 v17, 0x40051340, v12
	s_waitcnt_depctr 0xfff
	v_ldexp_f32 v4, v4, v9
	s_delay_alu instid0(VALU_DEP_1) | instskip(SKIP_1) | instid1(VALU_DEP_2)
	v_cndmask_b32_e32 v4, 0, v4, vcc_lo
	v_cmp_nlt_f32_e32 vcc_lo, 0x42b17218, v3
	v_cndmask_b32_e32 v3, 0x7f800000, v4, vcc_lo
	v_cmp_ngt_f32_e32 vcc_lo, 0xc2ce8ed0, v5
	s_delay_alu instid0(VALU_DEP_2) | instskip(SKIP_1) | instid1(VALU_DEP_2)
	v_dual_add_f32 v19, v2, v3 :: v_dual_mul_f32 v2, 0x3fb8aa3b, v5
	v_cvt_f16_f32_e32 v9, v3
	v_fma_f32 v3, 0x3fb8aa3b, v5, -v2
	v_rndne_f32_e32 v4, v2
	s_delay_alu instid0(VALU_DEP_1) | instskip(NEXT) | instid1(VALU_DEP_1)
	v_dual_fmac_f32 v3, 0x32a5705f, v5 :: v_dual_sub_f32 v2, v2, v4
	v_add_f32_e32 v2, v2, v3
	v_cvt_i32_f32_e32 v3, v4
	v_add_f32_e32 v4, v173, v7
	s_delay_alu instid0(VALU_DEP_3) | instskip(SKIP_2) | instid1(VALU_DEP_1)
	v_exp_f32_e32 v2, v2
	s_waitcnt_depctr 0xfff
	v_ldexp_f32 v2, v2, v3
	v_dual_add_f32 v3, 0x40051340, v4 :: v_dual_cndmask_b32 v2, 0, v2
	s_delay_alu instid0(VALU_DEP_1)
	v_max3_f32 v3, v161, v3, v20
	v_cmp_nlt_f32_e32 vcc_lo, 0x42b17218, v5
	v_add_f32_e32 v5, v171, v7
	ds_bpermute_b32 v20, v184, v3
	s_waitcnt lgkmcnt(0)
	v_max_f32_e32 v20, v20, v20
	s_delay_alu instid0(VALU_DEP_1) | instskip(SKIP_3) | instid1(VALU_DEP_1)
	v_max_f32_e32 v3, v3, v20
	ds_bpermute_b32 v20, v183, v3
	s_waitcnt lgkmcnt(0)
	v_max_f32_e32 v20, v20, v20
	v_max_f32_e32 v3, v3, v20
	ds_bpermute_b32 v20, v182, v3
	s_waitcnt lgkmcnt(0)
	v_max_f32_e32 v20, v20, v20
	s_delay_alu instid0(VALU_DEP_1) | instskip(SKIP_3) | instid1(VALU_DEP_1)
	v_max_f32_e32 v3, v3, v20
	ds_bpermute_b32 v20, v181, v3
	s_waitcnt lgkmcnt(0)
	v_max_f32_e32 v20, v20, v20
	v_max_f32_e32 v3, v3, v20
	ds_bpermute_b32 v20, v180, v3
	s_waitcnt lgkmcnt(0)
	v_max_f32_e32 v20, v20, v20
	s_delay_alu instid0(VALU_DEP_1) | instskip(NEXT) | instid1(VALU_DEP_1)
	v_dual_max_f32 v3, v3, v20 :: v_dual_cndmask_b32 v2, 0x7f800000, v2
	v_dual_sub_f32 v4, v4, v3 :: v_dual_fmac_f32 v19, v166, v2
	v_cvt_f16_f32_e32 v2, v2
	s_delay_alu instid0(VALU_DEP_1) | instskip(SKIP_1) | instid1(VALU_DEP_1)
	v_pk_mul_f16 v34, v2, v124 op_sel_hi:[0,1]
	v_add_f32_e32 v2, 0x40051340, v5
	v_max3_f32 v2, v162, v2, v17
	ds_bpermute_b32 v17, v184, v2
	s_waitcnt lgkmcnt(0)
	v_max_f32_e32 v17, v17, v17
	s_delay_alu instid0(VALU_DEP_1) | instskip(SKIP_3) | instid1(VALU_DEP_1)
	v_max_f32_e32 v2, v2, v17
	ds_bpermute_b32 v17, v183, v2
	s_waitcnt lgkmcnt(0)
	v_max_f32_e32 v17, v17, v17
	v_max_f32_e32 v2, v2, v17
	ds_bpermute_b32 v17, v182, v2
	s_waitcnt lgkmcnt(0)
	v_max_f32_e32 v17, v17, v17
	s_delay_alu instid0(VALU_DEP_1) | instskip(SKIP_3) | instid1(VALU_DEP_1)
	v_max_f32_e32 v2, v2, v17
	ds_bpermute_b32 v17, v181, v2
	s_waitcnt lgkmcnt(0)
	v_max_f32_e32 v17, v17, v17
	v_max_f32_e32 v2, v2, v17
	ds_bpermute_b32 v17, v180, v2
	s_waitcnt lgkmcnt(0)
	v_max_f32_e32 v17, v17, v17
	s_delay_alu instid0(VALU_DEP_1) | instskip(NEXT) | instid1(VALU_DEP_1)
	v_max_f32_e32 v2, v2, v17
	v_sub_f32_e32 v12, v12, v2
	v_sub_f32_e32 v5, v5, v2
	s_delay_alu instid0(VALU_DEP_2) | instskip(SKIP_1) | instid1(VALU_DEP_2)
	v_dual_sub_f32 v17, v162, v2 :: v_dual_mul_f32 v20, 0x3fb8aa3b, v12
	v_cmp_ngt_f32_e32 vcc_lo, 0xc2ce8ed0, v12
	v_fma_f32 v21, 0x3fb8aa3b, v12, -v20
	v_rndne_f32_e32 v22, v20
	s_delay_alu instid0(VALU_DEP_1) | instskip(NEXT) | instid1(VALU_DEP_1)
	v_dual_fmac_f32 v21, 0x32a5705f, v12 :: v_dual_sub_f32 v20, v20, v22
	v_add_f32_e32 v20, v20, v21
	v_cvt_i32_f32_e32 v21, v22
	s_delay_alu instid0(VALU_DEP_2) | instskip(SKIP_2) | instid1(VALU_DEP_1)
	v_exp_f32_e32 v20, v20
	s_waitcnt_depctr 0xfff
	v_ldexp_f32 v20, v20, v21
	v_cndmask_b32_e32 v20, 0, v20, vcc_lo
	v_cmp_nlt_f32_e32 vcc_lo, 0x42b17218, v12
	s_delay_alu instid0(VALU_DEP_2) | instskip(SKIP_2) | instid1(VALU_DEP_2)
	v_cndmask_b32_e32 v12, 0x7f800000, v20, vcc_lo
	v_mul_f32_e32 v20, 0x3fb8aa3b, v4
	v_cmp_ngt_f32_e32 vcc_lo, 0xc2ce8ed0, v4
	v_fma_f32 v21, 0x3fb8aa3b, v4, -v20
	v_rndne_f32_e32 v22, v20
	s_delay_alu instid0(VALU_DEP_1) | instskip(NEXT) | instid1(VALU_DEP_1)
	v_dual_fmac_f32 v21, 0x32a5705f, v4 :: v_dual_sub_f32 v20, v20, v22
	v_add_f32_e32 v20, v20, v21
	v_cvt_i32_f32_e32 v21, v22
	s_delay_alu instid0(VALU_DEP_2) | instskip(SKIP_2) | instid1(VALU_DEP_1)
	v_exp_f32_e32 v20, v20
	s_waitcnt_depctr 0xfff
	v_ldexp_f32 v20, v20, v21
	v_cndmask_b32_e32 v20, 0, v20, vcc_lo
	v_cmp_nlt_f32_e32 vcc_lo, 0x42b17218, v4
	s_delay_alu instid0(VALU_DEP_2) | instskip(SKIP_2) | instid1(VALU_DEP_2)
	v_cndmask_b32_e32 v4, 0x7f800000, v20, vcc_lo
	v_mul_f32_e32 v20, 0x3fb8aa3b, v5
	v_cmp_ngt_f32_e32 vcc_lo, 0xc2ce8ed0, v5
	v_fma_f32 v21, 0x3fb8aa3b, v5, -v20
	v_rndne_f32_e32 v22, v20
	s_delay_alu instid0(VALU_DEP_1) | instskip(NEXT) | instid1(VALU_DEP_1)
	v_dual_fmac_f32 v21, 0x32a5705f, v5 :: v_dual_sub_f32 v20, v20, v22
	v_add_f32_e32 v20, v20, v21
	v_cvt_i32_f32_e32 v21, v22
	s_delay_alu instid0(VALU_DEP_2) | instskip(SKIP_2) | instid1(VALU_DEP_1)
	v_exp_f32_e32 v20, v20
	s_waitcnt_depctr 0xfff
	v_ldexp_f32 v20, v20, v21
	v_dual_mul_f32 v21, 0x3fb8aa3b, v17 :: v_dual_cndmask_b32 v20, 0, v20
	s_delay_alu instid0(VALU_DEP_1) | instskip(SKIP_2) | instid1(VALU_DEP_2)
	v_fma_f32 v22, 0x3fb8aa3b, v17, -v21
	v_rndne_f32_e32 v23, v21
	v_cmp_nlt_f32_e32 vcc_lo, 0x42b17218, v5
	v_dual_fmac_f32 v22, 0x32a5705f, v17 :: v_dual_sub_f32 v21, v21, v23
	v_cndmask_b32_e32 v5, 0x7f800000, v20, vcc_lo
	v_cmp_ngt_f32_e32 vcc_lo, 0xc2ce8ed0, v17
	s_delay_alu instid0(VALU_DEP_3) | instskip(SKIP_1) | instid1(VALU_DEP_4)
	v_add_f32_e32 v21, v21, v22
	v_cvt_i32_f32_e32 v22, v23
	v_add_f32_e32 v20, v5, v12
	v_cvt_f16_f32_e32 v26, v5
	v_sub_f32_e32 v5, v13, v3
	v_exp_f32_e32 v21, v21
	s_delay_alu instid0(VALU_DEP_1) | instskip(NEXT) | instid1(VALU_DEP_1)
	v_mul_f32_e32 v13, 0x3fb8aa3b, v5
	v_rndne_f32_e32 v23, v13
	s_waitcnt_depctr 0xfff
	v_ldexp_f32 v21, v21, v22
	s_delay_alu instid0(VALU_DEP_1) | instskip(SKIP_1) | instid1(VALU_DEP_2)
	v_dual_sub_f32 v22, v161, v3 :: v_dual_cndmask_b32 v21, 0, v21
	v_cmp_nlt_f32_e32 vcc_lo, 0x42b17218, v17
	v_cndmask_b32_e32 v17, 0x7f800000, v21, vcc_lo
	v_fma_f32 v21, 0x3fb8aa3b, v5, -v13
	v_sub_f32_e32 v13, v13, v23
	v_cmp_ngt_f32_e32 vcc_lo, 0xc2ce8ed0, v5
	s_delay_alu instid0(VALU_DEP_4) | instskip(NEXT) | instid1(VALU_DEP_4)
	v_fmac_f32_e32 v20, v160, v17
	v_fmac_f32_e32 v21, 0x32a5705f, v5
	v_cvt_f16_f32_e32 v17, v17
	s_delay_alu instid0(VALU_DEP_2) | instskip(SKIP_1) | instid1(VALU_DEP_3)
	v_add_f32_e32 v13, v13, v21
	v_cvt_i32_f32_e32 v21, v23
	v_pk_mul_f16 v35, v17, v123 op_sel_hi:[0,1]
	v_cvt_f16_f32_e32 v17, v4
	s_delay_alu instid0(VALU_DEP_4) | instskip(SKIP_2) | instid1(VALU_DEP_1)
	v_exp_f32_e32 v13, v13
	s_waitcnt_depctr 0xfff
	v_ldexp_f32 v13, v13, v21
	v_cndmask_b32_e32 v13, 0, v13, vcc_lo
	v_cmp_nlt_f32_e32 vcc_lo, 0x42b17218, v5
	s_delay_alu instid0(VALU_DEP_2) | instskip(SKIP_1) | instid1(VALU_DEP_2)
	v_cndmask_b32_e32 v5, 0x7f800000, v13, vcc_lo
	v_cmp_ngt_f32_e32 vcc_lo, 0xc2ce8ed0, v22
	v_dual_add_f32 v21, v4, v5 :: v_dual_mul_f32 v4, 0x3fb8aa3b, v22
	v_cvt_f16_f32_e32 v13, v5
	s_delay_alu instid0(VALU_DEP_2) | instskip(SKIP_1) | instid1(VALU_DEP_1)
	v_fma_f32 v5, 0x3fb8aa3b, v22, -v4
	v_rndne_f32_e32 v23, v4
	v_dual_fmac_f32 v5, 0x32a5705f, v22 :: v_dual_sub_f32 v4, v4, v23
	s_delay_alu instid0(VALU_DEP_1) | instskip(SKIP_2) | instid1(VALU_DEP_3)
	v_add_f32_e32 v4, v4, v5
	v_cvt_i32_f32_e32 v5, v23
	v_add_f32_e32 v23, v164, v7
	v_exp_f32_e32 v4, v4
	s_waitcnt_depctr 0xfff
	v_ldexp_f32 v4, v4, v5
	s_delay_alu instid0(VALU_DEP_1) | instskip(SKIP_1) | instid1(VALU_DEP_2)
	v_cndmask_b32_e32 v4, 0, v4, vcc_lo
	v_cmp_nlt_f32_e32 vcc_lo, 0x42b17218, v22
	v_cndmask_b32_e32 v4, 0x7f800000, v4, vcc_lo
	s_delay_alu instid0(VALU_DEP_1) | instskip(SKIP_1) | instid1(VALU_DEP_1)
	v_fmac_f32_e32 v21, v157, v4
	v_cvt_f16_f32_e32 v4, v4
	v_pk_mul_f16 v36, v4, v122 op_sel_hi:[0,1]
	v_add_f32_e32 v4, 0x40051340, v23
	s_delay_alu instid0(VALU_DEP_1) | instskip(SKIP_3) | instid1(VALU_DEP_1)
	v_max3_f32 v4, v156, v4, v27
	ds_bpermute_b32 v27, v184, v4
	s_waitcnt lgkmcnt(0)
	v_max_f32_e32 v27, v27, v27
	v_max_f32_e32 v4, v4, v27
	ds_bpermute_b32 v27, v183, v4
	s_waitcnt lgkmcnt(0)
	v_max_f32_e32 v27, v27, v27
	s_delay_alu instid0(VALU_DEP_1) | instskip(SKIP_3) | instid1(VALU_DEP_1)
	v_max_f32_e32 v4, v4, v27
	ds_bpermute_b32 v27, v182, v4
	s_waitcnt lgkmcnt(0)
	v_max_f32_e32 v27, v27, v27
	v_max_f32_e32 v4, v4, v27
	ds_bpermute_b32 v27, v181, v4
	s_waitcnt lgkmcnt(0)
	v_max_f32_e32 v27, v27, v27
	s_delay_alu instid0(VALU_DEP_1) | instskip(SKIP_3) | instid1(VALU_DEP_1)
	v_max_f32_e32 v4, v4, v27
	ds_bpermute_b32 v27, v180, v4
	s_waitcnt lgkmcnt(0)
	v_max_f32_e32 v27, v27, v27
	v_max_f32_e32 v4, v4, v27
	s_delay_alu instid0(VALU_DEP_1) | instskip(NEXT) | instid1(VALU_DEP_1)
	v_dual_add_f32 v22, v165, v7 :: v_dual_sub_f32 v23, v23, v4
	v_add_f32_e32 v5, 0x40051340, v22
	v_sub_f32_e32 v25, v25, v4
	s_delay_alu instid0(VALU_DEP_2) | instskip(NEXT) | instid1(VALU_DEP_2)
	v_max3_f32 v5, v155, v5, v31
	v_mul_f32_e32 v27, 0x3fb8aa3b, v25
	v_cmp_ngt_f32_e32 vcc_lo, 0xc2ce8ed0, v25
	ds_bpermute_b32 v31, v184, v5
	v_fma_f32 v37, 0x3fb8aa3b, v25, -v27
	v_rndne_f32_e32 v38, v27
	s_delay_alu instid0(VALU_DEP_2) | instskip(NEXT) | instid1(VALU_DEP_2)
	v_fmac_f32_e32 v37, 0x32a5705f, v25
	v_sub_f32_e32 v27, v27, v38
	s_delay_alu instid0(VALU_DEP_1) | instskip(SKIP_1) | instid1(VALU_DEP_2)
	v_add_f32_e32 v27, v27, v37
	v_cvt_i32_f32_e32 v37, v38
	v_exp_f32_e32 v27, v27
	s_waitcnt lgkmcnt(0)
	v_max_f32_e32 v31, v31, v31
	s_delay_alu instid0(VALU_DEP_1)
	v_max_f32_e32 v5, v5, v31
	s_waitcnt_depctr 0xfff
	v_ldexp_f32 v27, v27, v37
	ds_bpermute_b32 v31, v183, v5
	v_cndmask_b32_e32 v27, 0, v27, vcc_lo
	v_cmp_nlt_f32_e32 vcc_lo, 0x42b17218, v25
	s_delay_alu instid0(VALU_DEP_2) | instskip(SKIP_3) | instid1(VALU_DEP_2)
	v_cndmask_b32_e32 v25, 0x7f800000, v27, vcc_lo
	s_waitcnt lgkmcnt(0)
	v_max_f32_e32 v31, v31, v31
	v_cvt_f16_f32_e32 v12, v12
	v_max_f32_e32 v5, v5, v31
	ds_bpermute_b32 v31, v182, v5
	s_waitcnt lgkmcnt(0)
	v_max_f32_e32 v31, v31, v31
	s_delay_alu instid0(VALU_DEP_1) | instskip(SKIP_3) | instid1(VALU_DEP_1)
	v_max_f32_e32 v5, v5, v31
	ds_bpermute_b32 v31, v181, v5
	s_waitcnt lgkmcnt(0)
	v_max_f32_e32 v31, v31, v31
	v_max_f32_e32 v5, v5, v31
	ds_bpermute_b32 v31, v180, v5
	s_waitcnt lgkmcnt(0)
	v_max_f32_e32 v31, v31, v31
	s_delay_alu instid0(VALU_DEP_1) | instskip(NEXT) | instid1(VALU_DEP_1)
	v_max_f32_e32 v5, v5, v31
	v_dual_sub_f32 v31, v156, v4 :: v_dual_sub_f32 v22, v22, v5
	s_delay_alu instid0(VALU_DEP_1) | instskip(SKIP_1) | instid1(VALU_DEP_2)
	v_mul_f32_e32 v27, 0x3fb8aa3b, v22
	v_cmp_ngt_f32_e32 vcc_lo, 0xc2ce8ed0, v22
	v_fma_f32 v37, 0x3fb8aa3b, v22, -v27
	v_rndne_f32_e32 v38, v27
	s_delay_alu instid0(VALU_DEP_2) | instskip(NEXT) | instid1(VALU_DEP_2)
	v_fmac_f32_e32 v37, 0x32a5705f, v22
	v_sub_f32_e32 v27, v27, v38
	s_delay_alu instid0(VALU_DEP_1) | instskip(SKIP_1) | instid1(VALU_DEP_2)
	v_add_f32_e32 v27, v27, v37
	v_cvt_i32_f32_e32 v37, v38
	v_exp_f32_e32 v27, v27
	s_waitcnt_depctr 0xfff
	v_ldexp_f32 v27, v27, v37
	s_delay_alu instid0(VALU_DEP_1) | instskip(SKIP_2) | instid1(VALU_DEP_3)
	v_cndmask_b32_e32 v27, 0, v27, vcc_lo
	v_cmp_nlt_f32_e32 vcc_lo, 0x42b17218, v22
	v_mul_f32_e32 v22, 0x3fb8aa3b, v23
	v_cndmask_b32_e32 v38, 0x7f800000, v27, vcc_lo
	s_delay_alu instid0(VALU_DEP_2) | instskip(SKIP_2) | instid1(VALU_DEP_2)
	v_fma_f32 v27, 0x3fb8aa3b, v23, -v22
	v_rndne_f32_e32 v37, v22
	v_cmp_ngt_f32_e32 vcc_lo, 0xc2ce8ed0, v23
	v_dual_fmac_f32 v27, 0x32a5705f, v23 :: v_dual_sub_f32 v22, v22, v37
	s_delay_alu instid0(VALU_DEP_1) | instskip(SKIP_1) | instid1(VALU_DEP_2)
	v_add_f32_e32 v22, v22, v27
	v_cvt_i32_f32_e32 v27, v37
	v_exp_f32_e32 v22, v22
	s_waitcnt_depctr 0xfff
	v_ldexp_f32 v22, v22, v27
	v_cvt_f16_f32_e32 v27, v25
	s_delay_alu instid0(VALU_DEP_2) | instskip(SKIP_1) | instid1(VALU_DEP_2)
	v_cndmask_b32_e32 v22, 0, v22, vcc_lo
	v_cmp_nlt_f32_e32 vcc_lo, 0x42b17218, v23
	v_cndmask_b32_e32 v23, 0x7f800000, v22, vcc_lo
	v_cmp_ngt_f32_e32 vcc_lo, 0xc2ce8ed0, v31
	s_delay_alu instid0(VALU_DEP_2) | instskip(SKIP_2) | instid1(VALU_DEP_3)
	v_dual_add_f32 v22, v23, v25 :: v_dual_mul_f32 v25, 0x3fb8aa3b, v31
	v_cvt_f16_f32_e32 v43, v23
	v_sub_f32_e32 v23, v24, v5
	v_fma_f32 v37, 0x3fb8aa3b, v31, -v25
	v_rndne_f32_e32 v41, v25
	s_delay_alu instid0(VALU_DEP_3) | instskip(NEXT) | instid1(VALU_DEP_3)
	v_mul_f32_e32 v24, 0x3fb8aa3b, v23
	v_fmac_f32_e32 v37, 0x32a5705f, v31
	s_delay_alu instid0(VALU_DEP_3) | instskip(NEXT) | instid1(VALU_DEP_1)
	v_sub_f32_e32 v25, v25, v41
	v_add_f32_e32 v25, v25, v37
	v_cvt_i32_f32_e32 v37, v41
	v_rndne_f32_e32 v41, v24
	s_delay_alu instid0(VALU_DEP_3) | instskip(SKIP_2) | instid1(VALU_DEP_1)
	v_exp_f32_e32 v25, v25
	s_waitcnt_depctr 0xfff
	v_ldexp_f32 v25, v25, v37
	v_cndmask_b32_e32 v25, 0, v25, vcc_lo
	v_cmp_nlt_f32_e32 vcc_lo, 0x42b17218, v31
	v_fma_f32 v31, 0x3fb8aa3b, v23, -v24
	v_sub_f32_e32 v24, v24, v41
	s_delay_alu instid0(VALU_DEP_4) | instskip(NEXT) | instid1(VALU_DEP_3)
	v_cndmask_b32_e32 v25, 0x7f800000, v25, vcc_lo
	v_fmac_f32_e32 v31, 0x32a5705f, v23
	v_cmp_ngt_f32_e32 vcc_lo, 0xc2ce8ed0, v23
	s_delay_alu instid0(VALU_DEP_3) | instskip(NEXT) | instid1(VALU_DEP_3)
	v_fmac_f32_e32 v22, v154, v25
	v_add_f32_e32 v24, v24, v31
	v_cvt_i32_f32_e32 v31, v41
	v_cvt_f16_f32_e32 v25, v25
	s_delay_alu instid0(VALU_DEP_3) | instskip(NEXT) | instid1(VALU_DEP_1)
	v_exp_f32_e32 v24, v24
	v_pk_mul_f16 v37, v25, v121 op_sel_hi:[0,1]
	v_sub_f32_e32 v25, v155, v5
	v_cvt_f16_f32_e32 v42, v38
	s_waitcnt_depctr 0xfff
	v_ldexp_f32 v24, v24, v31
	s_delay_alu instid0(VALU_DEP_1) | instskip(SKIP_1) | instid1(VALU_DEP_2)
	v_cndmask_b32_e32 v24, 0, v24, vcc_lo
	v_cmp_nlt_f32_e32 vcc_lo, 0x42b17218, v23
	v_cndmask_b32_e32 v24, 0x7f800000, v24, vcc_lo
	v_cmp_ngt_f32_e32 vcc_lo, 0xc2ce8ed0, v25
	s_delay_alu instid0(VALU_DEP_2) | instskip(SKIP_2) | instid1(VALU_DEP_1)
	v_add_f32_e32 v23, v38, v24
	v_cvt_f16_f32_e32 v31, v24
	v_mul_f32_e32 v24, 0x3fb8aa3b, v25
	v_fma_f32 v38, 0x3fb8aa3b, v25, -v24
	v_rndne_f32_e32 v41, v24
	s_delay_alu instid0(VALU_DEP_2) | instskip(NEXT) | instid1(VALU_DEP_2)
	v_fmac_f32_e32 v38, 0x32a5705f, v25
	v_sub_f32_e32 v24, v24, v41
	s_delay_alu instid0(VALU_DEP_1) | instskip(SKIP_1) | instid1(VALU_DEP_2)
	v_add_f32_e32 v24, v24, v38
	v_cvt_i32_f32_e32 v38, v41
	v_exp_f32_e32 v24, v24
	s_waitcnt_depctr 0xfff
	v_ldexp_f32 v24, v24, v38
	s_delay_alu instid0(VALU_DEP_1) | instskip(SKIP_1) | instid1(VALU_DEP_2)
	v_cndmask_b32_e32 v24, 0, v24, vcc_lo
	v_cmp_nlt_f32_e32 vcc_lo, 0x42b17218, v25
	v_dual_add_f32 v25, v158, v7 :: v_dual_cndmask_b32 v24, 0x7f800000, v24
	s_delay_alu instid0(VALU_DEP_1) | instskip(SKIP_1) | instid1(VALU_DEP_1)
	v_fmac_f32_e32 v23, v153, v24
	v_cvt_f16_f32_e32 v24, v24
	v_pk_mul_f16 v38, v24, v120 op_sel_hi:[0,1]
	v_add_f32_e32 v24, v159, v7
	v_dual_add_f32 v120, v40, v6 :: v_dual_add_f32 v7, 0x40051340, v25
	s_delay_alu instid0(VALU_DEP_2) | instskip(NEXT) | instid1(VALU_DEP_2)
	v_add_f32_e32 v41, 0x40051340, v24
	v_add_f32_e32 v121, 0x40051340, v120
	s_delay_alu instid0(VALU_DEP_1) | instskip(SKIP_3) | instid1(VALU_DEP_1)
	v_max3_f32 v41, v149, v41, v121
	ds_bpermute_b32 v121, v184, v41
	s_waitcnt lgkmcnt(0)
	v_max_f32_e32 v121, v121, v121
	v_max_f32_e32 v41, v41, v121
	ds_bpermute_b32 v121, v183, v41
	s_waitcnt lgkmcnt(0)
	v_max_f32_e32 v121, v121, v121
	s_delay_alu instid0(VALU_DEP_1) | instskip(SKIP_3) | instid1(VALU_DEP_1)
	v_max_f32_e32 v41, v41, v121
	ds_bpermute_b32 v121, v182, v41
	s_waitcnt lgkmcnt(0)
	v_dual_max_f32 v121, v121, v121 :: v_dual_add_f32 v40, v163, v6
	v_dual_max_f32 v41, v41, v121 :: v_dual_add_f32 v6, 0x40051340, v40
	ds_bpermute_b32 v121, v181, v41
	v_max3_f32 v6, v152, v7, v6
	ds_bpermute_b32 v7, v184, v6
	s_waitcnt lgkmcnt(1)
	v_max_f32_e32 v121, v121, v121
	s_delay_alu instid0(VALU_DEP_1) | instskip(SKIP_2) | instid1(VALU_DEP_1)
	v_max_f32_e32 v41, v41, v121
	s_waitcnt lgkmcnt(0)
	v_max_f32_e32 v7, v7, v7
	v_max_f32_e32 v6, v6, v7
	ds_bpermute_b32 v7, v183, v6
	s_waitcnt lgkmcnt(0)
	v_max_f32_e32 v7, v7, v7
	s_delay_alu instid0(VALU_DEP_1) | instskip(SKIP_3) | instid1(VALU_DEP_1)
	v_max_f32_e32 v6, v6, v7
	ds_bpermute_b32 v7, v182, v6
	s_waitcnt lgkmcnt(0)
	v_max_f32_e32 v7, v7, v7
	v_max_f32_e32 v6, v6, v7
	ds_bpermute_b32 v7, v181, v6
	s_waitcnt lgkmcnt(0)
	v_max_f32_e32 v7, v7, v7
	s_delay_alu instid0(VALU_DEP_1) | instskip(SKIP_4) | instid1(VALU_DEP_1)
	v_max_f32_e32 v6, v6, v7
	ds_bpermute_b32 v7, v180, v41
	ds_bpermute_b32 v121, v180, v6
	s_waitcnt lgkmcnt(1)
	v_max_f32_e32 v7, v7, v7
	v_max_f32_e32 v7, v41, v7
	s_waitcnt lgkmcnt(0)
	v_max_f32_e32 v41, v121, v121
	s_delay_alu instid0(VALU_DEP_1) | instskip(NEXT) | instid1(VALU_DEP_1)
	v_max_f32_e32 v6, v6, v41
	v_sub_f32_e32 v40, v40, v6
	v_sub_f32_e32 v25, v25, v6
	s_delay_alu instid0(VALU_DEP_2) | instskip(SKIP_1) | instid1(VALU_DEP_2)
	v_mul_f32_e32 v121, 0x3fb8aa3b, v40
	v_cmp_ngt_f32_e32 vcc_lo, 0xc2ce8ed0, v40
	v_fma_f32 v122, 0x3fb8aa3b, v40, -v121
	v_rndne_f32_e32 v123, v121
	s_delay_alu instid0(VALU_DEP_1) | instskip(NEXT) | instid1(VALU_DEP_1)
	v_dual_fmac_f32 v122, 0x32a5705f, v40 :: v_dual_sub_f32 v121, v121, v123
	v_add_f32_e32 v121, v121, v122
	v_cvt_i32_f32_e32 v122, v123
	s_delay_alu instid0(VALU_DEP_2) | instskip(SKIP_2) | instid1(VALU_DEP_1)
	v_exp_f32_e32 v121, v121
	s_waitcnt_depctr 0xfff
	v_ldexp_f32 v121, v121, v122
	v_cndmask_b32_e32 v121, 0, v121, vcc_lo
	v_cmp_nlt_f32_e32 vcc_lo, 0x42b17218, v40
	s_delay_alu instid0(VALU_DEP_2) | instskip(SKIP_1) | instid1(VALU_DEP_1)
	v_cndmask_b32_e32 v40, 0x7f800000, v121, vcc_lo
	v_sub_f32_e32 v24, v24, v7
	v_mul_f32_e32 v121, 0x3fb8aa3b, v24
	v_cmp_ngt_f32_e32 vcc_lo, 0xc2ce8ed0, v24
	s_delay_alu instid0(VALU_DEP_2) | instskip(SKIP_1) | instid1(VALU_DEP_2)
	v_fma_f32 v122, 0x3fb8aa3b, v24, -v121
	v_rndne_f32_e32 v123, v121
	v_dual_sub_f32 v41, v152, v6 :: v_dual_fmac_f32 v122, 0x32a5705f, v24
	s_delay_alu instid0(VALU_DEP_2) | instskip(NEXT) | instid1(VALU_DEP_1)
	v_sub_f32_e32 v121, v121, v123
	v_add_f32_e32 v121, v121, v122
	v_cvt_i32_f32_e32 v122, v123
	s_delay_alu instid0(VALU_DEP_2) | instskip(SKIP_2) | instid1(VALU_DEP_1)
	v_exp_f32_e32 v121, v121
	s_waitcnt_depctr 0xfff
	v_ldexp_f32 v121, v121, v122
	v_cndmask_b32_e32 v121, 0, v121, vcc_lo
	v_cmp_nlt_f32_e32 vcc_lo, 0x42b17218, v24
	v_mul_f32_e32 v24, 0x3fb8aa3b, v25
	s_delay_alu instid0(VALU_DEP_3) | instskip(NEXT) | instid1(VALU_DEP_2)
	v_cndmask_b32_e32 v121, 0x7f800000, v121, vcc_lo
	v_fma_f32 v122, 0x3fb8aa3b, v25, -v24
	v_rndne_f32_e32 v123, v24
	v_cmp_ngt_f32_e32 vcc_lo, 0xc2ce8ed0, v25
	s_delay_alu instid0(VALU_DEP_3) | instskip(NEXT) | instid1(VALU_DEP_3)
	v_fmac_f32_e32 v122, 0x32a5705f, v25
	v_sub_f32_e32 v24, v24, v123
	s_delay_alu instid0(VALU_DEP_1) | instskip(SKIP_1) | instid1(VALU_DEP_2)
	v_add_f32_e32 v24, v24, v122
	v_cvt_i32_f32_e32 v122, v123
	v_exp_f32_e32 v24, v24
	s_waitcnt_depctr 0xfff
	v_ldexp_f32 v24, v24, v122
	v_cvt_f16_f32_e32 v122, v40
	s_delay_alu instid0(VALU_DEP_2) | instskip(SKIP_1) | instid1(VALU_DEP_2)
	v_cndmask_b32_e32 v24, 0, v24, vcc_lo
	v_cmp_nlt_f32_e32 vcc_lo, 0x42b17218, v25
	v_cndmask_b32_e32 v25, 0x7f800000, v24, vcc_lo
	v_cmp_ngt_f32_e32 vcc_lo, 0xc2ce8ed0, v41
	s_delay_alu instid0(VALU_DEP_2) | instskip(SKIP_1) | instid1(VALU_DEP_1)
	v_add_f32_e32 v24, v25, v40
	v_mul_f32_e32 v40, 0x3fb8aa3b, v41
	v_fma_f32 v123, 0x3fb8aa3b, v41, -v40
	v_rndne_f32_e32 v124, v40
	s_delay_alu instid0(VALU_DEP_1) | instskip(NEXT) | instid1(VALU_DEP_1)
	v_dual_fmac_f32 v123, 0x32a5705f, v41 :: v_dual_sub_f32 v40, v40, v124
	v_add_f32_e32 v40, v40, v123
	v_cvt_i32_f32_e32 v123, v124
	s_delay_alu instid0(VALU_DEP_2) | instskip(SKIP_3) | instid1(VALU_DEP_2)
	v_exp_f32_e32 v40, v40
	s_waitcnt_depctr 0xfff
	v_ldexp_f32 v40, v40, v123
	v_cvt_f16_f32_e32 v123, v25
	v_dual_sub_f32 v25, v120, v7 :: v_dual_cndmask_b32 v40, 0, v40
	v_cmp_nlt_f32_e32 vcc_lo, 0x42b17218, v41
	s_delay_alu instid0(VALU_DEP_2) | instskip(NEXT) | instid1(VALU_DEP_3)
	v_dual_mul_f32 v120, 0x3fb8aa3b, v25 :: v_dual_sub_f32 v41, v149, v7
	v_cndmask_b32_e32 v40, 0x7f800000, v40, vcc_lo
	s_delay_alu instid0(VALU_DEP_2) | instskip(SKIP_2) | instid1(VALU_DEP_4)
	v_fma_f32 v124, 0x3fb8aa3b, v25, -v120
	v_rndne_f32_e32 v127, v120
	v_cmp_ngt_f32_e32 vcc_lo, 0xc2ce8ed0, v25
	v_fmac_f32_e32 v24, v148, v40
	s_delay_alu instid0(VALU_DEP_4) | instskip(NEXT) | instid1(VALU_DEP_4)
	v_fmac_f32_e32 v124, 0x32a5705f, v25
	v_sub_f32_e32 v120, v120, v127
	v_cvt_f16_f32_e32 v40, v40
	s_delay_alu instid0(VALU_DEP_2) | instskip(SKIP_1) | instid1(VALU_DEP_3)
	v_add_f32_e32 v120, v120, v124
	v_cvt_i32_f32_e32 v124, v127
	v_pk_mul_f16 v40, v40, v119 op_sel_hi:[0,1]
	v_cvt_f16_f32_e32 v119, v121
	s_delay_alu instid0(VALU_DEP_4) | instskip(SKIP_2) | instid1(VALU_DEP_1)
	v_exp_f32_e32 v120, v120
	s_waitcnt_depctr 0xfff
	v_ldexp_f32 v120, v120, v124
	v_cndmask_b32_e32 v120, 0, v120, vcc_lo
	v_cmp_nlt_f32_e32 vcc_lo, 0x42b17218, v25
	s_delay_alu instid0(VALU_DEP_2) | instskip(SKIP_1) | instid1(VALU_DEP_2)
	v_cndmask_b32_e32 v120, 0x7f800000, v120, vcc_lo
	v_cmp_ngt_f32_e32 vcc_lo, 0xc2ce8ed0, v41
	v_add_f32_e32 v25, v121, v120
	v_cvt_f16_f32_e32 v124, v120
	v_mul_f32_e32 v120, 0x3fb8aa3b, v41
	s_delay_alu instid0(VALU_DEP_1) | instskip(SKIP_1) | instid1(VALU_DEP_1)
	v_fma_f32 v121, 0x3fb8aa3b, v41, -v120
	v_rndne_f32_e32 v127, v120
	v_dual_fmac_f32 v121, 0x32a5705f, v41 :: v_dual_sub_f32 v120, v120, v127
	s_delay_alu instid0(VALU_DEP_1) | instskip(SKIP_1) | instid1(VALU_DEP_2)
	v_add_f32_e32 v120, v120, v121
	v_cvt_i32_f32_e32 v121, v127
	v_exp_f32_e32 v120, v120
	s_waitcnt_depctr 0xfff
	v_ldexp_f32 v120, v120, v121
	v_pack_b32_f16 v121, v123, v119
	v_pack_b32_f16 v119, v26, v17
	s_delay_alu instid0(VALU_DEP_3) | instskip(SKIP_1) | instid1(VALU_DEP_2)
	v_cndmask_b32_e32 v120, 0, v120, vcc_lo
	v_cmp_nlt_f32_e32 vcc_lo, 0x42b17218, v41
	v_cndmask_b32_e32 v41, 0x7f800000, v120, vcc_lo
	v_pack_b32_f16 v120, v43, v42
	s_delay_alu instid0(VALU_DEP_2) | instskip(SKIP_1) | instid1(VALU_DEP_1)
	v_fmac_f32_e32 v25, v147, v41
	v_cvt_f16_f32_e32 v41, v41
	v_pk_mul_f16 v41, v41, v118 op_sel_hi:[0,1]
	v_pack_b32_f16 v118, v11, v10
	v_add_f32_e32 v10, v151, v186
	v_add_f32_e32 v11, v150, v186
	ds_store_b128 v102, v[118:121]
	v_pack_b32_f16 v119, v12, v13
	v_add_f32_e32 v13, v39, v185
	v_pack_b32_f16 v118, v8, v9
	v_add_f32_e32 v8, 0x40051340, v11
	v_dual_add_f32 v12, v32, v185 :: v_dual_add_f32 v9, 0x40051340, v10
	s_delay_alu instid0(VALU_DEP_4)
	v_add_f32_e32 v17, 0x40051340, v13
	v_pack_b32_f16 v120, v27, v31
	v_pack_b32_f16 v121, v122, v124
	v_add_f32_e32 v122, v16, v185
	v_add_f32_e32 v16, v30, v185
	v_max3_f32 v8, v142, v8, v17
	ds_store_b128 v102, v[118:121] offset:512
	v_add_f32_e32 v123, 0x40051340, v122
	ds_bpermute_b32 v17, v184, v8
	s_waitcnt lgkmcnt(0)
	v_max_f32_e32 v17, v17, v17
	s_delay_alu instid0(VALU_DEP_1) | instskip(SKIP_3) | instid1(VALU_DEP_1)
	v_max_f32_e32 v8, v8, v17
	ds_bpermute_b32 v17, v183, v8
	s_waitcnt lgkmcnt(0)
	v_max_f32_e32 v17, v17, v17
	v_max_f32_e32 v8, v8, v17
	ds_bpermute_b32 v17, v182, v8
	s_waitcnt lgkmcnt(0)
	v_dual_add_f32 v26, 0x40051340, v12 :: v_dual_max_f32 v17, v17, v17
	s_delay_alu instid0(VALU_DEP_1) | instskip(NEXT) | instid1(VALU_DEP_2)
	v_max3_f32 v9, v141, v9, v26
	v_max_f32_e32 v8, v8, v17
	ds_bpermute_b32 v26, v184, v9
	ds_bpermute_b32 v17, v181, v8
	s_waitcnt lgkmcnt(0)
	v_dual_max_f32 v26, v26, v26 :: v_dual_max_f32 v17, v17, v17
	s_delay_alu instid0(VALU_DEP_1) | instskip(SKIP_4) | instid1(VALU_DEP_1)
	v_dual_max_f32 v9, v9, v26 :: v_dual_max_f32 v8, v8, v17
	ds_bpermute_b32 v26, v183, v9
	ds_bpermute_b32 v17, v180, v8
	s_waitcnt lgkmcnt(0)
	v_dual_max_f32 v26, v26, v26 :: v_dual_max_f32 v17, v17, v17
	v_dual_max_f32 v9, v9, v26 :: v_dual_max_f32 v8, v8, v17
	ds_bpermute_b32 v26, v182, v9
	v_sub_f32_e32 v13, v13, v8
	s_delay_alu instid0(VALU_DEP_1) | instskip(SKIP_1) | instid1(VALU_DEP_2)
	v_mul_f32_e32 v17, 0x3fb8aa3b, v13
	v_cmp_ngt_f32_e32 vcc_lo, 0xc2ce8ed0, v13
	v_rndne_f32_e32 v31, v17
	s_waitcnt lgkmcnt(0)
	v_max_f32_e32 v26, v26, v26
	s_delay_alu instid0(VALU_DEP_1) | instskip(SKIP_3) | instid1(VALU_DEP_1)
	v_max_f32_e32 v9, v9, v26
	ds_bpermute_b32 v26, v181, v9
	s_waitcnt lgkmcnt(0)
	v_max_f32_e32 v26, v26, v26
	v_max_f32_e32 v9, v9, v26
	ds_bpermute_b32 v26, v180, v9
	s_waitcnt lgkmcnt(0)
	v_max_f32_e32 v26, v26, v26
	s_delay_alu instid0(VALU_DEP_1) | instskip(SKIP_1) | instid1(VALU_DEP_2)
	v_max_f32_e32 v9, v9, v26
	v_fma_f32 v26, 0x3fb8aa3b, v13, -v17
	v_dual_sub_f32 v17, v17, v31 :: v_dual_sub_f32 v10, v10, v9
	s_delay_alu instid0(VALU_DEP_2) | instskip(NEXT) | instid1(VALU_DEP_1)
	v_fmac_f32_e32 v26, 0x32a5705f, v13
	v_add_f32_e32 v17, v17, v26
	v_cvt_i32_f32_e32 v26, v31
	s_delay_alu instid0(VALU_DEP_2) | instskip(SKIP_2) | instid1(VALU_DEP_1)
	v_exp_f32_e32 v17, v17
	s_waitcnt_depctr 0xfff
	v_ldexp_f32 v17, v17, v26
	v_cndmask_b32_e32 v17, 0, v17, vcc_lo
	v_cmp_nlt_f32_e32 vcc_lo, 0x42b17218, v13
	s_delay_alu instid0(VALU_DEP_2) | instskip(SKIP_2) | instid1(VALU_DEP_2)
	v_cndmask_b32_e32 v13, 0x7f800000, v17, vcc_lo
	v_mul_f32_e32 v17, 0x3fb8aa3b, v10
	v_sub_f32_e32 v11, v11, v8
	v_fma_f32 v26, 0x3fb8aa3b, v10, -v17
	v_rndne_f32_e32 v31, v17
	s_delay_alu instid0(VALU_DEP_1) | instskip(NEXT) | instid1(VALU_DEP_3)
	v_sub_f32_e32 v17, v17, v31
	v_dual_sub_f32 v27, v142, v8 :: v_dual_fmac_f32 v26, 0x32a5705f, v10
	v_cmp_ngt_f32_e32 vcc_lo, 0xc2ce8ed0, v10
	s_delay_alu instid0(VALU_DEP_2) | instskip(SKIP_1) | instid1(VALU_DEP_2)
	v_add_f32_e32 v17, v17, v26
	v_cvt_i32_f32_e32 v26, v31
	v_exp_f32_e32 v17, v17
	s_waitcnt_depctr 0xfff
	v_ldexp_f32 v17, v17, v26
	s_delay_alu instid0(VALU_DEP_1) | instskip(SKIP_1) | instid1(VALU_DEP_2)
	v_cndmask_b32_e32 v17, 0, v17, vcc_lo
	v_cmp_nlt_f32_e32 vcc_lo, 0x42b17218, v10
	v_cndmask_b32_e32 v10, 0x7f800000, v17, vcc_lo
	v_mul_f32_e32 v17, 0x3fb8aa3b, v11
	v_cmp_ngt_f32_e32 vcc_lo, 0xc2ce8ed0, v11
	s_delay_alu instid0(VALU_DEP_2) | instskip(SKIP_1) | instid1(VALU_DEP_2)
	v_fma_f32 v26, 0x3fb8aa3b, v11, -v17
	v_rndne_f32_e32 v31, v17
	v_fmac_f32_e32 v26, 0x32a5705f, v11
	s_delay_alu instid0(VALU_DEP_2) | instskip(SKIP_1) | instid1(VALU_DEP_2)
	v_sub_f32_e32 v17, v17, v31
	v_cvt_f16_f32_e32 v118, v10
	v_add_f32_e32 v17, v17, v26
	v_cvt_i32_f32_e32 v26, v31
	s_delay_alu instid0(VALU_DEP_2) | instskip(SKIP_2) | instid1(VALU_DEP_1)
	v_exp_f32_e32 v17, v17
	s_waitcnt_depctr 0xfff
	v_ldexp_f32 v17, v17, v26
	v_cndmask_b32_e32 v17, 0, v17, vcc_lo
	v_cmp_nlt_f32_e32 vcc_lo, 0x42b17218, v11
	s_delay_alu instid0(VALU_DEP_2) | instskip(SKIP_2) | instid1(VALU_DEP_3)
	v_cndmask_b32_e32 v11, 0x7f800000, v17, vcc_lo
	v_cvt_f16_f32_e32 v17, v13
	v_cmp_ngt_f32_e32 vcc_lo, 0xc2ce8ed0, v27
	v_dual_add_f32 v26, v11, v13 :: v_dual_mul_f32 v13, 0x3fb8aa3b, v27
	v_cvt_f16_f32_e32 v119, v11
	v_sub_f32_e32 v11, v12, v9
	s_delay_alu instid0(VALU_DEP_3) | instskip(SKIP_1) | instid1(VALU_DEP_3)
	v_fma_f32 v31, 0x3fb8aa3b, v27, -v13
	v_rndne_f32_e32 v32, v13
	v_mul_f32_e32 v12, 0x3fb8aa3b, v11
	s_delay_alu instid0(VALU_DEP_3) | instskip(NEXT) | instid1(VALU_DEP_3)
	v_fmac_f32_e32 v31, 0x32a5705f, v27
	v_sub_f32_e32 v13, v13, v32
	s_delay_alu instid0(VALU_DEP_1) | instskip(SKIP_2) | instid1(VALU_DEP_3)
	v_add_f32_e32 v13, v13, v31
	v_cvt_i32_f32_e32 v31, v32
	v_add_f32_e32 v32, 0x40051340, v29
	v_exp_f32_e32 v13, v13
	s_waitcnt_depctr 0xfff
	v_ldexp_f32 v13, v13, v31
	v_rndne_f32_e32 v31, v12
	s_delay_alu instid0(VALU_DEP_2) | instskip(SKIP_2) | instid1(VALU_DEP_3)
	v_cndmask_b32_e32 v13, 0, v13, vcc_lo
	v_cmp_nlt_f32_e32 vcc_lo, 0x42b17218, v27
	v_fma_f32 v27, 0x3fb8aa3b, v11, -v12
	v_dual_sub_f32 v12, v12, v31 :: v_dual_cndmask_b32 v13, 0x7f800000, v13
	s_delay_alu instid0(VALU_DEP_2) | instskip(SKIP_1) | instid1(VALU_DEP_3)
	v_fmac_f32_e32 v27, 0x32a5705f, v11
	v_cmp_ngt_f32_e32 vcc_lo, 0xc2ce8ed0, v11
	v_fmac_f32_e32 v26, v140, v13
	s_delay_alu instid0(VALU_DEP_3) | instskip(SKIP_3) | instid1(VALU_DEP_4)
	v_add_f32_e32 v12, v12, v27
	v_cvt_i32_f32_e32 v27, v31
	v_cvt_f16_f32_e32 v13, v13
	v_add_f32_e32 v31, 0x40051340, v28
	v_exp_f32_e32 v12, v12
	s_delay_alu instid0(VALU_DEP_2) | instskip(SKIP_3) | instid1(VALU_DEP_1)
	v_pk_mul_f16 v39, v13, v117 op_sel_hi:[0,1]
	v_sub_f32_e32 v13, v141, v9
	s_waitcnt_depctr 0xfff
	v_ldexp_f32 v12, v12, v27
	v_cndmask_b32_e32 v12, 0, v12, vcc_lo
	v_cmp_nlt_f32_e32 vcc_lo, 0x42b17218, v11
	s_delay_alu instid0(VALU_DEP_2) | instskip(SKIP_1) | instid1(VALU_DEP_2)
	v_cndmask_b32_e32 v11, 0x7f800000, v12, vcc_lo
	v_cmp_ngt_f32_e32 vcc_lo, 0xc2ce8ed0, v13
	v_dual_add_f32 v27, v10, v11 :: v_dual_mul_f32 v10, 0x3fb8aa3b, v13
	v_cvt_f16_f32_e32 v117, v11
	s_delay_alu instid0(VALU_DEP_2) | instskip(SKIP_1) | instid1(VALU_DEP_3)
	v_fma_f32 v11, 0x3fb8aa3b, v13, -v10
	v_rndne_f32_e32 v12, v10
	v_pack_b32_f16 v117, v17, v117
	s_delay_alu instid0(VALU_DEP_2) | instskip(NEXT) | instid1(VALU_DEP_1)
	v_dual_fmac_f32 v11, 0x32a5705f, v13 :: v_dual_sub_f32 v10, v10, v12
	v_add_f32_e32 v10, v10, v11
	v_cvt_i32_f32_e32 v11, v12
	v_add_f32_e32 v12, v146, v186
	s_delay_alu instid0(VALU_DEP_3) | instskip(SKIP_2) | instid1(VALU_DEP_1)
	v_exp_f32_e32 v10, v10
	s_waitcnt_depctr 0xfff
	v_ldexp_f32 v10, v10, v11
	v_cndmask_b32_e32 v10, 0, v10, vcc_lo
	v_cmp_nlt_f32_e32 vcc_lo, 0x42b17218, v13
	v_add_f32_e32 v13, v145, v186
	s_delay_alu instid0(VALU_DEP_3) | instskip(NEXT) | instid1(VALU_DEP_1)
	v_cndmask_b32_e32 v10, 0x7f800000, v10, vcc_lo
	v_fmac_f32_e32 v27, v139, v10
	v_cvt_f16_f32_e32 v10, v10
	s_delay_alu instid0(VALU_DEP_1) | instskip(SKIP_1) | instid1(VALU_DEP_1)
	v_pk_mul_f16 v42, v10, v116 op_sel_hi:[0,1]
	v_add_f32_e32 v10, 0x40051340, v13
	v_max3_f32 v10, v136, v10, v31
	ds_bpermute_b32 v31, v184, v10
	s_waitcnt lgkmcnt(0)
	v_max_f32_e32 v31, v31, v31
	s_delay_alu instid0(VALU_DEP_1) | instskip(SKIP_3) | instid1(VALU_DEP_1)
	v_max_f32_e32 v10, v10, v31
	ds_bpermute_b32 v31, v183, v10
	s_waitcnt lgkmcnt(0)
	v_max_f32_e32 v31, v31, v31
	v_max_f32_e32 v10, v10, v31
	ds_bpermute_b32 v31, v182, v10
	s_waitcnt lgkmcnt(0)
	v_max_f32_e32 v31, v31, v31
	s_delay_alu instid0(VALU_DEP_1) | instskip(SKIP_3) | instid1(VALU_DEP_1)
	v_max_f32_e32 v10, v10, v31
	ds_bpermute_b32 v31, v181, v10
	s_waitcnt lgkmcnt(0)
	v_max_f32_e32 v31, v31, v31
	v_dual_add_f32 v11, 0x40051340, v12 :: v_dual_max_f32 v10, v10, v31
	s_delay_alu instid0(VALU_DEP_1) | instskip(SKIP_4) | instid1(VALU_DEP_1)
	v_max3_f32 v11, v135, v11, v32
	ds_bpermute_b32 v31, v180, v10
	ds_bpermute_b32 v32, v184, v11
	s_waitcnt lgkmcnt(0)
	v_dual_max_f32 v31, v31, v31 :: v_dual_max_f32 v32, v32, v32
	v_dual_max_f32 v10, v10, v31 :: v_dual_max_f32 v11, v11, v32
	s_delay_alu instid0(VALU_DEP_1) | instskip(SKIP_2) | instid1(VALU_DEP_1)
	v_sub_f32_e32 v13, v13, v10
	ds_bpermute_b32 v32, v183, v11
	v_sub_f32_e32 v28, v28, v10
	v_cmp_ngt_f32_e32 vcc_lo, 0xc2ce8ed0, v28
	s_waitcnt lgkmcnt(0)
	v_max_f32_e32 v32, v32, v32
	s_delay_alu instid0(VALU_DEP_1) | instskip(SKIP_3) | instid1(VALU_DEP_1)
	v_max_f32_e32 v11, v11, v32
	ds_bpermute_b32 v32, v182, v11
	s_waitcnt lgkmcnt(0)
	v_max_f32_e32 v32, v32, v32
	v_max_f32_e32 v11, v11, v32
	ds_bpermute_b32 v32, v181, v11
	s_waitcnt lgkmcnt(0)
	v_max_f32_e32 v32, v32, v32
	s_delay_alu instid0(VALU_DEP_1) | instskip(SKIP_3) | instid1(VALU_DEP_1)
	v_max_f32_e32 v11, v11, v32
	ds_bpermute_b32 v32, v180, v11
	s_waitcnt lgkmcnt(0)
	v_max_f32_e32 v32, v32, v32
	v_max_f32_e32 v11, v11, v32
	v_mul_f32_e32 v32, 0x3fb8aa3b, v28
	s_delay_alu instid0(VALU_DEP_2) | instskip(NEXT) | instid1(VALU_DEP_2)
	v_sub_f32_e32 v12, v12, v11
	v_fma_f32 v43, 0x3fb8aa3b, v28, -v32
	v_rndne_f32_e32 v116, v32
	s_delay_alu instid0(VALU_DEP_2) | instskip(NEXT) | instid1(VALU_DEP_2)
	v_fmac_f32_e32 v43, 0x32a5705f, v28
	v_sub_f32_e32 v32, v32, v116
	s_delay_alu instid0(VALU_DEP_1) | instskip(SKIP_1) | instid1(VALU_DEP_2)
	v_add_f32_e32 v32, v32, v43
	v_cvt_i32_f32_e32 v43, v116
	v_exp_f32_e32 v32, v32
	s_waitcnt_depctr 0xfff
	v_ldexp_f32 v32, v32, v43
	s_delay_alu instid0(VALU_DEP_1) | instskip(SKIP_2) | instid1(VALU_DEP_3)
	v_cndmask_b32_e32 v32, 0, v32, vcc_lo
	v_cmp_nlt_f32_e32 vcc_lo, 0x42b17218, v28
	v_dual_mul_f32 v28, 0x3fb8aa3b, v12 :: v_dual_sub_f32 v31, v136, v10
	v_cndmask_b32_e32 v32, 0x7f800000, v32, vcc_lo
	s_delay_alu instid0(VALU_DEP_2) | instskip(SKIP_2) | instid1(VALU_DEP_3)
	v_fma_f32 v43, 0x3fb8aa3b, v12, -v28
	v_rndne_f32_e32 v116, v28
	v_cmp_ngt_f32_e32 vcc_lo, 0xc2ce8ed0, v12
	v_fmac_f32_e32 v43, 0x32a5705f, v12
	s_delay_alu instid0(VALU_DEP_3) | instskip(NEXT) | instid1(VALU_DEP_1)
	v_sub_f32_e32 v28, v28, v116
	v_add_f32_e32 v28, v28, v43
	v_cvt_i32_f32_e32 v43, v116
	s_delay_alu instid0(VALU_DEP_2) | instskip(SKIP_2) | instid1(VALU_DEP_1)
	v_exp_f32_e32 v28, v28
	s_waitcnt_depctr 0xfff
	v_ldexp_f32 v28, v28, v43
	v_cndmask_b32_e32 v28, 0, v28, vcc_lo
	v_cmp_nlt_f32_e32 vcc_lo, 0x42b17218, v12
	s_delay_alu instid0(VALU_DEP_2) | instskip(SKIP_2) | instid1(VALU_DEP_2)
	v_cndmask_b32_e32 v12, 0x7f800000, v28, vcc_lo
	v_mul_f32_e32 v28, 0x3fb8aa3b, v13
	v_cmp_ngt_f32_e32 vcc_lo, 0xc2ce8ed0, v13
	v_fma_f32 v43, 0x3fb8aa3b, v13, -v28
	v_rndne_f32_e32 v116, v28
	s_delay_alu instid0(VALU_DEP_1) | instskip(NEXT) | instid1(VALU_DEP_1)
	v_dual_fmac_f32 v43, 0x32a5705f, v13 :: v_dual_sub_f32 v28, v28, v116
	v_add_f32_e32 v28, v28, v43
	v_cvt_i32_f32_e32 v43, v116
	v_cvt_f16_f32_e32 v116, v32
	s_delay_alu instid0(VALU_DEP_3) | instskip(SKIP_2) | instid1(VALU_DEP_1)
	v_exp_f32_e32 v28, v28
	s_waitcnt_depctr 0xfff
	v_ldexp_f32 v28, v28, v43
	v_cndmask_b32_e32 v28, 0, v28, vcc_lo
	v_cmp_nlt_f32_e32 vcc_lo, 0x42b17218, v13
	s_delay_alu instid0(VALU_DEP_2) | instskip(SKIP_1) | instid1(VALU_DEP_2)
	v_cndmask_b32_e32 v13, 0x7f800000, v28, vcc_lo
	v_cmp_ngt_f32_e32 vcc_lo, 0xc2ce8ed0, v31
	v_add_f32_e32 v28, v13, v32
	v_mul_f32_e32 v32, 0x3fb8aa3b, v31
	s_delay_alu instid0(VALU_DEP_1) | instskip(SKIP_1) | instid1(VALU_DEP_1)
	v_fma_f32 v43, 0x3fb8aa3b, v31, -v32
	v_rndne_f32_e32 v120, v32
	v_dual_fmac_f32 v43, 0x32a5705f, v31 :: v_dual_sub_f32 v32, v32, v120
	s_delay_alu instid0(VALU_DEP_1) | instskip(SKIP_3) | instid1(VALU_DEP_4)
	v_add_f32_e32 v32, v32, v43
	v_cvt_i32_f32_e32 v43, v120
	v_cvt_f16_f32_e32 v121, v13
	v_sub_f32_e32 v13, v29, v11
	v_exp_f32_e32 v32, v32
	s_delay_alu instid0(VALU_DEP_1) | instskip(SKIP_2) | instid1(VALU_DEP_1)
	v_mul_f32_e32 v29, 0x3fb8aa3b, v13
	s_waitcnt_depctr 0xfff
	v_ldexp_f32 v32, v32, v43
	v_cndmask_b32_e32 v32, 0, v32, vcc_lo
	v_cmp_nlt_f32_e32 vcc_lo, 0x42b17218, v31
	s_delay_alu instid0(VALU_DEP_2) | instskip(SKIP_2) | instid1(VALU_DEP_3)
	v_cndmask_b32_e32 v31, 0x7f800000, v32, vcc_lo
	v_fma_f32 v32, 0x3fb8aa3b, v13, -v29
	v_cmp_ngt_f32_e32 vcc_lo, 0xc2ce8ed0, v13
	v_fmac_f32_e32 v28, v134, v31
	v_cvt_f16_f32_e32 v31, v31
	s_delay_alu instid0(VALU_DEP_4) | instskip(NEXT) | instid1(VALU_DEP_2)
	v_fmac_f32_e32 v32, 0x32a5705f, v13
	v_pk_mul_f16 v43, v31, v115 op_sel_hi:[0,1]
	v_rndne_f32_e32 v115, v29
	v_sub_f32_e32 v31, v135, v11
	v_cvt_f16_f32_e32 v120, v12
	s_delay_alu instid0(VALU_DEP_3) | instskip(NEXT) | instid1(VALU_DEP_1)
	v_sub_f32_e32 v29, v29, v115
	v_add_f32_e32 v29, v29, v32
	v_cvt_i32_f32_e32 v32, v115
	s_delay_alu instid0(VALU_DEP_2) | instskip(SKIP_2) | instid1(VALU_DEP_1)
	v_exp_f32_e32 v29, v29
	s_waitcnt_depctr 0xfff
	v_ldexp_f32 v29, v29, v32
	v_cndmask_b32_e32 v29, 0, v29, vcc_lo
	v_cmp_nlt_f32_e32 vcc_lo, 0x42b17218, v13
	s_delay_alu instid0(VALU_DEP_2) | instskip(SKIP_1) | instid1(VALU_DEP_2)
	v_cndmask_b32_e32 v13, 0x7f800000, v29, vcc_lo
	v_cmp_ngt_f32_e32 vcc_lo, 0xc2ce8ed0, v31
	v_dual_add_f32 v29, v12, v13 :: v_dual_mul_f32 v12, 0x3fb8aa3b, v31
	v_cvt_f16_f32_e32 v115, v13
	s_delay_alu instid0(VALU_DEP_2) | instskip(SKIP_1) | instid1(VALU_DEP_1)
	v_fma_f32 v13, 0x3fb8aa3b, v31, -v12
	v_rndne_f32_e32 v32, v12
	v_dual_fmac_f32 v13, 0x32a5705f, v31 :: v_dual_sub_f32 v12, v12, v32
	s_delay_alu instid0(VALU_DEP_1) | instskip(SKIP_1) | instid1(VALU_DEP_2)
	v_add_f32_e32 v12, v12, v13
	v_cvt_i32_f32_e32 v13, v32
	v_exp_f32_e32 v12, v12
	s_waitcnt_depctr 0xfff
	v_ldexp_f32 v12, v12, v13
	s_delay_alu instid0(VALU_DEP_1) | instskip(SKIP_2) | instid1(VALU_DEP_1)
	v_cndmask_b32_e32 v12, 0, v12, vcc_lo
	v_cmp_nlt_f32_e32 vcc_lo, 0x42b17218, v31
	v_add_f32_e32 v31, v144, v186
	v_dual_add_f32 v32, v143, v186 :: v_dual_add_f32 v13, 0x40051340, v31
	s_delay_alu instid0(VALU_DEP_1) | instskip(SKIP_3) | instid1(VALU_DEP_1)
	v_max3_f32 v13, v131, v13, v123
	ds_bpermute_b32 v123, v184, v13
	s_waitcnt lgkmcnt(0)
	v_dual_cndmask_b32 v12, 0x7f800000, v12 :: v_dual_max_f32 v123, v123, v123
	v_fmac_f32_e32 v29, v133, v12
	v_cvt_f16_f32_e32 v12, v12
	s_delay_alu instid0(VALU_DEP_3) | instskip(NEXT) | instid1(VALU_DEP_2)
	v_max_f32_e32 v13, v13, v123
	v_pk_mul_f16 v114, v12, v114 op_sel_hi:[0,1]
	v_add_f32_e32 v12, 0x40051340, v32
	ds_bpermute_b32 v123, v183, v13
	s_waitcnt lgkmcnt(0)
	v_dual_max_f32 v123, v123, v123 :: v_dual_add_f32 v30, 0x40051340, v16
	s_delay_alu instid0(VALU_DEP_1) | instskip(NEXT) | instid1(VALU_DEP_2)
	v_max_f32_e32 v13, v13, v123
	v_max3_f32 v12, v132, v12, v30
	ds_bpermute_b32 v123, v182, v13
	ds_bpermute_b32 v30, v184, v12
	s_waitcnt lgkmcnt(0)
	v_dual_max_f32 v123, v123, v123 :: v_dual_max_f32 v30, v30, v30
	s_delay_alu instid0(VALU_DEP_1) | instskip(SKIP_4) | instid1(VALU_DEP_1)
	v_dual_max_f32 v13, v13, v123 :: v_dual_max_f32 v12, v12, v30
	ds_bpermute_b32 v123, v181, v13
	ds_bpermute_b32 v30, v183, v12
	s_waitcnt lgkmcnt(0)
	v_dual_max_f32 v123, v123, v123 :: v_dual_max_f32 v30, v30, v30
	v_dual_max_f32 v13, v13, v123 :: v_dual_max_f32 v12, v12, v30
	ds_bpermute_b32 v123, v180, v13
	ds_bpermute_b32 v30, v182, v12
	s_waitcnt lgkmcnt(0)
	v_dual_max_f32 v123, v123, v123 :: v_dual_max_f32 v30, v30, v30
	s_delay_alu instid0(VALU_DEP_1) | instskip(NEXT) | instid1(VALU_DEP_1)
	v_dual_max_f32 v13, v13, v123 :: v_dual_max_f32 v12, v12, v30
	v_sub_f32_e32 v31, v31, v13
	ds_bpermute_b32 v30, v181, v12
	s_waitcnt lgkmcnt(0)
	v_max_f32_e32 v30, v30, v30
	s_delay_alu instid0(VALU_DEP_1) | instskip(SKIP_3) | instid1(VALU_DEP_1)
	v_max_f32_e32 v12, v12, v30
	ds_bpermute_b32 v30, v180, v12
	s_waitcnt lgkmcnt(0)
	v_max_f32_e32 v30, v30, v30
	v_max_f32_e32 v12, v12, v30
	s_delay_alu instid0(VALU_DEP_1) | instskip(SKIP_1) | instid1(VALU_DEP_2)
	v_sub_f32_e32 v16, v16, v12
	v_sub_f32_e32 v123, v132, v12
	v_mul_f32_e32 v30, 0x3fb8aa3b, v16
	v_cmp_ngt_f32_e32 vcc_lo, 0xc2ce8ed0, v16
	s_delay_alu instid0(VALU_DEP_2) | instskip(SKIP_1) | instid1(VALU_DEP_2)
	v_fma_f32 v124, 0x3fb8aa3b, v16, -v30
	v_rndne_f32_e32 v127, v30
	v_fmac_f32_e32 v124, 0x32a5705f, v16
	s_delay_alu instid0(VALU_DEP_2) | instskip(NEXT) | instid1(VALU_DEP_1)
	v_sub_f32_e32 v30, v30, v127
	v_add_f32_e32 v30, v30, v124
	v_cvt_i32_f32_e32 v124, v127
	s_delay_alu instid0(VALU_DEP_2) | instskip(SKIP_2) | instid1(VALU_DEP_1)
	v_exp_f32_e32 v30, v30
	s_waitcnt_depctr 0xfff
	v_ldexp_f32 v30, v30, v124
	v_cndmask_b32_e32 v30, 0, v30, vcc_lo
	v_cmp_nlt_f32_e32 vcc_lo, 0x42b17218, v16
	s_delay_alu instid0(VALU_DEP_2) | instskip(SKIP_3) | instid1(VALU_DEP_2)
	v_cndmask_b32_e32 v16, 0x7f800000, v30, vcc_lo
	v_sub_f32_e32 v30, v32, v12
	v_mul_f32_e32 v32, 0x3fb8aa3b, v31
	v_cmp_ngt_f32_e32 vcc_lo, 0xc2ce8ed0, v31
	v_fma_f32 v124, 0x3fb8aa3b, v31, -v32
	v_rndne_f32_e32 v127, v32
	s_delay_alu instid0(VALU_DEP_2) | instskip(NEXT) | instid1(VALU_DEP_2)
	v_fmac_f32_e32 v124, 0x32a5705f, v31
	v_sub_f32_e32 v32, v32, v127
	s_delay_alu instid0(VALU_DEP_1) | instskip(SKIP_1) | instid1(VALU_DEP_2)
	v_add_f32_e32 v32, v32, v124
	v_cvt_i32_f32_e32 v124, v127
	v_exp_f32_e32 v32, v32
	s_waitcnt_depctr 0xfff
	v_ldexp_f32 v32, v32, v124
	s_delay_alu instid0(VALU_DEP_1) | instskip(SKIP_1) | instid1(VALU_DEP_2)
	v_cndmask_b32_e32 v32, 0, v32, vcc_lo
	v_cmp_nlt_f32_e32 vcc_lo, 0x42b17218, v31
	v_cndmask_b32_e32 v31, 0x7f800000, v32, vcc_lo
	v_mul_f32_e32 v32, 0x3fb8aa3b, v30
	v_cmp_ngt_f32_e32 vcc_lo, 0xc2ce8ed0, v30
	s_delay_alu instid0(VALU_DEP_2) | instskip(SKIP_1) | instid1(VALU_DEP_2)
	v_fma_f32 v124, 0x3fb8aa3b, v30, -v32
	v_rndne_f32_e32 v127, v32
	v_fmac_f32_e32 v124, 0x32a5705f, v30
	s_delay_alu instid0(VALU_DEP_2) | instskip(NEXT) | instid1(VALU_DEP_1)
	v_sub_f32_e32 v32, v32, v127
	v_add_f32_e32 v32, v32, v124
	v_cvt_i32_f32_e32 v124, v127
	s_delay_alu instid0(VALU_DEP_2) | instskip(SKIP_3) | instid1(VALU_DEP_2)
	v_exp_f32_e32 v32, v32
	s_waitcnt_depctr 0xfff
	v_ldexp_f32 v32, v32, v124
	v_mul_f32_e32 v124, 0x3fb8aa3b, v123
	v_cndmask_b32_e32 v32, 0, v32, vcc_lo
	s_delay_alu instid0(VALU_DEP_2) | instskip(SKIP_2) | instid1(VALU_DEP_2)
	v_fma_f32 v127, 0x3fb8aa3b, v123, -v124
	v_rndne_f32_e32 v132, v124
	v_cmp_nlt_f32_e32 vcc_lo, 0x42b17218, v30
	v_dual_fmac_f32 v127, 0x32a5705f, v123 :: v_dual_sub_f32 v124, v124, v132
	s_delay_alu instid0(VALU_DEP_1)
	v_add_f32_e32 v124, v124, v127
	v_cvt_i32_f32_e32 v127, v132
	v_add_f32_e32 v132, v14, v185
	v_cndmask_b32_e32 v32, 0x7f800000, v32, vcc_lo
	v_cmp_ngt_f32_e32 vcc_lo, 0xc2ce8ed0, v123
	v_exp_f32_e32 v124, v124
	s_delay_alu instid0(VALU_DEP_3) | instskip(NEXT) | instid1(VALU_DEP_3)
	v_add_f32_e32 v14, 0x40051340, v132
	v_add_f32_e32 v30, v32, v16
	s_waitcnt_depctr 0xfff
	v_ldexp_f32 v124, v124, v127
	s_delay_alu instid0(VALU_DEP_1) | instskip(SKIP_1) | instid1(VALU_DEP_2)
	v_dual_sub_f32 v127, v131, v13 :: v_dual_cndmask_b32 v124, 0, v124
	v_cmp_nlt_f32_e32 vcc_lo, 0x42b17218, v123
	v_cndmask_b32_e32 v123, 0x7f800000, v124, vcc_lo
	v_cvt_f16_f32_e32 v124, v32
	v_sub_f32_e32 v32, v122, v13
	s_delay_alu instid0(VALU_DEP_3) | instskip(SKIP_1) | instid1(VALU_DEP_3)
	v_fmac_f32_e32 v30, v130, v123
	v_cvt_f16_f32_e32 v123, v123
	v_mul_f32_e32 v122, 0x3fb8aa3b, v32
	v_cmp_ngt_f32_e32 vcc_lo, 0xc2ce8ed0, v32
	s_delay_alu instid0(VALU_DEP_3) | instskip(NEXT) | instid1(VALU_DEP_3)
	v_pk_mul_f16 v113, v123, v113 op_sel_hi:[0,1]
	v_fma_f32 v130, 0x3fb8aa3b, v32, -v122
	v_rndne_f32_e32 v131, v122
	v_cvt_f16_f32_e32 v123, v31
	s_delay_alu instid0(VALU_DEP_3) | instskip(NEXT) | instid1(VALU_DEP_3)
	v_fmac_f32_e32 v130, 0x32a5705f, v32
	v_sub_f32_e32 v122, v122, v131
	s_delay_alu instid0(VALU_DEP_1) | instskip(SKIP_1) | instid1(VALU_DEP_2)
	v_add_f32_e32 v122, v122, v130
	v_cvt_i32_f32_e32 v130, v131
	v_exp_f32_e32 v122, v122
	s_waitcnt_depctr 0xfff
	v_ldexp_f32 v122, v122, v130
	s_delay_alu instid0(VALU_DEP_1) | instskip(SKIP_1) | instid1(VALU_DEP_2)
	v_cndmask_b32_e32 v122, 0, v122, vcc_lo
	v_cmp_nlt_f32_e32 vcc_lo, 0x42b17218, v32
	v_cndmask_b32_e32 v32, 0x7f800000, v122, vcc_lo
	v_cmp_ngt_f32_e32 vcc_lo, 0xc2ce8ed0, v127
	s_delay_alu instid0(VALU_DEP_2) | instskip(SKIP_2) | instid1(VALU_DEP_1)
	v_add_f32_e32 v31, v31, v32
	v_cvt_f16_f32_e32 v122, v32
	v_mul_f32_e32 v32, 0x3fb8aa3b, v127
	v_fma_f32 v130, 0x3fb8aa3b, v127, -v32
	v_rndne_f32_e32 v131, v32
	s_delay_alu instid0(VALU_DEP_2) | instskip(NEXT) | instid1(VALU_DEP_2)
	v_fmac_f32_e32 v130, 0x32a5705f, v127
	v_sub_f32_e32 v32, v32, v131
	s_delay_alu instid0(VALU_DEP_1) | instskip(SKIP_2) | instid1(VALU_DEP_3)
	v_add_f32_e32 v32, v32, v130
	v_cvt_i32_f32_e32 v130, v131
	v_add_f32_e32 v131, v15, v185
	v_exp_f32_e32 v32, v32
	s_delay_alu instid0(VALU_DEP_1) | instskip(SKIP_2) | instid1(VALU_DEP_1)
	v_add_f32_e32 v15, 0x40051340, v131
	s_waitcnt_depctr 0xfff
	v_ldexp_f32 v32, v32, v130
	v_cndmask_b32_e32 v32, 0, v32, vcc_lo
	v_cmp_nlt_f32_e32 vcc_lo, 0x42b17218, v127
	s_delay_alu instid0(VALU_DEP_2) | instskip(NEXT) | instid1(VALU_DEP_1)
	v_dual_add_f32 v127, v137, v186 :: v_dual_cndmask_b32 v32, 0x7f800000, v32
	v_fmac_f32_e32 v31, v129, v32
	v_cvt_f16_f32_e32 v32, v32
	s_delay_alu instid0(VALU_DEP_3) | instskip(SKIP_1) | instid1(VALU_DEP_3)
	v_add_f32_e32 v129, 0x40051340, v127
	v_cvt_f16_f32_e32 v16, v16
	v_pk_mul_f16 v112, v32, v112 op_sel_hi:[0,1]
	v_add_f32_e32 v32, v138, v186
	s_delay_alu instid0(VALU_DEP_4) | instskip(NEXT) | instid1(VALU_DEP_2)
	v_max3_f32 v14, v128, v129, v14
	v_add_f32_e32 v130, 0x40051340, v32
	ds_bpermute_b32 v129, v184, v14
	v_max3_f32 v15, v126, v130, v15
	ds_bpermute_b32 v130, v184, v15
	s_waitcnt lgkmcnt(1)
	v_max_f32_e32 v129, v129, v129
	s_delay_alu instid0(VALU_DEP_1)
	v_max_f32_e32 v14, v14, v129
	s_waitcnt lgkmcnt(0)
	v_max_f32_e32 v130, v130, v130
	ds_bpermute_b32 v129, v183, v14
	v_max_f32_e32 v15, v15, v130
	ds_bpermute_b32 v130, v183, v15
	s_waitcnt lgkmcnt(1)
	v_max_f32_e32 v129, v129, v129
	s_delay_alu instid0(VALU_DEP_1)
	v_max_f32_e32 v14, v14, v129
	s_waitcnt lgkmcnt(0)
	v_max_f32_e32 v130, v130, v130
	ds_bpermute_b32 v129, v182, v14
	v_max_f32_e32 v15, v15, v130
	;; [unrolled: 9-line block ×4, first 2 shown]
	ds_bpermute_b32 v130, v180, v15
	s_waitcnt lgkmcnt(1)
	v_max_f32_e32 v129, v129, v129
	s_delay_alu instid0(VALU_DEP_1) | instskip(SKIP_2) | instid1(VALU_DEP_2)
	v_max_f32_e32 v14, v14, v129
	s_waitcnt lgkmcnt(0)
	v_max_f32_e32 v130, v130, v130
	v_sub_f32_e32 v129, v132, v14
	v_sub_f32_e32 v127, v127, v14
	;; [unrolled: 1-line block ×3, first 2 shown]
	s_delay_alu instid0(VALU_DEP_3) | instskip(SKIP_1) | instid1(VALU_DEP_2)
	v_dual_max_f32 v15, v15, v130 :: v_dual_mul_f32 v130, 0x3fb8aa3b, v129
	v_cmp_ngt_f32_e32 vcc_lo, 0xc2ce8ed0, v129
	v_sub_f32_e32 v32, v32, v15
	s_delay_alu instid0(VALU_DEP_3) | instskip(SKIP_1) | instid1(VALU_DEP_2)
	v_fma_f32 v132, 0x3fb8aa3b, v129, -v130
	v_rndne_f32_e32 v133, v130
	v_fmac_f32_e32 v132, 0x32a5705f, v129
	s_delay_alu instid0(VALU_DEP_2) | instskip(NEXT) | instid1(VALU_DEP_1)
	v_sub_f32_e32 v130, v130, v133
	v_add_f32_e32 v130, v130, v132
	v_cvt_i32_f32_e32 v132, v133
	s_delay_alu instid0(VALU_DEP_2) | instskip(SKIP_2) | instid1(VALU_DEP_1)
	v_exp_f32_e32 v130, v130
	s_waitcnt_depctr 0xfff
	v_ldexp_f32 v130, v130, v132
	v_cndmask_b32_e32 v130, 0, v130, vcc_lo
	v_cmp_nlt_f32_e32 vcc_lo, 0x42b17218, v129
	s_delay_alu instid0(VALU_DEP_2) | instskip(SKIP_2) | instid1(VALU_DEP_2)
	v_cndmask_b32_e32 v129, 0x7f800000, v130, vcc_lo
	v_mul_f32_e32 v130, 0x3fb8aa3b, v32
	v_cmp_ngt_f32_e32 vcc_lo, 0xc2ce8ed0, v32
	v_fma_f32 v132, 0x3fb8aa3b, v32, -v130
	v_rndne_f32_e32 v133, v130
	s_delay_alu instid0(VALU_DEP_2) | instskip(NEXT) | instid1(VALU_DEP_2)
	v_fmac_f32_e32 v132, 0x32a5705f, v32
	v_sub_f32_e32 v130, v130, v133
	s_delay_alu instid0(VALU_DEP_1) | instskip(SKIP_1) | instid1(VALU_DEP_2)
	v_add_f32_e32 v130, v130, v132
	v_cvt_i32_f32_e32 v132, v133
	v_exp_f32_e32 v130, v130
	s_waitcnt_depctr 0xfff
	v_ldexp_f32 v130, v130, v132
	s_delay_alu instid0(VALU_DEP_1) | instskip(SKIP_2) | instid1(VALU_DEP_3)
	v_cndmask_b32_e32 v130, 0, v130, vcc_lo
	v_cmp_nlt_f32_e32 vcc_lo, 0x42b17218, v32
	v_mul_f32_e32 v32, 0x3fb8aa3b, v127
	v_cndmask_b32_e32 v130, 0x7f800000, v130, vcc_lo
	s_delay_alu instid0(VALU_DEP_2) | instskip(SKIP_2) | instid1(VALU_DEP_3)
	v_fma_f32 v132, 0x3fb8aa3b, v127, -v32
	v_rndne_f32_e32 v133, v32
	v_cmp_ngt_f32_e32 vcc_lo, 0xc2ce8ed0, v127
	v_fmac_f32_e32 v132, 0x32a5705f, v127
	s_delay_alu instid0(VALU_DEP_3) | instskip(NEXT) | instid1(VALU_DEP_1)
	v_sub_f32_e32 v32, v32, v133
	v_add_f32_e32 v32, v32, v132
	v_cvt_i32_f32_e32 v132, v133
	s_delay_alu instid0(VALU_DEP_2) | instskip(SKIP_2) | instid1(VALU_DEP_1)
	v_exp_f32_e32 v32, v32
	s_waitcnt_depctr 0xfff
	v_ldexp_f32 v32, v32, v132
	v_cndmask_b32_e32 v32, 0, v32, vcc_lo
	v_cmp_nlt_f32_e32 vcc_lo, 0x42b17218, v127
	v_cvt_f16_f32_e64 v127, v129
	s_delay_alu instid0(VALU_DEP_3) | instskip(SKIP_1) | instid1(VALU_DEP_2)
	v_cndmask_b32_e32 v132, 0x7f800000, v32, vcc_lo
	v_cmp_ngt_f32_e32 vcc_lo, 0xc2ce8ed0, v128
	v_dual_add_f32 v32, v132, v129 :: v_dual_mul_f32 v129, 0x3fb8aa3b, v128
	s_delay_alu instid0(VALU_DEP_1) | instskip(SKIP_1) | instid1(VALU_DEP_2)
	v_fma_f32 v133, 0x3fb8aa3b, v128, -v129
	v_rndne_f32_e32 v134, v129
	v_fmac_f32_e32 v133, 0x32a5705f, v128
	s_delay_alu instid0(VALU_DEP_2) | instskip(NEXT) | instid1(VALU_DEP_1)
	v_sub_f32_e32 v129, v129, v134
	v_add_f32_e32 v129, v129, v133
	v_cvt_i32_f32_e32 v133, v134
	s_delay_alu instid0(VALU_DEP_2) | instskip(SKIP_2) | instid1(VALU_DEP_1)
	v_exp_f32_e32 v129, v129
	s_waitcnt_depctr 0xfff
	v_ldexp_f32 v129, v129, v133
	v_cndmask_b32_e32 v129, 0, v129, vcc_lo
	v_cmp_nlt_f32_e32 vcc_lo, 0x42b17218, v128
	s_delay_alu instid0(VALU_DEP_2) | instskip(SKIP_1) | instid1(VALU_DEP_2)
	v_dual_cndmask_b32 v128, 0x7f800000, v129 :: v_dual_sub_f32 v129, v126, v15
	v_cvt_f16_f32_e64 v126, v130
	v_fmac_f32_e32 v32, v125, v128
	v_cvt_f16_f32_e64 v125, v128
	v_cvt_f16_f32_e64 v128, v132
	s_delay_alu instid0(VALU_DEP_2) | instskip(SKIP_1) | instid1(VALU_DEP_1)
	v_pk_mul_f16 v111, v125, v111 op_sel_hi:[0,1]
	v_sub_f32_e32 v125, v131, v15
	v_mul_f32_e32 v131, 0x3fb8aa3b, v125
	v_cmp_ngt_f32_e32 vcc_lo, 0xc2ce8ed0, v125
	s_delay_alu instid0(VALU_DEP_2) | instskip(SKIP_1) | instid1(VALU_DEP_2)
	v_fma_f32 v132, 0x3fb8aa3b, v125, -v131
	v_rndne_f32_e32 v133, v131
	v_fmac_f32_e32 v132, 0x32a5705f, v125
	s_delay_alu instid0(VALU_DEP_2) | instskip(NEXT) | instid1(VALU_DEP_1)
	v_sub_f32_e32 v131, v131, v133
	v_add_f32_e32 v131, v131, v132
	v_cvt_i32_f32_e32 v132, v133
	s_delay_alu instid0(VALU_DEP_2) | instskip(SKIP_2) | instid1(VALU_DEP_1)
	v_exp_f32_e32 v131, v131
	s_waitcnt_depctr 0xfff
	v_ldexp_f32 v131, v131, v132
	v_cndmask_b32_e32 v131, 0, v131, vcc_lo
	v_cmp_nlt_f32_e32 vcc_lo, 0x42b17218, v125
	s_delay_alu instid0(VALU_DEP_2) | instskip(SKIP_2) | instid1(VALU_DEP_3)
	v_cndmask_b32_e32 v125, 0x7f800000, v131, vcc_lo
	v_mul_f32_e32 v131, 0x3fb8aa3b, v129
	v_cmp_ngt_f32_e32 vcc_lo, 0xc2ce8ed0, v129
	v_add_f32_e32 v130, v130, v125
	s_delay_alu instid0(VALU_DEP_3) | instskip(SKIP_2) | instid1(VALU_DEP_3)
	v_fma_f32 v132, 0x3fb8aa3b, v129, -v131
	v_rndne_f32_e32 v133, v131
	v_cvt_f16_f32_e32 v125, v125
	v_fmac_f32_e32 v132, 0x32a5705f, v129
	s_delay_alu instid0(VALU_DEP_3) | instskip(NEXT) | instid1(VALU_DEP_1)
	v_sub_f32_e32 v131, v131, v133
	v_add_f32_e32 v131, v131, v132
	v_cvt_i32_f32_e32 v132, v133
	s_delay_alu instid0(VALU_DEP_2) | instskip(SKIP_2) | instid1(VALU_DEP_1)
	v_exp_f32_e32 v131, v131
	s_waitcnt_depctr 0xfff
	v_ldexp_f32 v131, v131, v132
	v_cndmask_b32_e32 v131, 0, v131, vcc_lo
	v_cmp_nlt_f32_e32 vcc_lo, 0x42b17218, v129
	s_delay_alu instid0(VALU_DEP_2) | instskip(SKIP_3) | instid1(VALU_DEP_2)
	v_cndmask_b32_e32 v129, 0x7f800000, v131, vcc_lo
	v_mov_b32_e32 v131, v81
	v_mov_b32_e32 v81, v130
	v_pack_b32_f16 v130, v124, v123
	v_fmac_f32_e32 v81, v131, v129
	v_pack_b32_f16 v131, v128, v126
	v_pack_b32_f16 v128, v119, v118
	v_pack_b32_f16 v119, v16, v122
	v_add_co_u32 v16, vcc_lo, s16, v52
	v_cvt_f16_f32_e64 v129, v129
	v_add_co_ci_u32_e32 v17, vcc_lo, s17, v53, vcc_lo
	s_delay_alu instid0(VALU_DEP_3) | instskip(NEXT) | instid1(VALU_DEP_3)
	v_add_co_u32 v16, vcc_lo, v16, v101
	v_pk_mul_f16 v110, v129, v110 op_sel_hi:[0,1]
	v_pack_b32_f16 v129, v121, v120
	v_pack_b32_f16 v120, v127, v125
	;; [unrolled: 1-line block ×3, first 2 shown]
	v_add_co_ci_u32_e32 v17, vcc_lo, 0, v17, vcc_lo
	ds_store_b128 v102, v[128:131] offset:1024
	ds_store_b128 v102, v[117:120] offset:1536
	global_load_b128 v[115:118], v[16:17], off
	v_add_co_u32 v16, vcc_lo, s16, v54
	v_add_co_ci_u32_e32 v17, vcc_lo, s17, v55, vcc_lo
	s_delay_alu instid0(VALU_DEP_2) | instskip(NEXT) | instid1(VALU_DEP_2)
	v_add_co_u32 v16, vcc_lo, v16, v101
	v_add_co_ci_u32_e32 v17, vcc_lo, 0, v17, vcc_lo
	s_waitcnt vmcnt(0)
	ds_store_b128 v96, v[115:118]
	global_load_b128 v[115:118], v[16:17], off
	v_add_co_u32 v16, vcc_lo, s16, v56
	v_add_co_ci_u32_e32 v17, vcc_lo, s17, v57, vcc_lo
	s_delay_alu instid0(VALU_DEP_2) | instskip(NEXT) | instid1(VALU_DEP_2)
	v_add_co_u32 v16, vcc_lo, v16, v101
	v_add_co_ci_u32_e32 v17, vcc_lo, 0, v17, vcc_lo
	s_waitcnt vmcnt(0)
	ds_store_b128 v98, v[115:118]
	;; [unrolled: 8-line block ×3, first 2 shown]
	global_load_b128 v[115:118], v[16:17], off
	s_waitcnt vmcnt(0)
	ds_store_b128 v100, v[115:118]
	s_waitcnt lgkmcnt(0)
	s_barrier
	buffer_gl0_inv
	ds_load_2addr_b32 v[16:17], v60 offset1:32
	ds_load_b128 v[115:118], v97
	ds_load_b128 v[119:122], v97 offset:16
	ds_load_b128 v[123:126], v97 offset:32
	;; [unrolled: 1-line block ×4, first 2 shown]
	s_waitcnt lgkmcnt(4)
	v_pk_fma_f16 v135, v16, v115, v33 op_sel_hi:[1,0,1]
	v_pk_fma_f16 v115, v16, v115, v34 op_sel:[0,1,0]
	v_pk_fma_f16 v136, v16, v116, v35 op_sel_hi:[1,0,1]
	v_pk_fma_f16 v116, v16, v116, v36 op_sel:[0,1,0]
	ds_load_b128 v[33:36], v97 offset:1040
	v_pk_fma_f16 v37, v16, v117, v37 op_sel_hi:[1,0,1]
	v_pk_fma_f16 v38, v16, v117, v38 op_sel:[0,1,0]
	v_pk_fma_f16 v40, v16, v118, v40 op_sel_hi:[1,0,1]
	v_pk_fma_f16 v41, v16, v118, v41 op_sel:[0,1,0]
	s_waitcnt lgkmcnt(1)
	v_pk_fma_f16 v39, v16, v131, v39 op_sel_hi:[1,0,1]
	v_pk_fma_f16 v42, v16, v131, v42 op_sel:[0,1,0]
	v_pk_fma_f16 v43, v16, v132, v43 op_sel_hi:[1,0,1]
	v_pk_fma_f16 v114, v16, v132, v114 op_sel:[0,1,0]
	;; [unrolled: 2-line block ×8, first 2 shown]
	s_waitcnt lgkmcnt(0)
	v_pk_fma_f16 v39, v17, v33, v39 op_sel_hi:[1,0,1]
	v_pk_fma_f16 v42, v17, v33, v42 op_sel:[0,1,0]
	v_pk_fma_f16 v43, v17, v34, v43 op_sel_hi:[1,0,1]
	v_pk_fma_f16 v114, v17, v34, v114 op_sel:[0,1,0]
	;; [unrolled: 2-line block ×4, first 2 shown]
	ds_load_2addr_b32 v[16:17], v60 offset0:64 offset1:96
	ds_load_b128 v[33:36], v97 offset:1056
	s_waitcnt lgkmcnt(1)
	v_pk_fma_f16 v110, v16, v123, v110 op_sel_hi:[1,0,1]
	v_pk_fma_f16 v115, v16, v123, v115 op_sel:[0,1,0]
	v_pk_fma_f16 v117, v16, v124, v117 op_sel_hi:[1,0,1]
	v_pk_fma_f16 v116, v16, v124, v116 op_sel:[0,1,0]
	;; [unrolled: 2-line block ×4, first 2 shown]
	s_waitcnt lgkmcnt(0)
	v_pk_fma_f16 v39, v16, v33, v39 op_sel_hi:[1,0,1]
	v_pk_fma_f16 v42, v16, v33, v42 op_sel:[0,1,0]
	v_pk_fma_f16 v43, v16, v34, v43 op_sel_hi:[1,0,1]
	v_pk_fma_f16 v114, v16, v34, v114 op_sel:[0,1,0]
	;; [unrolled: 2-line block ×4, first 2 shown]
	ds_load_b128 v[33:36], v97 offset:1072
	v_pk_fma_f16 v110, v17, v127, v110 op_sel_hi:[1,0,1]
	v_pk_fma_f16 v115, v17, v127, v115 op_sel:[0,1,0]
	v_pk_fma_f16 v117, v17, v128, v117 op_sel_hi:[1,0,1]
	v_pk_fma_f16 v116, v17, v128, v116 op_sel:[0,1,0]
	;; [unrolled: 2-line block ×4, first 2 shown]
	s_waitcnt lgkmcnt(0)
	v_pk_fma_f16 v121, v17, v33, v39 op_sel_hi:[1,0,1]
	v_pk_fma_f16 v42, v17, v33, v42 op_sel:[0,1,0]
	v_pk_fma_f16 v43, v17, v34, v43 op_sel_hi:[1,0,1]
	v_pk_fma_f16 v114, v17, v34, v114 op_sel:[0,1,0]
	;; [unrolled: 2-line block ×4, first 2 shown]
	ds_load_2addr_b32 v[16:17], v60 offset0:128 offset1:160
	ds_load_b128 v[33:36], v97 offset:64
	ds_load_b128 v[37:40], v97 offset:1088
	s_waitcnt lgkmcnt(1)
	v_pk_fma_f16 v110, v16, v33, v110 op_sel_hi:[1,0,1]
	v_pk_fma_f16 v115, v16, v33, v115 op_sel:[0,1,0]
	v_pk_fma_f16 v117, v16, v34, v117 op_sel_hi:[1,0,1]
	v_pk_fma_f16 v116, v16, v34, v116 op_sel:[0,1,0]
	;; [unrolled: 2-line block ×4, first 2 shown]
	s_waitcnt lgkmcnt(0)
	v_pk_fma_f16 v121, v16, v37, v121 op_sel_hi:[1,0,1]
	v_pk_fma_f16 v42, v16, v37, v42 op_sel:[0,1,0]
	v_pk_fma_f16 v43, v16, v38, v43 op_sel_hi:[1,0,1]
	v_pk_fma_f16 v114, v16, v38, v114 op_sel:[0,1,0]
	;; [unrolled: 2-line block ×4, first 2 shown]
	ds_load_b128 v[33:36], v97 offset:80
	ds_load_b128 v[37:40], v97 offset:1104
	s_waitcnt lgkmcnt(1)
	v_pk_fma_f16 v110, v17, v33, v110 op_sel_hi:[1,0,1]
	v_pk_fma_f16 v115, v17, v33, v115 op_sel:[0,1,0]
	v_pk_fma_f16 v117, v17, v34, v117 op_sel_hi:[1,0,1]
	v_pk_fma_f16 v116, v17, v34, v116 op_sel:[0,1,0]
	;; [unrolled: 2-line block ×4, first 2 shown]
	s_waitcnt lgkmcnt(0)
	v_pk_fma_f16 v121, v17, v37, v121 op_sel_hi:[1,0,1]
	v_pk_fma_f16 v42, v17, v37, v42 op_sel:[0,1,0]
	v_pk_fma_f16 v43, v17, v38, v43 op_sel_hi:[1,0,1]
	v_pk_fma_f16 v114, v17, v38, v114 op_sel:[0,1,0]
	;; [unrolled: 2-line block ×4, first 2 shown]
	ds_load_2addr_b32 v[16:17], v60 offset0:192 offset1:224
	ds_load_b128 v[33:36], v97 offset:96
	ds_load_b128 v[37:40], v97 offset:1120
	s_waitcnt lgkmcnt(1)
	v_pk_fma_f16 v110, v16, v33, v110 op_sel_hi:[1,0,1]
	v_pk_fma_f16 v115, v16, v33, v115 op_sel:[0,1,0]
	v_pk_fma_f16 v117, v16, v34, v117 op_sel_hi:[1,0,1]
	v_pk_fma_f16 v116, v16, v34, v116 op_sel:[0,1,0]
	;; [unrolled: 2-line block ×4, first 2 shown]
	s_waitcnt lgkmcnt(0)
	v_pk_fma_f16 v121, v16, v37, v121 op_sel_hi:[1,0,1]
	v_pk_fma_f16 v42, v16, v37, v42 op_sel:[0,1,0]
	v_pk_fma_f16 v43, v16, v38, v43 op_sel_hi:[1,0,1]
	v_pk_fma_f16 v114, v16, v38, v114 op_sel:[0,1,0]
	v_pk_fma_f16 v113, v16, v39, v113 op_sel_hi:[1,0,1]
	v_pk_fma_f16 v112, v16, v39, v112 op_sel:[0,1,0]
	v_pk_fma_f16 v111, v16, v40, v111 op_sel_hi:[1,0,1]
	v_pk_fma_f16 v16, v16, v40, v122 op_sel:[0,1,0]
	ds_load_b128 v[33:36], v97 offset:112
	ds_load_b128 v[37:40], v97 offset:1136
	s_waitcnt lgkmcnt(1)
	v_pk_fma_f16 v110, v17, v33, v110 op_sel_hi:[1,0,1]
	v_pk_fma_f16 v115, v17, v33, v115 op_sel:[0,1,0]
	v_pk_fma_f16 v117, v17, v34, v117 op_sel_hi:[1,0,1]
	v_pk_fma_f16 v116, v17, v34, v116 op_sel:[0,1,0]
	;; [unrolled: 2-line block ×4, first 2 shown]
	s_waitcnt lgkmcnt(0)
	v_pk_fma_f16 v121, v17, v37, v121 op_sel_hi:[1,0,1]
	v_pk_fma_f16 v42, v17, v37, v42 op_sel:[0,1,0]
	v_pk_fma_f16 v43, v17, v38, v43 op_sel_hi:[1,0,1]
	v_pk_fma_f16 v114, v17, v38, v114 op_sel:[0,1,0]
	;; [unrolled: 2-line block ×4, first 2 shown]
	ds_load_2addr_b32 v[16:17], v103 offset1:32
	ds_load_b128 v[33:36], v97 offset:128
	ds_load_b128 v[37:40], v97 offset:1152
	s_waitcnt lgkmcnt(1)
	v_pk_fma_f16 v110, v16, v33, v110 op_sel_hi:[1,0,1]
	v_pk_fma_f16 v115, v16, v33, v115 op_sel:[0,1,0]
	v_pk_fma_f16 v117, v16, v34, v117 op_sel_hi:[1,0,1]
	v_pk_fma_f16 v116, v16, v34, v116 op_sel:[0,1,0]
	v_pk_fma_f16 v118, v16, v35, v118 op_sel_hi:[1,0,1]
	v_pk_fma_f16 v119, v16, v35, v119 op_sel:[0,1,0]
	v_pk_fma_f16 v120, v16, v36, v120 op_sel_hi:[1,0,1]
	v_pk_fma_f16 v41, v16, v36, v41 op_sel:[0,1,0]
	s_waitcnt lgkmcnt(0)
	v_pk_fma_f16 v121, v16, v37, v121 op_sel_hi:[1,0,1]
	v_pk_fma_f16 v42, v16, v37, v42 op_sel:[0,1,0]
	v_pk_fma_f16 v43, v16, v38, v43 op_sel_hi:[1,0,1]
	v_pk_fma_f16 v114, v16, v38, v114 op_sel:[0,1,0]
	v_pk_fma_f16 v113, v16, v39, v113 op_sel_hi:[1,0,1]
	v_pk_fma_f16 v112, v16, v39, v112 op_sel:[0,1,0]
	v_pk_fma_f16 v111, v16, v40, v111 op_sel_hi:[1,0,1]
	v_pk_fma_f16 v16, v16, v40, v122 op_sel:[0,1,0]
	ds_load_b128 v[33:36], v97 offset:144
	ds_load_b128 v[37:40], v97 offset:1168
	s_waitcnt lgkmcnt(1)
	v_pk_fma_f16 v110, v17, v33, v110 op_sel_hi:[1,0,1]
	v_pk_fma_f16 v115, v17, v33, v115 op_sel:[0,1,0]
	v_pk_fma_f16 v117, v17, v34, v117 op_sel_hi:[1,0,1]
	v_pk_fma_f16 v116, v17, v34, v116 op_sel:[0,1,0]
	v_pk_fma_f16 v118, v17, v35, v118 op_sel_hi:[1,0,1]
	v_pk_fma_f16 v119, v17, v35, v119 op_sel:[0,1,0]
	v_pk_fma_f16 v120, v17, v36, v120 op_sel_hi:[1,0,1]
	v_pk_fma_f16 v41, v17, v36, v41 op_sel:[0,1,0]
	s_waitcnt lgkmcnt(0)
	v_pk_fma_f16 v121, v17, v37, v121 op_sel_hi:[1,0,1]
	v_pk_fma_f16 v42, v17, v37, v42 op_sel:[0,1,0]
	v_pk_fma_f16 v43, v17, v38, v43 op_sel_hi:[1,0,1]
	v_pk_fma_f16 v114, v17, v38, v114 op_sel:[0,1,0]
	v_pk_fma_f16 v113, v17, v39, v113 op_sel_hi:[1,0,1]
	v_pk_fma_f16 v112, v17, v39, v112 op_sel:[0,1,0]
	v_pk_fma_f16 v111, v17, v40, v111 op_sel_hi:[1,0,1]
	v_pk_fma_f16 v122, v17, v40, v16 op_sel:[0,1,0]
	ds_load_2addr_b32 v[16:17], v103 offset0:64 offset1:96
	ds_load_b128 v[33:36], v97 offset:160
	ds_load_b128 v[37:40], v97 offset:1184
	s_waitcnt lgkmcnt(1)
	v_pk_fma_f16 v110, v16, v33, v110 op_sel_hi:[1,0,1]
	v_pk_fma_f16 v115, v16, v33, v115 op_sel:[0,1,0]
	v_pk_fma_f16 v117, v16, v34, v117 op_sel_hi:[1,0,1]
	v_pk_fma_f16 v116, v16, v34, v116 op_sel:[0,1,0]
	v_pk_fma_f16 v118, v16, v35, v118 op_sel_hi:[1,0,1]
	v_pk_fma_f16 v119, v16, v35, v119 op_sel:[0,1,0]
	v_pk_fma_f16 v120, v16, v36, v120 op_sel_hi:[1,0,1]
	v_pk_fma_f16 v41, v16, v36, v41 op_sel:[0,1,0]
	s_waitcnt lgkmcnt(0)
	v_pk_fma_f16 v121, v16, v37, v121 op_sel_hi:[1,0,1]
	v_pk_fma_f16 v42, v16, v37, v42 op_sel:[0,1,0]
	v_pk_fma_f16 v43, v16, v38, v43 op_sel_hi:[1,0,1]
	v_pk_fma_f16 v114, v16, v38, v114 op_sel:[0,1,0]
	v_pk_fma_f16 v113, v16, v39, v113 op_sel_hi:[1,0,1]
	v_pk_fma_f16 v112, v16, v39, v112 op_sel:[0,1,0]
	v_pk_fma_f16 v111, v16, v40, v111 op_sel_hi:[1,0,1]
	v_pk_fma_f16 v16, v16, v40, v122 op_sel:[0,1,0]
	ds_load_b128 v[33:36], v97 offset:176
	ds_load_b128 v[37:40], v97 offset:1200
	s_waitcnt lgkmcnt(1)
	v_pk_fma_f16 v110, v17, v33, v110 op_sel_hi:[1,0,1]
	v_pk_fma_f16 v115, v17, v33, v115 op_sel:[0,1,0]
	v_pk_fma_f16 v117, v17, v34, v117 op_sel_hi:[1,0,1]
	v_pk_fma_f16 v116, v17, v34, v116 op_sel:[0,1,0]
	v_pk_fma_f16 v118, v17, v35, v118 op_sel_hi:[1,0,1]
	v_pk_fma_f16 v119, v17, v35, v119 op_sel:[0,1,0]
	v_pk_fma_f16 v120, v17, v36, v120 op_sel_hi:[1,0,1]
	v_pk_fma_f16 v41, v17, v36, v41 op_sel:[0,1,0]
	s_waitcnt lgkmcnt(0)
	v_pk_fma_f16 v121, v17, v37, v121 op_sel_hi:[1,0,1]
	v_pk_fma_f16 v42, v17, v37, v42 op_sel:[0,1,0]
	v_pk_fma_f16 v43, v17, v38, v43 op_sel_hi:[1,0,1]
	v_pk_fma_f16 v114, v17, v38, v114 op_sel:[0,1,0]
	v_pk_fma_f16 v113, v17, v39, v113 op_sel_hi:[1,0,1]
	v_pk_fma_f16 v112, v17, v39, v112 op_sel:[0,1,0]
	v_pk_fma_f16 v111, v17, v40, v111 op_sel_hi:[1,0,1]
	v_pk_fma_f16 v122, v17, v40, v16 op_sel:[0,1,0]
	ds_load_2addr_b32 v[16:17], v103 offset0:128 offset1:160
	;; [unrolled: 41-line block ×3, first 2 shown]
	ds_load_b128 v[33:36], v97 offset:224
	ds_load_b128 v[37:40], v97 offset:1248
	s_waitcnt lgkmcnt(1)
	v_pk_fma_f16 v110, v16, v33, v110 op_sel_hi:[1,0,1]
	v_pk_fma_f16 v115, v16, v33, v115 op_sel:[0,1,0]
	v_pk_fma_f16 v117, v16, v34, v117 op_sel_hi:[1,0,1]
	v_pk_fma_f16 v116, v16, v34, v116 op_sel:[0,1,0]
	;; [unrolled: 2-line block ×4, first 2 shown]
	s_waitcnt lgkmcnt(0)
	v_pk_fma_f16 v121, v16, v37, v121 op_sel_hi:[1,0,1]
	v_pk_fma_f16 v42, v16, v37, v42 op_sel:[0,1,0]
	v_pk_fma_f16 v43, v16, v38, v43 op_sel_hi:[1,0,1]
	v_pk_fma_f16 v114, v16, v38, v114 op_sel:[0,1,0]
	;; [unrolled: 2-line block ×4, first 2 shown]
	ds_load_b128 v[33:36], v97 offset:240
	ds_load_b128 v[37:40], v97 offset:1264
	s_waitcnt lgkmcnt(1)
	v_pk_fma_f16 v110, v17, v33, v110 op_sel_hi:[1,0,1]
	v_pk_fma_f16 v115, v17, v33, v115 op_sel:[0,1,0]
	v_pk_fma_f16 v117, v17, v34, v117 op_sel_hi:[1,0,1]
	v_pk_fma_f16 v116, v17, v34, v116 op_sel:[0,1,0]
	;; [unrolled: 2-line block ×4, first 2 shown]
	s_waitcnt lgkmcnt(0)
	v_pk_fma_f16 v121, v17, v37, v121 op_sel_hi:[1,0,1]
	v_pk_fma_f16 v42, v17, v37, v42 op_sel:[0,1,0]
	v_pk_fma_f16 v43, v17, v38, v43 op_sel_hi:[1,0,1]
	v_pk_fma_f16 v114, v17, v38, v114 op_sel:[0,1,0]
	;; [unrolled: 2-line block ×4, first 2 shown]
	ds_load_2addr_b32 v[16:17], v104 offset1:32
	ds_load_b128 v[33:36], v97 offset:256
	ds_load_b128 v[37:40], v97 offset:1280
	s_waitcnt lgkmcnt(1)
	v_pk_fma_f16 v110, v16, v33, v110 op_sel_hi:[1,0,1]
	v_pk_fma_f16 v115, v16, v33, v115 op_sel:[0,1,0]
	v_pk_fma_f16 v117, v16, v34, v117 op_sel_hi:[1,0,1]
	v_pk_fma_f16 v116, v16, v34, v116 op_sel:[0,1,0]
	v_pk_fma_f16 v118, v16, v35, v118 op_sel_hi:[1,0,1]
	v_pk_fma_f16 v119, v16, v35, v119 op_sel:[0,1,0]
	v_pk_fma_f16 v120, v16, v36, v120 op_sel_hi:[1,0,1]
	v_pk_fma_f16 v41, v16, v36, v41 op_sel:[0,1,0]
	s_waitcnt lgkmcnt(0)
	v_pk_fma_f16 v121, v16, v37, v121 op_sel_hi:[1,0,1]
	v_pk_fma_f16 v42, v16, v37, v42 op_sel:[0,1,0]
	v_pk_fma_f16 v43, v16, v38, v43 op_sel_hi:[1,0,1]
	v_pk_fma_f16 v114, v16, v38, v114 op_sel:[0,1,0]
	v_pk_fma_f16 v113, v16, v39, v113 op_sel_hi:[1,0,1]
	v_pk_fma_f16 v112, v16, v39, v112 op_sel:[0,1,0]
	v_pk_fma_f16 v111, v16, v40, v111 op_sel_hi:[1,0,1]
	v_pk_fma_f16 v16, v16, v40, v122 op_sel:[0,1,0]
	ds_load_b128 v[33:36], v97 offset:272
	ds_load_b128 v[37:40], v97 offset:1296
	s_waitcnt lgkmcnt(1)
	v_pk_fma_f16 v110, v17, v33, v110 op_sel_hi:[1,0,1]
	v_pk_fma_f16 v115, v17, v33, v115 op_sel:[0,1,0]
	v_pk_fma_f16 v117, v17, v34, v117 op_sel_hi:[1,0,1]
	v_pk_fma_f16 v116, v17, v34, v116 op_sel:[0,1,0]
	v_pk_fma_f16 v118, v17, v35, v118 op_sel_hi:[1,0,1]
	v_pk_fma_f16 v119, v17, v35, v119 op_sel:[0,1,0]
	v_pk_fma_f16 v120, v17, v36, v120 op_sel_hi:[1,0,1]
	v_pk_fma_f16 v41, v17, v36, v41 op_sel:[0,1,0]
	s_waitcnt lgkmcnt(0)
	v_pk_fma_f16 v121, v17, v37, v121 op_sel_hi:[1,0,1]
	v_pk_fma_f16 v42, v17, v37, v42 op_sel:[0,1,0]
	v_pk_fma_f16 v43, v17, v38, v43 op_sel_hi:[1,0,1]
	v_pk_fma_f16 v114, v17, v38, v114 op_sel:[0,1,0]
	v_pk_fma_f16 v113, v17, v39, v113 op_sel_hi:[1,0,1]
	v_pk_fma_f16 v112, v17, v39, v112 op_sel:[0,1,0]
	v_pk_fma_f16 v111, v17, v40, v111 op_sel_hi:[1,0,1]
	v_pk_fma_f16 v122, v17, v40, v16 op_sel:[0,1,0]
	ds_load_2addr_b32 v[16:17], v104 offset0:64 offset1:96
	ds_load_b128 v[33:36], v97 offset:288
	ds_load_b128 v[37:40], v97 offset:1312
	s_waitcnt lgkmcnt(1)
	v_pk_fma_f16 v110, v16, v33, v110 op_sel_hi:[1,0,1]
	v_pk_fma_f16 v115, v16, v33, v115 op_sel:[0,1,0]
	v_pk_fma_f16 v117, v16, v34, v117 op_sel_hi:[1,0,1]
	v_pk_fma_f16 v116, v16, v34, v116 op_sel:[0,1,0]
	v_pk_fma_f16 v118, v16, v35, v118 op_sel_hi:[1,0,1]
	v_pk_fma_f16 v119, v16, v35, v119 op_sel:[0,1,0]
	v_pk_fma_f16 v120, v16, v36, v120 op_sel_hi:[1,0,1]
	v_pk_fma_f16 v41, v16, v36, v41 op_sel:[0,1,0]
	s_waitcnt lgkmcnt(0)
	v_pk_fma_f16 v121, v16, v37, v121 op_sel_hi:[1,0,1]
	v_pk_fma_f16 v42, v16, v37, v42 op_sel:[0,1,0]
	v_pk_fma_f16 v43, v16, v38, v43 op_sel_hi:[1,0,1]
	v_pk_fma_f16 v114, v16, v38, v114 op_sel:[0,1,0]
	v_pk_fma_f16 v113, v16, v39, v113 op_sel_hi:[1,0,1]
	v_pk_fma_f16 v112, v16, v39, v112 op_sel:[0,1,0]
	v_pk_fma_f16 v111, v16, v40, v111 op_sel_hi:[1,0,1]
	v_pk_fma_f16 v16, v16, v40, v122 op_sel:[0,1,0]
	ds_load_b128 v[33:36], v97 offset:304
	ds_load_b128 v[37:40], v97 offset:1328
	s_waitcnt lgkmcnt(1)
	v_pk_fma_f16 v110, v17, v33, v110 op_sel_hi:[1,0,1]
	v_pk_fma_f16 v115, v17, v33, v115 op_sel:[0,1,0]
	v_pk_fma_f16 v117, v17, v34, v117 op_sel_hi:[1,0,1]
	v_pk_fma_f16 v116, v17, v34, v116 op_sel:[0,1,0]
	v_pk_fma_f16 v118, v17, v35, v118 op_sel_hi:[1,0,1]
	v_pk_fma_f16 v119, v17, v35, v119 op_sel:[0,1,0]
	v_pk_fma_f16 v120, v17, v36, v120 op_sel_hi:[1,0,1]
	v_pk_fma_f16 v41, v17, v36, v41 op_sel:[0,1,0]
	s_waitcnt lgkmcnt(0)
	v_pk_fma_f16 v121, v17, v37, v121 op_sel_hi:[1,0,1]
	v_pk_fma_f16 v42, v17, v37, v42 op_sel:[0,1,0]
	v_pk_fma_f16 v43, v17, v38, v43 op_sel_hi:[1,0,1]
	v_pk_fma_f16 v114, v17, v38, v114 op_sel:[0,1,0]
	v_pk_fma_f16 v113, v17, v39, v113 op_sel_hi:[1,0,1]
	v_pk_fma_f16 v112, v17, v39, v112 op_sel:[0,1,0]
	v_pk_fma_f16 v111, v17, v40, v111 op_sel_hi:[1,0,1]
	v_pk_fma_f16 v122, v17, v40, v16 op_sel:[0,1,0]
	ds_load_2addr_b32 v[16:17], v104 offset0:128 offset1:160
	ds_load_b128 v[33:36], v97 offset:320
	ds_load_b128 v[37:40], v97 offset:1344
	s_waitcnt lgkmcnt(1)
	v_pk_fma_f16 v110, v16, v33, v110 op_sel_hi:[1,0,1]
	v_pk_fma_f16 v115, v16, v33, v115 op_sel:[0,1,0]
	v_pk_fma_f16 v117, v16, v34, v117 op_sel_hi:[1,0,1]
	v_pk_fma_f16 v116, v16, v34, v116 op_sel:[0,1,0]
	v_pk_fma_f16 v118, v16, v35, v118 op_sel_hi:[1,0,1]
	v_pk_fma_f16 v119, v16, v35, v119 op_sel:[0,1,0]
	v_pk_fma_f16 v120, v16, v36, v120 op_sel_hi:[1,0,1]
	v_pk_fma_f16 v41, v16, v36, v41 op_sel:[0,1,0]
	s_waitcnt lgkmcnt(0)
	v_pk_fma_f16 v121, v16, v37, v121 op_sel_hi:[1,0,1]
	v_pk_fma_f16 v42, v16, v37, v42 op_sel:[0,1,0]
	v_pk_fma_f16 v43, v16, v38, v43 op_sel_hi:[1,0,1]
	v_pk_fma_f16 v114, v16, v38, v114 op_sel:[0,1,0]
	v_pk_fma_f16 v113, v16, v39, v113 op_sel_hi:[1,0,1]
	v_pk_fma_f16 v112, v16, v39, v112 op_sel:[0,1,0]
	v_pk_fma_f16 v111, v16, v40, v111 op_sel_hi:[1,0,1]
	v_pk_fma_f16 v16, v16, v40, v122 op_sel:[0,1,0]
	ds_load_b128 v[33:36], v97 offset:336
	ds_load_b128 v[37:40], v97 offset:1360
	s_waitcnt lgkmcnt(1)
	v_pk_fma_f16 v110, v17, v33, v110 op_sel_hi:[1,0,1]
	v_pk_fma_f16 v115, v17, v33, v115 op_sel:[0,1,0]
	v_pk_fma_f16 v117, v17, v34, v117 op_sel_hi:[1,0,1]
	v_pk_fma_f16 v116, v17, v34, v116 op_sel:[0,1,0]
	v_pk_fma_f16 v118, v17, v35, v118 op_sel_hi:[1,0,1]
	v_pk_fma_f16 v119, v17, v35, v119 op_sel:[0,1,0]
	v_pk_fma_f16 v120, v17, v36, v120 op_sel_hi:[1,0,1]
	v_pk_fma_f16 v41, v17, v36, v41 op_sel:[0,1,0]
	s_waitcnt lgkmcnt(0)
	v_pk_fma_f16 v121, v17, v37, v121 op_sel_hi:[1,0,1]
	v_pk_fma_f16 v42, v17, v37, v42 op_sel:[0,1,0]
	v_pk_fma_f16 v43, v17, v38, v43 op_sel_hi:[1,0,1]
	v_pk_fma_f16 v114, v17, v38, v114 op_sel:[0,1,0]
	v_pk_fma_f16 v113, v17, v39, v113 op_sel_hi:[1,0,1]
	v_pk_fma_f16 v112, v17, v39, v112 op_sel:[0,1,0]
	v_pk_fma_f16 v111, v17, v40, v111 op_sel_hi:[1,0,1]
	v_pk_fma_f16 v122, v17, v40, v16 op_sel:[0,1,0]
	ds_load_2addr_b32 v[16:17], v104 offset0:192 offset1:224
	ds_load_b128 v[33:36], v97 offset:352
	ds_load_b128 v[37:40], v97 offset:1376
	s_waitcnt lgkmcnt(1)
	v_pk_fma_f16 v110, v16, v33, v110 op_sel_hi:[1,0,1]
	v_pk_fma_f16 v115, v16, v33, v115 op_sel:[0,1,0]
	v_pk_fma_f16 v117, v16, v34, v117 op_sel_hi:[1,0,1]
	v_pk_fma_f16 v116, v16, v34, v116 op_sel:[0,1,0]
	;; [unrolled: 2-line block ×4, first 2 shown]
	s_waitcnt lgkmcnt(0)
	v_pk_fma_f16 v121, v16, v37, v121 op_sel_hi:[1,0,1]
	v_pk_fma_f16 v42, v16, v37, v42 op_sel:[0,1,0]
	v_pk_fma_f16 v43, v16, v38, v43 op_sel_hi:[1,0,1]
	v_pk_fma_f16 v114, v16, v38, v114 op_sel:[0,1,0]
	;; [unrolled: 2-line block ×4, first 2 shown]
	ds_load_b128 v[33:36], v97 offset:368
	ds_load_b128 v[37:40], v97 offset:1392
	s_waitcnt lgkmcnt(1)
	v_pk_fma_f16 v110, v17, v33, v110 op_sel_hi:[1,0,1]
	v_pk_fma_f16 v115, v17, v33, v115 op_sel:[0,1,0]
	v_pk_fma_f16 v117, v17, v34, v117 op_sel_hi:[1,0,1]
	v_pk_fma_f16 v116, v17, v34, v116 op_sel:[0,1,0]
	;; [unrolled: 2-line block ×4, first 2 shown]
	s_waitcnt lgkmcnt(0)
	v_pk_fma_f16 v121, v17, v37, v121 op_sel_hi:[1,0,1]
	v_pk_fma_f16 v42, v17, v37, v42 op_sel:[0,1,0]
	v_pk_fma_f16 v43, v17, v38, v43 op_sel_hi:[1,0,1]
	v_pk_fma_f16 v114, v17, v38, v114 op_sel:[0,1,0]
	;; [unrolled: 2-line block ×4, first 2 shown]
	ds_load_2addr_b32 v[16:17], v105 offset1:32
	ds_load_b128 v[33:36], v97 offset:384
	ds_load_b128 v[37:40], v97 offset:1408
	s_waitcnt lgkmcnt(1)
	v_pk_fma_f16 v110, v16, v33, v110 op_sel_hi:[1,0,1]
	v_pk_fma_f16 v115, v16, v33, v115 op_sel:[0,1,0]
	v_pk_fma_f16 v117, v16, v34, v117 op_sel_hi:[1,0,1]
	v_pk_fma_f16 v116, v16, v34, v116 op_sel:[0,1,0]
	v_pk_fma_f16 v118, v16, v35, v118 op_sel_hi:[1,0,1]
	v_pk_fma_f16 v119, v16, v35, v119 op_sel:[0,1,0]
	v_pk_fma_f16 v120, v16, v36, v120 op_sel_hi:[1,0,1]
	v_pk_fma_f16 v41, v16, v36, v41 op_sel:[0,1,0]
	s_waitcnt lgkmcnt(0)
	v_pk_fma_f16 v121, v16, v37, v121 op_sel_hi:[1,0,1]
	v_pk_fma_f16 v42, v16, v37, v42 op_sel:[0,1,0]
	v_pk_fma_f16 v43, v16, v38, v43 op_sel_hi:[1,0,1]
	v_pk_fma_f16 v114, v16, v38, v114 op_sel:[0,1,0]
	v_pk_fma_f16 v113, v16, v39, v113 op_sel_hi:[1,0,1]
	v_pk_fma_f16 v112, v16, v39, v112 op_sel:[0,1,0]
	v_pk_fma_f16 v111, v16, v40, v111 op_sel_hi:[1,0,1]
	v_pk_fma_f16 v16, v16, v40, v122 op_sel:[0,1,0]
	ds_load_b128 v[33:36], v97 offset:400
	ds_load_b128 v[37:40], v97 offset:1424
	s_waitcnt lgkmcnt(1)
	v_pk_fma_f16 v110, v17, v33, v110 op_sel_hi:[1,0,1]
	v_pk_fma_f16 v115, v17, v33, v115 op_sel:[0,1,0]
	v_pk_fma_f16 v117, v17, v34, v117 op_sel_hi:[1,0,1]
	v_pk_fma_f16 v116, v17, v34, v116 op_sel:[0,1,0]
	v_pk_fma_f16 v118, v17, v35, v118 op_sel_hi:[1,0,1]
	v_pk_fma_f16 v119, v17, v35, v119 op_sel:[0,1,0]
	v_pk_fma_f16 v120, v17, v36, v120 op_sel_hi:[1,0,1]
	v_pk_fma_f16 v41, v17, v36, v41 op_sel:[0,1,0]
	s_waitcnt lgkmcnt(0)
	v_pk_fma_f16 v121, v17, v37, v121 op_sel_hi:[1,0,1]
	v_pk_fma_f16 v42, v17, v37, v42 op_sel:[0,1,0]
	v_pk_fma_f16 v43, v17, v38, v43 op_sel_hi:[1,0,1]
	v_pk_fma_f16 v114, v17, v38, v114 op_sel:[0,1,0]
	v_pk_fma_f16 v113, v17, v39, v113 op_sel_hi:[1,0,1]
	v_pk_fma_f16 v112, v17, v39, v112 op_sel:[0,1,0]
	v_pk_fma_f16 v111, v17, v40, v111 op_sel_hi:[1,0,1]
	v_pk_fma_f16 v122, v17, v40, v16 op_sel:[0,1,0]
	ds_load_2addr_b32 v[16:17], v105 offset0:64 offset1:96
	ds_load_b128 v[33:36], v97 offset:416
	ds_load_b128 v[37:40], v97 offset:1440
	s_waitcnt lgkmcnt(1)
	v_pk_fma_f16 v110, v16, v33, v110 op_sel_hi:[1,0,1]
	v_pk_fma_f16 v115, v16, v33, v115 op_sel:[0,1,0]
	v_pk_fma_f16 v117, v16, v34, v117 op_sel_hi:[1,0,1]
	v_pk_fma_f16 v116, v16, v34, v116 op_sel:[0,1,0]
	v_pk_fma_f16 v118, v16, v35, v118 op_sel_hi:[1,0,1]
	v_pk_fma_f16 v119, v16, v35, v119 op_sel:[0,1,0]
	v_pk_fma_f16 v120, v16, v36, v120 op_sel_hi:[1,0,1]
	v_pk_fma_f16 v41, v16, v36, v41 op_sel:[0,1,0]
	s_waitcnt lgkmcnt(0)
	v_pk_fma_f16 v121, v16, v37, v121 op_sel_hi:[1,0,1]
	v_pk_fma_f16 v42, v16, v37, v42 op_sel:[0,1,0]
	v_pk_fma_f16 v43, v16, v38, v43 op_sel_hi:[1,0,1]
	v_pk_fma_f16 v114, v16, v38, v114 op_sel:[0,1,0]
	v_pk_fma_f16 v113, v16, v39, v113 op_sel_hi:[1,0,1]
	v_pk_fma_f16 v112, v16, v39, v112 op_sel:[0,1,0]
	v_pk_fma_f16 v111, v16, v40, v111 op_sel_hi:[1,0,1]
	v_pk_fma_f16 v16, v16, v40, v122 op_sel:[0,1,0]
	ds_load_b128 v[33:36], v97 offset:432
	ds_load_b128 v[37:40], v97 offset:1456
	s_waitcnt lgkmcnt(1)
	v_pk_fma_f16 v110, v17, v33, v110 op_sel_hi:[1,0,1]
	v_pk_fma_f16 v115, v17, v33, v115 op_sel:[0,1,0]
	v_pk_fma_f16 v117, v17, v34, v117 op_sel_hi:[1,0,1]
	v_pk_fma_f16 v116, v17, v34, v116 op_sel:[0,1,0]
	v_pk_fma_f16 v118, v17, v35, v118 op_sel_hi:[1,0,1]
	v_pk_fma_f16 v119, v17, v35, v119 op_sel:[0,1,0]
	v_pk_fma_f16 v120, v17, v36, v120 op_sel_hi:[1,0,1]
	v_pk_fma_f16 v41, v17, v36, v41 op_sel:[0,1,0]
	s_waitcnt lgkmcnt(0)
	v_pk_fma_f16 v121, v17, v37, v121 op_sel_hi:[1,0,1]
	v_pk_fma_f16 v42, v17, v37, v42 op_sel:[0,1,0]
	v_pk_fma_f16 v43, v17, v38, v43 op_sel_hi:[1,0,1]
	v_pk_fma_f16 v114, v17, v38, v114 op_sel:[0,1,0]
	v_pk_fma_f16 v113, v17, v39, v113 op_sel_hi:[1,0,1]
	v_pk_fma_f16 v112, v17, v39, v112 op_sel:[0,1,0]
	v_pk_fma_f16 v111, v17, v40, v111 op_sel_hi:[1,0,1]
	v_pk_fma_f16 v122, v17, v40, v16 op_sel:[0,1,0]
	ds_load_2addr_b32 v[16:17], v105 offset0:128 offset1:160
	;; [unrolled: 41-line block ×3, first 2 shown]
	ds_load_b128 v[33:36], v97 offset:480
	ds_load_b128 v[37:40], v97 offset:1504
	s_waitcnt lgkmcnt(1)
	v_pk_fma_f16 v110, v16, v33, v110 op_sel_hi:[1,0,1]
	v_pk_fma_f16 v115, v16, v33, v115 op_sel:[0,1,0]
	v_pk_fma_f16 v117, v16, v34, v117 op_sel_hi:[1,0,1]
	v_pk_fma_f16 v116, v16, v34, v116 op_sel:[0,1,0]
	;; [unrolled: 2-line block ×4, first 2 shown]
	s_waitcnt lgkmcnt(0)
	v_pk_fma_f16 v121, v16, v37, v121 op_sel_hi:[1,0,1]
	v_pk_fma_f16 v42, v16, v37, v42 op_sel:[0,1,0]
	v_pk_fma_f16 v43, v16, v38, v43 op_sel_hi:[1,0,1]
	v_pk_fma_f16 v114, v16, v38, v114 op_sel:[0,1,0]
	;; [unrolled: 2-line block ×4, first 2 shown]
	ds_load_b128 v[33:36], v97 offset:496
	ds_load_b128 v[37:40], v97 offset:1520
	s_waitcnt lgkmcnt(1)
	v_pk_fma_f16 v110, v17, v33, v110 op_sel_hi:[1,0,1]
	v_pk_fma_f16 v115, v17, v33, v115 op_sel:[0,1,0]
	v_pk_fma_f16 v117, v17, v34, v117 op_sel_hi:[1,0,1]
	v_pk_fma_f16 v116, v17, v34, v116 op_sel:[0,1,0]
	;; [unrolled: 2-line block ×4, first 2 shown]
	s_waitcnt lgkmcnt(0)
	v_pk_fma_f16 v121, v17, v37, v121 op_sel_hi:[1,0,1]
	v_pk_fma_f16 v42, v17, v37, v42 op_sel:[0,1,0]
	v_pk_fma_f16 v43, v17, v38, v43 op_sel_hi:[1,0,1]
	v_pk_fma_f16 v114, v17, v38, v114 op_sel:[0,1,0]
	;; [unrolled: 2-line block ×4, first 2 shown]
	ds_load_2addr_b32 v[16:17], v106 offset1:32
	ds_load_b128 v[33:36], v97 offset:512
	ds_load_b128 v[37:40], v97 offset:1536
	s_waitcnt lgkmcnt(1)
	v_pk_fma_f16 v110, v16, v33, v110 op_sel_hi:[1,0,1]
	v_pk_fma_f16 v115, v16, v33, v115 op_sel:[0,1,0]
	v_pk_fma_f16 v117, v16, v34, v117 op_sel_hi:[1,0,1]
	v_pk_fma_f16 v116, v16, v34, v116 op_sel:[0,1,0]
	v_pk_fma_f16 v118, v16, v35, v118 op_sel_hi:[1,0,1]
	v_pk_fma_f16 v119, v16, v35, v119 op_sel:[0,1,0]
	v_pk_fma_f16 v120, v16, v36, v120 op_sel_hi:[1,0,1]
	v_pk_fma_f16 v41, v16, v36, v41 op_sel:[0,1,0]
	s_waitcnt lgkmcnt(0)
	v_pk_fma_f16 v121, v16, v37, v121 op_sel_hi:[1,0,1]
	v_pk_fma_f16 v42, v16, v37, v42 op_sel:[0,1,0]
	v_pk_fma_f16 v43, v16, v38, v43 op_sel_hi:[1,0,1]
	v_pk_fma_f16 v114, v16, v38, v114 op_sel:[0,1,0]
	v_pk_fma_f16 v113, v16, v39, v113 op_sel_hi:[1,0,1]
	v_pk_fma_f16 v112, v16, v39, v112 op_sel:[0,1,0]
	v_pk_fma_f16 v111, v16, v40, v111 op_sel_hi:[1,0,1]
	v_pk_fma_f16 v16, v16, v40, v122 op_sel:[0,1,0]
	ds_load_b128 v[33:36], v97 offset:528
	ds_load_b128 v[37:40], v97 offset:1552
	s_waitcnt lgkmcnt(1)
	v_pk_fma_f16 v110, v17, v33, v110 op_sel_hi:[1,0,1]
	v_pk_fma_f16 v115, v17, v33, v115 op_sel:[0,1,0]
	v_pk_fma_f16 v117, v17, v34, v117 op_sel_hi:[1,0,1]
	v_pk_fma_f16 v116, v17, v34, v116 op_sel:[0,1,0]
	v_pk_fma_f16 v118, v17, v35, v118 op_sel_hi:[1,0,1]
	v_pk_fma_f16 v119, v17, v35, v119 op_sel:[0,1,0]
	v_pk_fma_f16 v120, v17, v36, v120 op_sel_hi:[1,0,1]
	v_pk_fma_f16 v41, v17, v36, v41 op_sel:[0,1,0]
	s_waitcnt lgkmcnt(0)
	v_pk_fma_f16 v121, v17, v37, v121 op_sel_hi:[1,0,1]
	v_pk_fma_f16 v42, v17, v37, v42 op_sel:[0,1,0]
	v_pk_fma_f16 v43, v17, v38, v43 op_sel_hi:[1,0,1]
	v_pk_fma_f16 v114, v17, v38, v114 op_sel:[0,1,0]
	v_pk_fma_f16 v113, v17, v39, v113 op_sel_hi:[1,0,1]
	v_pk_fma_f16 v112, v17, v39, v112 op_sel:[0,1,0]
	v_pk_fma_f16 v111, v17, v40, v111 op_sel_hi:[1,0,1]
	v_pk_fma_f16 v122, v17, v40, v16 op_sel:[0,1,0]
	ds_load_2addr_b32 v[16:17], v106 offset0:64 offset1:96
	ds_load_b128 v[33:36], v97 offset:544
	ds_load_b128 v[37:40], v97 offset:1568
	s_waitcnt lgkmcnt(1)
	v_pk_fma_f16 v110, v16, v33, v110 op_sel_hi:[1,0,1]
	v_pk_fma_f16 v115, v16, v33, v115 op_sel:[0,1,0]
	v_pk_fma_f16 v117, v16, v34, v117 op_sel_hi:[1,0,1]
	v_pk_fma_f16 v116, v16, v34, v116 op_sel:[0,1,0]
	v_pk_fma_f16 v118, v16, v35, v118 op_sel_hi:[1,0,1]
	v_pk_fma_f16 v119, v16, v35, v119 op_sel:[0,1,0]
	v_pk_fma_f16 v120, v16, v36, v120 op_sel_hi:[1,0,1]
	v_pk_fma_f16 v41, v16, v36, v41 op_sel:[0,1,0]
	s_waitcnt lgkmcnt(0)
	v_pk_fma_f16 v121, v16, v37, v121 op_sel_hi:[1,0,1]
	v_pk_fma_f16 v42, v16, v37, v42 op_sel:[0,1,0]
	v_pk_fma_f16 v43, v16, v38, v43 op_sel_hi:[1,0,1]
	v_pk_fma_f16 v114, v16, v38, v114 op_sel:[0,1,0]
	v_pk_fma_f16 v113, v16, v39, v113 op_sel_hi:[1,0,1]
	v_pk_fma_f16 v112, v16, v39, v112 op_sel:[0,1,0]
	v_pk_fma_f16 v111, v16, v40, v111 op_sel_hi:[1,0,1]
	v_pk_fma_f16 v16, v16, v40, v122 op_sel:[0,1,0]
	ds_load_b128 v[33:36], v97 offset:560
	ds_load_b128 v[37:40], v97 offset:1584
	s_waitcnt lgkmcnt(1)
	v_pk_fma_f16 v110, v17, v33, v110 op_sel_hi:[1,0,1]
	v_pk_fma_f16 v115, v17, v33, v115 op_sel:[0,1,0]
	v_pk_fma_f16 v117, v17, v34, v117 op_sel_hi:[1,0,1]
	v_pk_fma_f16 v116, v17, v34, v116 op_sel:[0,1,0]
	v_pk_fma_f16 v118, v17, v35, v118 op_sel_hi:[1,0,1]
	v_pk_fma_f16 v119, v17, v35, v119 op_sel:[0,1,0]
	v_pk_fma_f16 v120, v17, v36, v120 op_sel_hi:[1,0,1]
	v_pk_fma_f16 v41, v17, v36, v41 op_sel:[0,1,0]
	s_waitcnt lgkmcnt(0)
	v_pk_fma_f16 v121, v17, v37, v121 op_sel_hi:[1,0,1]
	v_pk_fma_f16 v42, v17, v37, v42 op_sel:[0,1,0]
	v_pk_fma_f16 v43, v17, v38, v43 op_sel_hi:[1,0,1]
	v_pk_fma_f16 v114, v17, v38, v114 op_sel:[0,1,0]
	v_pk_fma_f16 v113, v17, v39, v113 op_sel_hi:[1,0,1]
	v_pk_fma_f16 v112, v17, v39, v112 op_sel:[0,1,0]
	v_pk_fma_f16 v111, v17, v40, v111 op_sel_hi:[1,0,1]
	v_pk_fma_f16 v122, v17, v40, v16 op_sel:[0,1,0]
	ds_load_2addr_b32 v[16:17], v106 offset0:128 offset1:160
	;; [unrolled: 41-line block ×3, first 2 shown]
	ds_load_b128 v[33:36], v97 offset:608
	ds_load_b128 v[37:40], v97 offset:1632
	s_waitcnt lgkmcnt(1)
	v_pk_fma_f16 v110, v16, v33, v110 op_sel_hi:[1,0,1]
	v_pk_fma_f16 v115, v16, v33, v115 op_sel:[0,1,0]
	v_pk_fma_f16 v117, v16, v34, v117 op_sel_hi:[1,0,1]
	v_pk_fma_f16 v116, v16, v34, v116 op_sel:[0,1,0]
	;; [unrolled: 2-line block ×4, first 2 shown]
	s_waitcnt lgkmcnt(0)
	v_pk_fma_f16 v121, v16, v37, v121 op_sel_hi:[1,0,1]
	v_pk_fma_f16 v42, v16, v37, v42 op_sel:[0,1,0]
	v_pk_fma_f16 v43, v16, v38, v43 op_sel_hi:[1,0,1]
	v_pk_fma_f16 v114, v16, v38, v114 op_sel:[0,1,0]
	;; [unrolled: 2-line block ×4, first 2 shown]
	ds_load_b128 v[33:36], v97 offset:624
	ds_load_b128 v[37:40], v97 offset:1648
	s_waitcnt lgkmcnt(1)
	v_pk_fma_f16 v110, v17, v33, v110 op_sel_hi:[1,0,1]
	v_pk_fma_f16 v115, v17, v33, v115 op_sel:[0,1,0]
	v_pk_fma_f16 v117, v17, v34, v117 op_sel_hi:[1,0,1]
	v_pk_fma_f16 v116, v17, v34, v116 op_sel:[0,1,0]
	;; [unrolled: 2-line block ×4, first 2 shown]
	s_waitcnt lgkmcnt(0)
	v_pk_fma_f16 v121, v17, v37, v121 op_sel_hi:[1,0,1]
	v_pk_fma_f16 v42, v17, v37, v42 op_sel:[0,1,0]
	v_pk_fma_f16 v43, v17, v38, v43 op_sel_hi:[1,0,1]
	v_pk_fma_f16 v114, v17, v38, v114 op_sel:[0,1,0]
	;; [unrolled: 2-line block ×4, first 2 shown]
	ds_load_2addr_b32 v[16:17], v107 offset1:32
	ds_load_b128 v[33:36], v97 offset:640
	ds_load_b128 v[37:40], v97 offset:1664
	s_waitcnt lgkmcnt(1)
	v_pk_fma_f16 v110, v16, v33, v110 op_sel_hi:[1,0,1]
	v_pk_fma_f16 v115, v16, v33, v115 op_sel:[0,1,0]
	v_pk_fma_f16 v117, v16, v34, v117 op_sel_hi:[1,0,1]
	v_pk_fma_f16 v116, v16, v34, v116 op_sel:[0,1,0]
	v_pk_fma_f16 v118, v16, v35, v118 op_sel_hi:[1,0,1]
	v_pk_fma_f16 v119, v16, v35, v119 op_sel:[0,1,0]
	v_pk_fma_f16 v120, v16, v36, v120 op_sel_hi:[1,0,1]
	v_pk_fma_f16 v41, v16, v36, v41 op_sel:[0,1,0]
	s_waitcnt lgkmcnt(0)
	v_pk_fma_f16 v121, v16, v37, v121 op_sel_hi:[1,0,1]
	v_pk_fma_f16 v42, v16, v37, v42 op_sel:[0,1,0]
	v_pk_fma_f16 v43, v16, v38, v43 op_sel_hi:[1,0,1]
	v_pk_fma_f16 v114, v16, v38, v114 op_sel:[0,1,0]
	v_pk_fma_f16 v113, v16, v39, v113 op_sel_hi:[1,0,1]
	v_pk_fma_f16 v112, v16, v39, v112 op_sel:[0,1,0]
	v_pk_fma_f16 v111, v16, v40, v111 op_sel_hi:[1,0,1]
	v_pk_fma_f16 v16, v16, v40, v122 op_sel:[0,1,0]
	ds_load_b128 v[33:36], v97 offset:656
	ds_load_b128 v[37:40], v97 offset:1680
	s_waitcnt lgkmcnt(1)
	v_pk_fma_f16 v110, v17, v33, v110 op_sel_hi:[1,0,1]
	v_pk_fma_f16 v115, v17, v33, v115 op_sel:[0,1,0]
	v_pk_fma_f16 v117, v17, v34, v117 op_sel_hi:[1,0,1]
	v_pk_fma_f16 v116, v17, v34, v116 op_sel:[0,1,0]
	v_pk_fma_f16 v118, v17, v35, v118 op_sel_hi:[1,0,1]
	v_pk_fma_f16 v119, v17, v35, v119 op_sel:[0,1,0]
	v_pk_fma_f16 v120, v17, v36, v120 op_sel_hi:[1,0,1]
	v_pk_fma_f16 v41, v17, v36, v41 op_sel:[0,1,0]
	s_waitcnt lgkmcnt(0)
	v_pk_fma_f16 v121, v17, v37, v121 op_sel_hi:[1,0,1]
	v_pk_fma_f16 v42, v17, v37, v42 op_sel:[0,1,0]
	v_pk_fma_f16 v43, v17, v38, v43 op_sel_hi:[1,0,1]
	v_pk_fma_f16 v114, v17, v38, v114 op_sel:[0,1,0]
	v_pk_fma_f16 v113, v17, v39, v113 op_sel_hi:[1,0,1]
	v_pk_fma_f16 v112, v17, v39, v112 op_sel:[0,1,0]
	v_pk_fma_f16 v111, v17, v40, v111 op_sel_hi:[1,0,1]
	v_pk_fma_f16 v122, v17, v40, v16 op_sel:[0,1,0]
	ds_load_2addr_b32 v[16:17], v107 offset0:64 offset1:96
	ds_load_b128 v[33:36], v97 offset:672
	ds_load_b128 v[37:40], v97 offset:1696
	s_waitcnt lgkmcnt(1)
	v_pk_fma_f16 v110, v16, v33, v110 op_sel_hi:[1,0,1]
	v_pk_fma_f16 v115, v16, v33, v115 op_sel:[0,1,0]
	v_pk_fma_f16 v117, v16, v34, v117 op_sel_hi:[1,0,1]
	v_pk_fma_f16 v116, v16, v34, v116 op_sel:[0,1,0]
	v_pk_fma_f16 v118, v16, v35, v118 op_sel_hi:[1,0,1]
	v_pk_fma_f16 v119, v16, v35, v119 op_sel:[0,1,0]
	v_pk_fma_f16 v120, v16, v36, v120 op_sel_hi:[1,0,1]
	v_pk_fma_f16 v41, v16, v36, v41 op_sel:[0,1,0]
	s_waitcnt lgkmcnt(0)
	v_pk_fma_f16 v121, v16, v37, v121 op_sel_hi:[1,0,1]
	v_pk_fma_f16 v42, v16, v37, v42 op_sel:[0,1,0]
	v_pk_fma_f16 v43, v16, v38, v43 op_sel_hi:[1,0,1]
	v_pk_fma_f16 v114, v16, v38, v114 op_sel:[0,1,0]
	v_pk_fma_f16 v113, v16, v39, v113 op_sel_hi:[1,0,1]
	v_pk_fma_f16 v112, v16, v39, v112 op_sel:[0,1,0]
	v_pk_fma_f16 v111, v16, v40, v111 op_sel_hi:[1,0,1]
	v_pk_fma_f16 v16, v16, v40, v122 op_sel:[0,1,0]
	ds_load_b128 v[33:36], v97 offset:688
	ds_load_b128 v[37:40], v97 offset:1712
	s_waitcnt lgkmcnt(1)
	v_pk_fma_f16 v110, v17, v33, v110 op_sel_hi:[1,0,1]
	v_pk_fma_f16 v115, v17, v33, v115 op_sel:[0,1,0]
	v_pk_fma_f16 v117, v17, v34, v117 op_sel_hi:[1,0,1]
	v_pk_fma_f16 v116, v17, v34, v116 op_sel:[0,1,0]
	v_pk_fma_f16 v118, v17, v35, v118 op_sel_hi:[1,0,1]
	v_pk_fma_f16 v119, v17, v35, v119 op_sel:[0,1,0]
	v_pk_fma_f16 v120, v17, v36, v120 op_sel_hi:[1,0,1]
	v_pk_fma_f16 v41, v17, v36, v41 op_sel:[0,1,0]
	s_waitcnt lgkmcnt(0)
	v_pk_fma_f16 v121, v17, v37, v121 op_sel_hi:[1,0,1]
	v_pk_fma_f16 v42, v17, v37, v42 op_sel:[0,1,0]
	v_pk_fma_f16 v43, v17, v38, v43 op_sel_hi:[1,0,1]
	v_pk_fma_f16 v114, v17, v38, v114 op_sel:[0,1,0]
	v_pk_fma_f16 v113, v17, v39, v113 op_sel_hi:[1,0,1]
	v_pk_fma_f16 v112, v17, v39, v112 op_sel:[0,1,0]
	v_pk_fma_f16 v111, v17, v40, v111 op_sel_hi:[1,0,1]
	v_pk_fma_f16 v122, v17, v40, v16 op_sel:[0,1,0]
	ds_load_2addr_b32 v[16:17], v107 offset0:128 offset1:160
	;; [unrolled: 41-line block ×3, first 2 shown]
	ds_load_b128 v[33:36], v97 offset:736
	ds_load_b128 v[37:40], v97 offset:1760
	s_waitcnt lgkmcnt(1)
	v_pk_fma_f16 v110, v16, v33, v110 op_sel_hi:[1,0,1]
	v_pk_fma_f16 v115, v16, v33, v115 op_sel:[0,1,0]
	v_pk_fma_f16 v117, v16, v34, v117 op_sel_hi:[1,0,1]
	v_pk_fma_f16 v116, v16, v34, v116 op_sel:[0,1,0]
	;; [unrolled: 2-line block ×4, first 2 shown]
	s_waitcnt lgkmcnt(0)
	v_pk_fma_f16 v121, v16, v37, v121 op_sel_hi:[1,0,1]
	v_pk_fma_f16 v42, v16, v37, v42 op_sel:[0,1,0]
	v_pk_fma_f16 v43, v16, v38, v43 op_sel_hi:[1,0,1]
	v_pk_fma_f16 v114, v16, v38, v114 op_sel:[0,1,0]
	;; [unrolled: 2-line block ×4, first 2 shown]
	ds_load_b128 v[33:36], v97 offset:752
	ds_load_b128 v[37:40], v97 offset:1776
	s_waitcnt lgkmcnt(1)
	v_pk_fma_f16 v110, v17, v33, v110 op_sel_hi:[1,0,1]
	v_pk_fma_f16 v115, v17, v33, v115 op_sel:[0,1,0]
	v_pk_fma_f16 v117, v17, v34, v117 op_sel_hi:[1,0,1]
	v_pk_fma_f16 v116, v17, v34, v116 op_sel:[0,1,0]
	;; [unrolled: 2-line block ×4, first 2 shown]
	s_waitcnt lgkmcnt(0)
	v_pk_fma_f16 v121, v17, v37, v121 op_sel_hi:[1,0,1]
	v_pk_fma_f16 v42, v17, v37, v42 op_sel:[0,1,0]
	v_pk_fma_f16 v43, v17, v38, v43 op_sel_hi:[1,0,1]
	v_pk_fma_f16 v114, v17, v38, v114 op_sel:[0,1,0]
	;; [unrolled: 2-line block ×4, first 2 shown]
	ds_load_2addr_b32 v[16:17], v108 offset1:32
	ds_load_b128 v[33:36], v97 offset:768
	ds_load_b128 v[37:40], v97 offset:1792
	s_waitcnt lgkmcnt(1)
	v_pk_fma_f16 v110, v16, v33, v110 op_sel_hi:[1,0,1]
	v_pk_fma_f16 v115, v16, v33, v115 op_sel:[0,1,0]
	v_pk_fma_f16 v117, v16, v34, v117 op_sel_hi:[1,0,1]
	v_pk_fma_f16 v116, v16, v34, v116 op_sel:[0,1,0]
	v_pk_fma_f16 v118, v16, v35, v118 op_sel_hi:[1,0,1]
	v_pk_fma_f16 v119, v16, v35, v119 op_sel:[0,1,0]
	v_pk_fma_f16 v120, v16, v36, v120 op_sel_hi:[1,0,1]
	v_pk_fma_f16 v41, v16, v36, v41 op_sel:[0,1,0]
	s_waitcnt lgkmcnt(0)
	v_pk_fma_f16 v121, v16, v37, v121 op_sel_hi:[1,0,1]
	v_pk_fma_f16 v42, v16, v37, v42 op_sel:[0,1,0]
	v_pk_fma_f16 v43, v16, v38, v43 op_sel_hi:[1,0,1]
	v_pk_fma_f16 v114, v16, v38, v114 op_sel:[0,1,0]
	v_pk_fma_f16 v113, v16, v39, v113 op_sel_hi:[1,0,1]
	v_pk_fma_f16 v112, v16, v39, v112 op_sel:[0,1,0]
	v_pk_fma_f16 v111, v16, v40, v111 op_sel_hi:[1,0,1]
	v_pk_fma_f16 v16, v16, v40, v122 op_sel:[0,1,0]
	ds_load_b128 v[33:36], v97 offset:784
	ds_load_b128 v[37:40], v97 offset:1808
	s_waitcnt lgkmcnt(1)
	v_pk_fma_f16 v110, v17, v33, v110 op_sel_hi:[1,0,1]
	v_pk_fma_f16 v115, v17, v33, v115 op_sel:[0,1,0]
	v_pk_fma_f16 v117, v17, v34, v117 op_sel_hi:[1,0,1]
	v_pk_fma_f16 v116, v17, v34, v116 op_sel:[0,1,0]
	v_pk_fma_f16 v118, v17, v35, v118 op_sel_hi:[1,0,1]
	v_pk_fma_f16 v119, v17, v35, v119 op_sel:[0,1,0]
	v_pk_fma_f16 v120, v17, v36, v120 op_sel_hi:[1,0,1]
	v_pk_fma_f16 v41, v17, v36, v41 op_sel:[0,1,0]
	s_waitcnt lgkmcnt(0)
	v_pk_fma_f16 v121, v17, v37, v121 op_sel_hi:[1,0,1]
	v_pk_fma_f16 v42, v17, v37, v42 op_sel:[0,1,0]
	v_pk_fma_f16 v43, v17, v38, v43 op_sel_hi:[1,0,1]
	v_pk_fma_f16 v114, v17, v38, v114 op_sel:[0,1,0]
	v_pk_fma_f16 v113, v17, v39, v113 op_sel_hi:[1,0,1]
	v_pk_fma_f16 v112, v17, v39, v112 op_sel:[0,1,0]
	v_pk_fma_f16 v111, v17, v40, v111 op_sel_hi:[1,0,1]
	v_pk_fma_f16 v122, v17, v40, v16 op_sel:[0,1,0]
	ds_load_2addr_b32 v[16:17], v108 offset0:64 offset1:96
	ds_load_b128 v[33:36], v97 offset:800
	ds_load_b128 v[37:40], v97 offset:1824
	s_waitcnt lgkmcnt(1)
	v_pk_fma_f16 v110, v16, v33, v110 op_sel_hi:[1,0,1]
	v_pk_fma_f16 v115, v16, v33, v115 op_sel:[0,1,0]
	v_pk_fma_f16 v117, v16, v34, v117 op_sel_hi:[1,0,1]
	v_pk_fma_f16 v116, v16, v34, v116 op_sel:[0,1,0]
	v_pk_fma_f16 v118, v16, v35, v118 op_sel_hi:[1,0,1]
	v_pk_fma_f16 v119, v16, v35, v119 op_sel:[0,1,0]
	v_pk_fma_f16 v120, v16, v36, v120 op_sel_hi:[1,0,1]
	v_pk_fma_f16 v41, v16, v36, v41 op_sel:[0,1,0]
	s_waitcnt lgkmcnt(0)
	v_pk_fma_f16 v121, v16, v37, v121 op_sel_hi:[1,0,1]
	v_pk_fma_f16 v42, v16, v37, v42 op_sel:[0,1,0]
	v_pk_fma_f16 v43, v16, v38, v43 op_sel_hi:[1,0,1]
	v_pk_fma_f16 v114, v16, v38, v114 op_sel:[0,1,0]
	v_pk_fma_f16 v113, v16, v39, v113 op_sel_hi:[1,0,1]
	v_pk_fma_f16 v112, v16, v39, v112 op_sel:[0,1,0]
	v_pk_fma_f16 v111, v16, v40, v111 op_sel_hi:[1,0,1]
	v_pk_fma_f16 v16, v16, v40, v122 op_sel:[0,1,0]
	ds_load_b128 v[33:36], v97 offset:816
	ds_load_b128 v[37:40], v97 offset:1840
	s_waitcnt lgkmcnt(1)
	v_pk_fma_f16 v110, v17, v33, v110 op_sel_hi:[1,0,1]
	v_pk_fma_f16 v115, v17, v33, v115 op_sel:[0,1,0]
	v_pk_fma_f16 v117, v17, v34, v117 op_sel_hi:[1,0,1]
	v_pk_fma_f16 v116, v17, v34, v116 op_sel:[0,1,0]
	v_pk_fma_f16 v118, v17, v35, v118 op_sel_hi:[1,0,1]
	v_pk_fma_f16 v119, v17, v35, v119 op_sel:[0,1,0]
	v_pk_fma_f16 v120, v17, v36, v120 op_sel_hi:[1,0,1]
	v_pk_fma_f16 v41, v17, v36, v41 op_sel:[0,1,0]
	s_waitcnt lgkmcnt(0)
	v_pk_fma_f16 v121, v17, v37, v121 op_sel_hi:[1,0,1]
	v_pk_fma_f16 v42, v17, v37, v42 op_sel:[0,1,0]
	v_pk_fma_f16 v43, v17, v38, v43 op_sel_hi:[1,0,1]
	v_pk_fma_f16 v114, v17, v38, v114 op_sel:[0,1,0]
	v_pk_fma_f16 v113, v17, v39, v113 op_sel_hi:[1,0,1]
	v_pk_fma_f16 v112, v17, v39, v112 op_sel:[0,1,0]
	v_pk_fma_f16 v111, v17, v40, v111 op_sel_hi:[1,0,1]
	v_pk_fma_f16 v122, v17, v40, v16 op_sel:[0,1,0]
	ds_load_2addr_b32 v[16:17], v108 offset0:128 offset1:160
	;; [unrolled: 41-line block ×3, first 2 shown]
	ds_load_b128 v[33:36], v97 offset:864
	ds_load_b128 v[37:40], v97 offset:1888
	s_waitcnt lgkmcnt(1)
	v_pk_fma_f16 v110, v16, v33, v110 op_sel_hi:[1,0,1]
	v_pk_fma_f16 v115, v16, v33, v115 op_sel:[0,1,0]
	v_pk_fma_f16 v117, v16, v34, v117 op_sel_hi:[1,0,1]
	v_pk_fma_f16 v116, v16, v34, v116 op_sel:[0,1,0]
	;; [unrolled: 2-line block ×4, first 2 shown]
	s_waitcnt lgkmcnt(0)
	v_pk_fma_f16 v121, v16, v37, v121 op_sel_hi:[1,0,1]
	v_pk_fma_f16 v42, v16, v37, v42 op_sel:[0,1,0]
	v_pk_fma_f16 v43, v16, v38, v43 op_sel_hi:[1,0,1]
	v_pk_fma_f16 v114, v16, v38, v114 op_sel:[0,1,0]
	;; [unrolled: 2-line block ×4, first 2 shown]
	ds_load_b128 v[33:36], v97 offset:880
	ds_load_b128 v[37:40], v97 offset:1904
	s_waitcnt lgkmcnt(1)
	v_pk_fma_f16 v110, v17, v33, v110 op_sel_hi:[1,0,1]
	v_pk_fma_f16 v115, v17, v33, v115 op_sel:[0,1,0]
	v_pk_fma_f16 v117, v17, v34, v117 op_sel_hi:[1,0,1]
	v_pk_fma_f16 v116, v17, v34, v116 op_sel:[0,1,0]
	;; [unrolled: 2-line block ×4, first 2 shown]
	s_waitcnt lgkmcnt(0)
	v_pk_fma_f16 v121, v17, v37, v121 op_sel_hi:[1,0,1]
	v_pk_fma_f16 v42, v17, v37, v42 op_sel:[0,1,0]
	v_pk_fma_f16 v43, v17, v38, v43 op_sel_hi:[1,0,1]
	v_pk_fma_f16 v114, v17, v38, v114 op_sel:[0,1,0]
	;; [unrolled: 2-line block ×4, first 2 shown]
	ds_load_2addr_b32 v[16:17], v109 offset1:32
	ds_load_b128 v[33:36], v97 offset:896
	ds_load_b128 v[37:40], v97 offset:1920
	s_waitcnt lgkmcnt(1)
	v_pk_fma_f16 v110, v16, v33, v110 op_sel_hi:[1,0,1]
	v_pk_fma_f16 v115, v16, v33, v115 op_sel:[0,1,0]
	v_pk_fma_f16 v117, v16, v34, v117 op_sel_hi:[1,0,1]
	v_pk_fma_f16 v116, v16, v34, v116 op_sel:[0,1,0]
	v_pk_fma_f16 v118, v16, v35, v118 op_sel_hi:[1,0,1]
	v_pk_fma_f16 v119, v16, v35, v119 op_sel:[0,1,0]
	v_pk_fma_f16 v120, v16, v36, v120 op_sel_hi:[1,0,1]
	v_pk_fma_f16 v41, v16, v36, v41 op_sel:[0,1,0]
	s_waitcnt lgkmcnt(0)
	v_pk_fma_f16 v121, v16, v37, v121 op_sel_hi:[1,0,1]
	v_pk_fma_f16 v42, v16, v37, v42 op_sel:[0,1,0]
	v_pk_fma_f16 v43, v16, v38, v43 op_sel_hi:[1,0,1]
	v_pk_fma_f16 v114, v16, v38, v114 op_sel:[0,1,0]
	v_pk_fma_f16 v113, v16, v39, v113 op_sel_hi:[1,0,1]
	v_pk_fma_f16 v112, v16, v39, v112 op_sel:[0,1,0]
	v_pk_fma_f16 v111, v16, v40, v111 op_sel_hi:[1,0,1]
	v_pk_fma_f16 v16, v16, v40, v122 op_sel:[0,1,0]
	ds_load_b128 v[33:36], v97 offset:912
	ds_load_b128 v[37:40], v97 offset:1936
	s_waitcnt lgkmcnt(1)
	v_pk_fma_f16 v110, v17, v33, v110 op_sel_hi:[1,0,1]
	v_pk_fma_f16 v115, v17, v33, v115 op_sel:[0,1,0]
	v_pk_fma_f16 v117, v17, v34, v117 op_sel_hi:[1,0,1]
	v_pk_fma_f16 v116, v17, v34, v116 op_sel:[0,1,0]
	v_pk_fma_f16 v118, v17, v35, v118 op_sel_hi:[1,0,1]
	v_pk_fma_f16 v119, v17, v35, v119 op_sel:[0,1,0]
	v_pk_fma_f16 v120, v17, v36, v120 op_sel_hi:[1,0,1]
	v_pk_fma_f16 v41, v17, v36, v41 op_sel:[0,1,0]
	s_waitcnt lgkmcnt(0)
	v_pk_fma_f16 v121, v17, v37, v121 op_sel_hi:[1,0,1]
	v_pk_fma_f16 v42, v17, v37, v42 op_sel:[0,1,0]
	v_pk_fma_f16 v43, v17, v38, v43 op_sel_hi:[1,0,1]
	v_pk_fma_f16 v114, v17, v38, v114 op_sel:[0,1,0]
	v_pk_fma_f16 v113, v17, v39, v113 op_sel_hi:[1,0,1]
	v_pk_fma_f16 v112, v17, v39, v112 op_sel:[0,1,0]
	v_pk_fma_f16 v111, v17, v40, v111 op_sel_hi:[1,0,1]
	v_pk_fma_f16 v122, v17, v40, v16 op_sel:[0,1,0]
	ds_load_2addr_b32 v[16:17], v109 offset0:64 offset1:96
	ds_load_b128 v[33:36], v97 offset:928
	ds_load_b128 v[37:40], v97 offset:1952
	s_waitcnt lgkmcnt(1)
	v_pk_fma_f16 v110, v16, v33, v110 op_sel_hi:[1,0,1]
	v_pk_fma_f16 v115, v16, v33, v115 op_sel:[0,1,0]
	v_pk_fma_f16 v117, v16, v34, v117 op_sel_hi:[1,0,1]
	v_pk_fma_f16 v116, v16, v34, v116 op_sel:[0,1,0]
	v_pk_fma_f16 v118, v16, v35, v118 op_sel_hi:[1,0,1]
	v_pk_fma_f16 v119, v16, v35, v119 op_sel:[0,1,0]
	v_pk_fma_f16 v120, v16, v36, v120 op_sel_hi:[1,0,1]
	v_pk_fma_f16 v41, v16, v36, v41 op_sel:[0,1,0]
	s_waitcnt lgkmcnt(0)
	v_pk_fma_f16 v121, v16, v37, v121 op_sel_hi:[1,0,1]
	v_pk_fma_f16 v42, v16, v37, v42 op_sel:[0,1,0]
	v_pk_fma_f16 v43, v16, v38, v43 op_sel_hi:[1,0,1]
	v_pk_fma_f16 v114, v16, v38, v114 op_sel:[0,1,0]
	v_pk_fma_f16 v113, v16, v39, v113 op_sel_hi:[1,0,1]
	v_pk_fma_f16 v112, v16, v39, v112 op_sel:[0,1,0]
	v_pk_fma_f16 v111, v16, v40, v111 op_sel_hi:[1,0,1]
	v_pk_fma_f16 v16, v16, v40, v122 op_sel:[0,1,0]
	ds_load_b128 v[33:36], v97 offset:944
	ds_load_b128 v[37:40], v97 offset:1968
	s_waitcnt lgkmcnt(1)
	v_pk_fma_f16 v110, v17, v33, v110 op_sel_hi:[1,0,1]
	v_pk_fma_f16 v115, v17, v33, v115 op_sel:[0,1,0]
	v_pk_fma_f16 v117, v17, v34, v117 op_sel_hi:[1,0,1]
	v_pk_fma_f16 v116, v17, v34, v116 op_sel:[0,1,0]
	v_pk_fma_f16 v118, v17, v35, v118 op_sel_hi:[1,0,1]
	v_pk_fma_f16 v119, v17, v35, v119 op_sel:[0,1,0]
	v_pk_fma_f16 v120, v17, v36, v120 op_sel_hi:[1,0,1]
	v_pk_fma_f16 v41, v17, v36, v41 op_sel:[0,1,0]
	s_waitcnt lgkmcnt(0)
	v_pk_fma_f16 v121, v17, v37, v121 op_sel_hi:[1,0,1]
	v_pk_fma_f16 v42, v17, v37, v42 op_sel:[0,1,0]
	v_pk_fma_f16 v43, v17, v38, v43 op_sel_hi:[1,0,1]
	v_pk_fma_f16 v114, v17, v38, v114 op_sel:[0,1,0]
	v_pk_fma_f16 v113, v17, v39, v113 op_sel_hi:[1,0,1]
	v_pk_fma_f16 v112, v17, v39, v112 op_sel:[0,1,0]
	v_pk_fma_f16 v111, v17, v40, v111 op_sel_hi:[1,0,1]
	v_pk_fma_f16 v122, v17, v40, v16 op_sel:[0,1,0]
	ds_load_2addr_b32 v[16:17], v109 offset0:128 offset1:160
	;; [unrolled: 41-line block ×3, first 2 shown]
	ds_load_b128 v[33:36], v97 offset:992
	ds_load_b128 v[37:40], v97 offset:2016
	s_waitcnt lgkmcnt(1)
	v_pk_fma_f16 v110, v16, v33, v110 op_sel_hi:[1,0,1]
	v_pk_fma_f16 v115, v16, v33, v115 op_sel:[0,1,0]
	v_pk_fma_f16 v117, v16, v34, v117 op_sel_hi:[1,0,1]
	v_pk_fma_f16 v116, v16, v34, v116 op_sel:[0,1,0]
	;; [unrolled: 2-line block ×4, first 2 shown]
	s_waitcnt lgkmcnt(0)
	v_pk_fma_f16 v126, v16, v37, v121 op_sel_hi:[1,0,1]
	v_pk_fma_f16 v42, v16, v37, v42 op_sel:[0,1,0]
	v_pk_fma_f16 v43, v16, v38, v43 op_sel_hi:[1,0,1]
	v_pk_fma_f16 v114, v16, v38, v114 op_sel:[0,1,0]
	;; [unrolled: 2-line block ×4, first 2 shown]
	ds_load_b128 v[33:36], v97 offset:1008
	ds_load_b128 v[37:40], v97 offset:2032
	s_waitcnt lgkmcnt(0)
	s_barrier
	buffer_gl0_inv
	s_load_b32 s16, s[4:5], 0x4
	v_pk_fma_f16 v127, v17, v33, v110 op_sel_hi:[1,0,1]
	v_pk_fma_f16 v124, v17, v33, v115 op_sel:[0,1,0]
	v_pk_fma_f16 v123, v17, v34, v117 op_sel_hi:[1,0,1]
	v_pk_fma_f16 v122, v17, v34, v116 op_sel:[0,1,0]
	v_pk_fma_f16 v121, v17, v35, v118 op_sel_hi:[1,0,1]
	s_waitcnt lgkmcnt(0)
	s_lshl_b32 s16, s16, 6
	v_pk_fma_f16 v120, v17, v35, v119 op_sel:[0,1,0]
	v_pk_fma_f16 v119, v17, v36, v125 op_sel_hi:[1,0,1]
	v_pk_fma_f16 v118, v17, v36, v41 op_sel:[0,1,0]
	v_pk_fma_f16 v117, v17, v37, v126 op_sel_hi:[1,0,1]
	;; [unrolled: 2-line block ×5, first 2 shown]
	v_pk_fma_f16 v110, v17, v40, v16 op_sel:[0,1,0]
	s_add_i32 s3, s16, s3
	s_delay_alu instid0(SALU_CYCLE_1)
	s_cmp_ge_i32 s3, s34
	s_cbranch_scc0 .LBB0_9
; %bb.10:
	v_mov_b32_e32 v33, v62
.LBB0_11:
	v_cmp_lt_i32_e32 vcc_lo, v86, v82
	s_cmp_lg_u64 s[24:25], 0
	s_cselect_b32 s3, -1, 0
	s_cmp_eq_u32 s14, 0
	v_cndmask_b32_e32 v16, v33, v86, vcc_lo
	v_cmp_lt_i32_e32 vcc_lo, v87, v82
	s_cselect_b32 s4, -1, 0
	s_delay_alu instid0(SALU_CYCLE_1) | instskip(SKIP_2) | instid1(VALU_DEP_2)
	s_and_b32 s3, s4, s3
	v_cndmask_b32_e32 v17, v33, v87, vcc_lo
	v_cmp_lt_i32_e32 vcc_lo, v84, v82
	v_lshlrev_b32_e32 v17, 2, v17
	v_lshlrev_b32_e32 v16, 2, v16
	v_cndmask_b32_e32 v34, v33, v84, vcc_lo
	v_cmp_lt_i32_e32 vcc_lo, v85, v82
	v_lshlrev_b32_e32 v88, 1, v79
	ds_bpermute_b32 v36, v16, v18
	ds_bpermute_b32 v37, v16, v19
	v_cndmask_b32_e32 v35, v33, v85, vcc_lo
	ds_bpermute_b32 v38, v16, v20
	ds_bpermute_b32 v39, v16, v21
	;; [unrolled: 1-line block ×3, first 2 shown]
	v_cmp_lt_i32_e32 vcc_lo, v83, v82
	ds_bpermute_b32 v41, v16, v23
	ds_bpermute_b32 v45, v16, v27
	v_lshlrev_b32_e32 v35, 2, v35
	ds_bpermute_b32 v42, v16, v24
	v_dual_cndmask_b32 v33, v33, v83 :: v_dual_lshlrev_b32 v34, 2, v34
	ds_bpermute_b32 v46, v16, v28
	ds_bpermute_b32 v43, v16, v25
	;; [unrolled: 1-line block ×3, first 2 shown]
	v_lshlrev_b32_e32 v33, 2, v33
	ds_bpermute_b32 v47, v16, v29
	ds_bpermute_b32 v48, v16, v30
	;; [unrolled: 1-line block ×3, first 2 shown]
	s_waitcnt lgkmcnt(12)
	v_dual_add_f32 v18, v18, v36 :: v_dual_add_f32 v19, v19, v37
	ds_bpermute_b32 v36, v16, v32
	s_waitcnt lgkmcnt(11)
	v_dual_add_f32 v20, v20, v38 :: v_dual_add_f32 v21, v21, v39
	s_waitcnt lgkmcnt(10)
	v_add_f32_e32 v22, v22, v40
	ds_bpermute_b32 v37, v17, v18
	ds_bpermute_b32 v16, v16, v81
	;; [unrolled: 1-line block ×5, first 2 shown]
	s_waitcnt lgkmcnt(12)
	v_dual_add_f32 v23, v23, v41 :: v_dual_add_f32 v24, v24, v42
	s_waitcnt lgkmcnt(11)
	v_dual_add_f32 v27, v27, v45 :: v_dual_add_f32 v28, v28, v46
	ds_bpermute_b32 v41, v17, v22
	ds_bpermute_b32 v42, v17, v23
	s_waitcnt lgkmcnt(11)
	v_dual_add_f32 v25, v25, v43 :: v_dual_add_f32 v26, v26, v44
	ds_bpermute_b32 v46, v17, v27
	s_waitcnt lgkmcnt(10)
	v_dual_add_f32 v29, v29, v47 :: v_dual_add_f32 v30, v30, v48
	ds_bpermute_b32 v43, v17, v24
	ds_bpermute_b32 v44, v17, v25
	s_waitcnt lgkmcnt(10)
	v_dual_add_f32 v31, v31, v49 :: v_dual_add_f32 v32, v32, v36
	s_waitcnt lgkmcnt(9)
	v_add_f32_e32 v18, v18, v37
	s_waitcnt lgkmcnt(8)
	v_add_f32_e32 v16, v81, v16
	s_waitcnt lgkmcnt(6)
	v_dual_add_f32 v20, v20, v39 :: v_dual_add_f32 v21, v21, v40
	s_waitcnt lgkmcnt(5)
	v_add_f32_e32 v19, v19, v38
	ds_bpermute_b32 v39, v34, v18
	ds_bpermute_b32 v45, v17, v26
	;; [unrolled: 1-line block ×4, first 2 shown]
	s_waitcnt lgkmcnt(8)
	v_add_f32_e32 v22, v22, v41
	ds_bpermute_b32 v41, v34, v21
	ds_bpermute_b32 v38, v17, v29
	;; [unrolled: 1-line block ×5, first 2 shown]
	s_waitcnt lgkmcnt(12)
	v_add_f32_e32 v23, v23, v42
	ds_bpermute_b32 v49, v17, v32
	s_waitcnt lgkmcnt(12)
	v_add_f32_e32 v27, v27, v46
	ds_bpermute_b32 v17, v17, v16
	s_waitcnt lgkmcnt(11)
	v_dual_add_f32 v24, v24, v43 :: v_dual_add_f32 v25, v25, v44
	s_and_b32 vcc_lo, exec_lo, s3
	ds_bpermute_b32 v42, v34, v24
	s_waitcnt lgkmcnt(11)
	v_add_f32_e32 v18, v18, v39
	s_waitcnt lgkmcnt(10)
	v_add_f32_e32 v26, v26, v45
	;; [unrolled: 2-line block ×4, first 2 shown]
	ds_bpermute_b32 v37, v34, v22
	s_waitcnt lgkmcnt(8)
	v_add_f32_e32 v21, v21, v41
	s_waitcnt lgkmcnt(7)
	v_add_f32_e32 v29, v29, v38
	;; [unrolled: 2-line block ×3, first 2 shown]
	ds_bpermute_b32 v38, v34, v23
	s_waitcnt lgkmcnt(5)
	v_add_f32_e32 v31, v31, v40
	ds_bpermute_b32 v36, v35, v18
	ds_bpermute_b32 v44, v35, v21
	ds_bpermute_b32 v39, v35, v19
	s_waitcnt lgkmcnt(6)
	v_add_f32_e32 v16, v16, v17
	ds_bpermute_b32 v17, v34, v25
	ds_bpermute_b32 v40, v34, v26
	v_add_f32_e32 v30, v30, v48
	ds_bpermute_b32 v41, v34, v27
	ds_bpermute_b32 v45, v34, v28
	;; [unrolled: 1-line block ×4, first 2 shown]
	v_add_f32_e32 v32, v32, v49
	ds_bpermute_b32 v48, v34, v31
	s_waitcnt lgkmcnt(12)
	v_add_f32_e32 v24, v24, v42
	s_waitcnt lgkmcnt(10)
	v_dual_add_f32 v22, v22, v37 :: v_dual_add_f32 v23, v23, v38
	ds_bpermute_b32 v47, v34, v30
	s_waitcnt lgkmcnt(10)
	v_add_f32_e32 v18, v18, v36
	s_waitcnt lgkmcnt(9)
	v_add_f32_e32 v21, v21, v44
	;; [unrolled: 2-line block ×3, first 2 shown]
	ds_bpermute_b32 v39, v35, v23
	s_waitcnt lgkmcnt(7)
	v_dual_add_f32 v17, v25, v17 :: v_dual_add_f32 v26, v26, v40
	ds_bpermute_b32 v49, v34, v32
	ds_bpermute_b32 v34, v34, v16
	s_waitcnt lgkmcnt(8)
	v_add_f32_e32 v27, v27, v41
	ds_bpermute_b32 v40, v35, v17
	s_waitcnt lgkmcnt(7)
	v_dual_add_f32 v28, v28, v45 :: v_dual_add_f32 v29, v29, v46
	ds_bpermute_b32 v36, v35, v22
	s_waitcnt lgkmcnt(6)
	v_dual_add_f32 v20, v20, v43 :: v_dual_add_f32 v31, v31, v48
	ds_bpermute_b32 v43, v35, v27
	ds_bpermute_b32 v45, v35, v29
	;; [unrolled: 1-line block ×4, first 2 shown]
	s_waitcnt lgkmcnt(9)
	v_add_f32_e32 v30, v30, v47
	ds_bpermute_b32 v38, v33, v19
	ds_bpermute_b32 v25, v33, v20
	s_waitcnt lgkmcnt(10)
	v_add_f32_e32 v23, v23, v39
	ds_bpermute_b32 v41, v35, v26
	ds_bpermute_b32 v39, v33, v21
	s_waitcnt lgkmcnt(11)
	v_add_f32_e32 v32, v32, v49
	s_waitcnt lgkmcnt(10)
	v_add_f32_e32 v16, v16, v34
	ds_bpermute_b32 v34, v35, v31
	s_waitcnt lgkmcnt(10)
	v_add_f32_e32 v17, v17, v40
	ds_bpermute_b32 v44, v35, v28
	s_waitcnt lgkmcnt(9)
	v_dual_add_f32 v22, v22, v36 :: v_dual_add_f32 v27, v27, v43
	ds_bpermute_b32 v36, v35, v32
	s_waitcnt lgkmcnt(9)
	v_add_f32_e32 v43, v29, v45
	ds_bpermute_b32 v46, v35, v30
	ds_bpermute_b32 v35, v35, v16
	s_waitcnt lgkmcnt(10)
	v_add_f32_e32 v24, v24, v42
	ds_bpermute_b32 v42, v33, v23
	ds_bpermute_b32 v49, v33, v43
	s_waitcnt lgkmcnt(11)
	v_add_f32_e32 v62, v18, v37
	s_waitcnt lgkmcnt(8)
	v_add_f32_e32 v26, v26, v41
	ds_bpermute_b32 v47, v33, v24
	ds_bpermute_b32 v41, v33, v17
	v_add_f32_e32 v60, v19, v38
	s_waitcnt lgkmcnt(8)
	v_add_f32_e32 v31, v31, v34
	ds_bpermute_b32 v29, v33, v26
	s_waitcnt lgkmcnt(8)
	v_add_f32_e32 v28, v28, v44
	ds_bpermute_b32 v40, v33, v22
	ds_bpermute_b32 v44, v33, v27
	v_add_f32_e32 v58, v20, v25
	v_add_f32_e32 v56, v21, v39
	ds_bpermute_b32 v45, v33, v28
	s_waitcnt lgkmcnt(10)
	v_add_f32_e32 v32, v32, v36
	s_waitcnt lgkmcnt(9)
	v_add_f32_e32 v30, v30, v46
	s_waitcnt lgkmcnt(8)
	v_add_f32_e32 v16, v16, v35
	ds_bpermute_b32 v35, v33, v31
	ds_bpermute_b32 v36, v33, v32
	s_waitcnt lgkmcnt(9)
	v_add_f32_e32 v52, v23, v42
	s_waitcnt lgkmcnt(8)
	v_add_f32_e32 v42, v43, v49
	ds_bpermute_b32 v18, v33, v16
	s_waitcnt lgkmcnt(8)
	v_add_f32_e32 v50, v24, v47
	s_waitcnt lgkmcnt(7)
	v_add_f32_e32 v48, v17, v41
	;; [unrolled: 2-line block ×4, first 2 shown]
	s_waitcnt lgkmcnt(3)
	v_dual_add_f32 v44, v27, v44 :: v_dual_add_f32 v29, v28, v45
	ds_bpermute_b32 v34, v33, v30
	s_waitcnt lgkmcnt(3)
	v_add_f32_e32 v38, v31, v35
	s_waitcnt lgkmcnt(2)
	v_add_f32_e32 v36, v32, v36
	;; [unrolled: 2-line block ×3, first 2 shown]
	v_add_f32_e32 v34, v16, v18
	s_cbranch_vccz .LBB0_13
; %bb.12:
	s_ashr_i32 s3, s2, 31
	v_dual_mov_b32 v16, 0 :: v_dual_max_f32 v17, v1, v1
	s_lshl_b64 s[4:5], s[2:3], 2
	v_dual_max_f32 v18, v2, v2 :: v_dual_max_f32 v21, v5, v5
	s_add_u32 s4, s24, s4
	s_addc_u32 s5, s25, s5
	s_clause 0x1
	global_load_b128 v[81:84], v16, s[4:5]
	global_load_b128 v[30:33], v16, s[4:5] offset:16
	v_dual_max_f32 v16, v0, v0 :: v_dual_max_f32 v19, v3, v3
	v_max_f32_e32 v26, v10, v10
	v_max_f32_e32 v28, v12, v12
	v_dual_max_f32 v20, v4, v4 :: v_dual_max_f32 v23, v7, v7
	v_dual_max_f32 v22, v6, v6 :: v_dual_max_f32 v25, v9, v9
	v_dual_max_f32 v24, v8, v8 :: v_dual_max_f32 v27, v11, v11
	s_waitcnt vmcnt(1)
	v_max_f32_e32 v37, v81, v81
	v_max_f32_e32 v39, v82, v82
	;; [unrolled: 1-line block ×3, first 2 shown]
	s_waitcnt vmcnt(0)
	s_delay_alu instid0(VALU_DEP_3) | instskip(SKIP_1) | instid1(VALU_DEP_3)
	v_dual_max_f32 v45, v30, v30 :: v_dual_max_f32 v24, v24, v37
	v_max_f32_e32 v16, v16, v37
	v_dual_max_f32 v43, v84, v84 :: v_dual_max_f32 v18, v18, v41
	v_dual_max_f32 v49, v32, v32 :: v_dual_max_f32 v26, v26, v41
	v_max_f32_e32 v17, v17, v39
	v_dual_max_f32 v47, v31, v31 :: v_dual_max_f32 v20, v20, v45
	v_dual_max_f32 v35, v33, v33 :: v_dual_sub_f32 v0, v0, v16
	v_dual_max_f32 v19, v19, v43 :: v_dual_max_f32 v28, v28, v45
	v_dual_max_f32 v22, v22, v49 :: v_dual_max_f32 v25, v25, v39
	v_sub_f32_e32 v39, v82, v17
	v_dual_max_f32 v21, v21, v47 :: v_dual_sub_f32 v2, v2, v18
	v_dual_max_f32 v23, v23, v35 :: v_dual_sub_f32 v4, v4, v20
	v_sub_f32_e32 v12, v12, v28
	s_delay_alu instid0(VALU_DEP_4)
	v_dual_sub_f32 v45, v30, v20 :: v_dual_mul_f32 v86, 0x3fb8aa3b, v39
	v_dual_max_f32 v27, v27, v43 :: v_dual_sub_f32 v8, v8, v24
	v_dual_sub_f32 v37, v81, v16 :: v_dual_sub_f32 v10, v10, v26
	v_sub_f32_e32 v1, v1, v17
	v_sub_f32_e32 v41, v83, v18
	v_dual_sub_f32 v3, v3, v19 :: v_dual_mul_f32 v92, 0x3fb8aa3b, v4
	v_sub_f32_e32 v5, v5, v21
	v_dual_sub_f32 v57, v81, v24 :: v_dual_mul_f32 v104, 0x3fb8aa3b, v10
	v_sub_f32_e32 v81, v83, v26
	v_rndne_f32_e32 v131, v86
	v_dual_mul_f32 v83, 0x3fb8aa3b, v0 :: v_dual_sub_f32 v6, v6, v22
	v_dual_sub_f32 v51, v31, v21 :: v_dual_mul_f32 v90, 0x3fb8aa3b, v3
	v_dual_sub_f32 v43, v84, v19 :: v_dual_mul_f32 v94, 0x3fb8aa3b, v5
	v_fma_f32 v130, 0x3fb8aa3b, v39, -v86
	v_sub_f32_e32 v86, v86, v131
	v_fma_f32 v108, 0x3fb8aa3b, v0, -v83
	v_dual_sub_f32 v59, v82, v25 :: v_dual_sub_f32 v82, v84, v27
	v_mul_f32_e32 v84, 0x3fb8aa3b, v37
	v_mul_f32_e32 v96, 0x3fb8aa3b, v6
	s_delay_alu instid0(VALU_DEP_4)
	v_fmac_f32_e32 v108, 0x32a5705f, v0
	v_rndne_f32_e32 v145, v94
	v_mul_f32_e32 v95, 0x3fb8aa3b, v51
	v_rndne_f32_e32 v126, v84
	v_sub_f32_e32 v11, v11, v27
	v_dual_sub_f32 v7, v7, v23 :: v_dual_mul_f32 v100, 0x3fb8aa3b, v8
	v_sub_f32_e32 v53, v32, v22
	v_rndne_f32_e32 v109, v83
	v_fma_f32 v125, 0x3fb8aa3b, v37, -v84
	s_delay_alu instid0(VALU_DEP_4)
	v_mul_f32_e32 v98, 0x3fb8aa3b, v7
	v_rndne_f32_e32 v137, v90
	v_mul_f32_e32 v87, 0x3fb8aa3b, v2
	v_fma_f32 v144, 0x3fb8aa3b, v5, -v94
	v_dual_sub_f32 v84, v84, v126 :: v_dual_sub_f32 v9, v9, v25
	v_mul_f32_e32 v106, 0x3fb8aa3b, v11
	v_dual_sub_f32 v55, v33, v23 :: v_dual_sub_f32 v94, v94, v145
	v_rndne_f32_e32 v147, v95
	s_delay_alu instid0(VALU_DEP_4)
	v_mul_f32_e32 v102, 0x3fb8aa3b, v9
	v_fma_f32 v136, 0x3fb8aa3b, v3, -v90
	v_rndne_f32_e32 v141, v92
	v_mul_f32_e32 v91, 0x3fb8aa3b, v43
	v_fma_f32 v146, 0x3fb8aa3b, v51, -v95
	v_rndne_f32_e32 v149, v96
	v_mul_f32_e32 v99, 0x3fb8aa3b, v55
	v_dual_sub_f32 v83, v83, v109 :: v_dual_fmac_f32 v130, 0x32a5705f, v39
	v_mul_f32_e32 v85, 0x3fb8aa3b, v1
	v_sub_f32_e32 v90, v90, v137
	v_fma_f32 v132, 0x3fb8aa3b, v2, -v87
	v_rndne_f32_e32 v133, v87
	v_add_f32_e32 v86, v86, v130
	v_dual_fmac_f32 v144, 0x32a5705f, v5 :: v_dual_sub_f32 v95, v95, v147
	v_mul_f32_e32 v97, 0x3fb8aa3b, v53
	v_fma_f32 v128, 0x3fb8aa3b, v1, -v85
	v_rndne_f32_e32 v129, v85
	s_delay_alu instid0(VALU_DEP_4)
	v_add_f32_e32 v94, v94, v144
	v_fma_f32 v140, 0x3fb8aa3b, v4, -v92
	v_fma_f32 v148, 0x3fb8aa3b, v6, -v96
	v_fma_f32 v150, 0x3fb8aa3b, v53, -v97
	v_dual_fmac_f32 v125, 0x32a5705f, v37 :: v_dual_fmac_f32 v132, 0x32a5705f, v2
	v_sub_f32_e32 v92, v92, v141
	v_fma_f32 v138, 0x3fb8aa3b, v43, -v91
	v_dual_sub_f32 v87, v87, v133 :: v_dual_fmac_f32 v146, 0x32a5705f, v51
	v_dual_add_f32 v83, v83, v108 :: v_dual_sub_f32 v96, v96, v149
	v_fma_f32 v154, 0x3fb8aa3b, v55, -v99
	v_rndne_f32_e32 v155, v99
	v_fma_f32 v152, 0x3fb8aa3b, v7, -v98
	v_fmac_f32_e32 v128, 0x32a5705f, v1
	v_dual_sub_f32 v85, v85, v129 :: v_dual_fmac_f32 v136, 0x32a5705f, v3
	v_mul_f32_e32 v89, 0x3fb8aa3b, v41
	v_fmac_f32_e32 v138, 0x32a5705f, v43
	v_dual_fmac_f32 v150, 0x32a5705f, v53 :: v_dual_sub_f32 v99, v99, v155
	v_dual_fmac_f32 v154, 0x32a5705f, v55 :: v_dual_add_f32 v87, v87, v132
	v_add_f32_e32 v84, v84, v125
	v_exp_f32_e32 v83, v83
	v_rndne_f32_e32 v153, v98
	s_delay_alu instid0(VALU_DEP_3)
	v_add_f32_e32 v99, v99, v154
	v_mul_f32_e32 v103, 0x3fb8aa3b, v59
	v_cvt_i32_f32_e32 v109, v109
	v_dual_fmac_f32 v152, 0x32a5705f, v7 :: v_dual_add_f32 v85, v85, v128
	v_add_f32_e32 v90, v90, v136
	v_fma_f32 v134, 0x3fb8aa3b, v41, -v89
	v_rndne_f32_e32 v135, v89
	v_exp_f32_e32 v84, v84
	v_fma_f32 v164, 0x3fb8aa3b, v10, -v104
	v_cvt_i32_f32_e32 v126, v126
	s_delay_alu instid0(VALU_DEP_3)
	v_dual_fmac_f32 v134, 0x32a5705f, v41 :: v_dual_sub_f32 v89, v89, v135
	v_sub_f32_e32 v98, v98, v153
	v_fma_f32 v162, 0x3fb8aa3b, v59, -v103
	v_exp_f32_e32 v85, v85
	v_exp_f32_e32 v87, v87
	v_ldexp_f32 v83, v83, v109
	v_cmp_ngt_f32_e32 vcc_lo, 0xc2ce8ed0, v0
	v_rndne_f32_e32 v157, v100
	v_mul_f32_e32 v107, 0x3fb8aa3b, v82
	v_cvt_i32_f32_e32 v129, v129
	v_cvt_i32_f32_e32 v133, v133
	v_dual_fmac_f32 v162, 0x32a5705f, v59 :: v_dual_add_f32 v89, v89, v134
	v_dual_fmac_f32 v164, 0x32a5705f, v10 :: v_dual_cndmask_b32 v83, 0, v83
	v_exp_f32_e32 v86, v86
	v_ldexp_f32 v84, v84, v126
	v_cmp_ngt_f32_e32 vcc_lo, 0xc2ce8ed0, v37
	v_rndne_f32_e32 v139, v91
	v_fma_f32 v156, 0x3fb8aa3b, v8, -v100
	v_cvt_i32_f32_e32 v131, v131
	v_sub_f32_e32 v100, v100, v157
	v_fma_f32 v170, 0x3fb8aa3b, v82, -v107
	v_exp_f32_e32 v89, v89
	v_ldexp_f32 v85, v85, v129
	v_ldexp_f32 v87, v87, v133
	v_cndmask_b32_e32 v84, 0, v84, vcc_lo
	v_cmp_ngt_f32_e32 vcc_lo, 0xc2ce8ed0, v1
	v_rndne_f32_e32 v165, v104
	v_cvt_i32_f32_e32 v135, v135
	v_dual_sub_f32 v91, v91, v139 :: v_dual_fmac_f32 v140, 0x32a5705f, v4
	v_mul_f32_e32 v93, 0x3fb8aa3b, v45
	v_dual_fmac_f32 v170, 0x32a5705f, v82 :: v_dual_cndmask_b32 v85, 0, v85
	v_ldexp_f32 v86, v86, v131
	v_cmp_ngt_f32_e32 vcc_lo, 0xc2ce8ed0, v39
	v_dual_mul_f32 v105, 0x3fb8aa3b, v81 :: v_dual_add_f32 v98, v98, v152
	v_dual_sub_f32 v104, v104, v165 :: v_dual_add_f32 v91, v91, v138
	v_add_f32_e32 v92, v92, v140
	v_fma_f32 v142, 0x3fb8aa3b, v45, -v93
	v_rndne_f32_e32 v143, v93
	v_exp_f32_e32 v90, v90
	v_ldexp_f32 v89, v89, v135
	v_cndmask_b32_e32 v86, 0, v86, vcc_lo
	v_cmp_ngt_f32_e32 vcc_lo, 0xc2ce8ed0, v2
	v_fma_f32 v166, 0x3fb8aa3b, v81, -v105
	v_cvt_i32_f32_e32 v137, v137
	v_dual_fmac_f32 v142, 0x32a5705f, v45 :: v_dual_sub_f32 v93, v93, v143
	v_exp_f32_e32 v91, v91
	v_cndmask_b32_e32 v87, 0, v87, vcc_lo
	v_cmp_ngt_f32_e32 vcc_lo, 0xc2ce8ed0, v41
	v_cvt_i32_f32_e32 v139, v139
	v_dual_fmac_f32 v166, 0x32a5705f, v81 :: v_dual_add_f32 v93, v93, v142
	v_exp_f32_e32 v92, v92
	v_ldexp_f32 v90, v90, v137
	v_cndmask_b32_e32 v89, 0, v89, vcc_lo
	v_cmp_ngt_f32_e32 vcc_lo, 0xc2ce8ed0, v3
	v_fma_f32 v168, 0x3fb8aa3b, v11, -v106
	v_cvt_i32_f32_e32 v141, v141
	v_exp_f32_e32 v93, v93
	v_ldexp_f32 v91, v91, v139
	v_cndmask_b32_e32 v90, 0, v90, vcc_lo
	v_cmp_ngt_f32_e32 vcc_lo, 0xc2ce8ed0, v43
	v_rndne_f32_e32 v151, v97
	v_cvt_i32_f32_e32 v143, v143
	v_fmac_f32_e32 v148, 0x32a5705f, v6
	v_dual_fmac_f32 v168, 0x32a5705f, v11 :: v_dual_add_f32 v95, v95, v146
	v_exp_f32_e32 v94, v94
	v_ldexp_f32 v92, v92, v141
	v_cndmask_b32_e32 v91, 0, v91, vcc_lo
	v_cmp_ngt_f32_e32 vcc_lo, 0xc2ce8ed0, v4
	v_rndne_f32_e32 v169, v106
	v_cvt_i32_f32_e32 v145, v145
	v_sub_f32_e32 v97, v97, v151
	v_dual_mul_f32 v101, 0x3fb8aa3b, v57 :: v_dual_add_f32 v96, v96, v148
	v_exp_f32_e32 v95, v95
	v_ldexp_f32 v93, v93, v143
	v_cndmask_b32_e32 v92, 0, v92, vcc_lo
	v_cmp_ngt_f32_e32 vcc_lo, 0xc2ce8ed0, v45
	v_cvt_i32_f32_e32 v147, v147
	v_dual_sub_f32 v106, v106, v169 :: v_dual_add_f32 v97, v97, v150
	v_exp_f32_e32 v96, v96
	v_ldexp_f32 v94, v94, v145
	v_cndmask_b32_e32 v93, 0, v93, vcc_lo
	v_cmp_ngt_f32_e32 vcc_lo, 0xc2ce8ed0, v5
	v_cvt_i32_f32_e32 v149, v149
	v_exp_f32_e32 v97, v97
	v_ldexp_f32 v95, v95, v147
	v_fma_f32 v158, 0x3fb8aa3b, v57, -v101
	v_cndmask_b32_e32 v94, 0, v94, vcc_lo
	v_cmp_ngt_f32_e32 vcc_lo, 0xc2ce8ed0, v51
	v_rndne_f32_e32 v159, v101
	v_rndne_f32_e32 v163, v103
	v_cvt_i32_f32_e32 v151, v151
	v_fmac_f32_e32 v156, 0x32a5705f, v8
	v_exp_f32_e32 v98, v98
	v_sub_f32_e32 v101, v101, v159
	v_ldexp_f32 v96, v96, v149
	v_cndmask_b32_e32 v95, 0, v95, vcc_lo
	v_cmp_ngt_f32_e32 vcc_lo, 0xc2ce8ed0, v6
	v_fma_f32 v160, 0x3fb8aa3b, v9, -v102
	v_rndne_f32_e32 v161, v102
	v_cvt_i32_f32_e32 v153, v153
	v_dual_fmac_f32 v158, 0x32a5705f, v57 :: v_dual_sub_f32 v103, v103, v163
	v_add_f32_e32 v100, v100, v156
	v_exp_f32_e32 v99, v99
	v_ldexp_f32 v97, v97, v151
	s_delay_alu instid0(VALU_DEP_3)
	v_dual_add_f32 v101, v101, v158 :: v_dual_cndmask_b32 v96, 0, v96
	v_cmp_ngt_f32_e32 vcc_lo, 0xc2ce8ed0, v53
	v_rndne_f32_e32 v167, v105
	v_rndne_f32_e32 v171, v107
	v_cvt_i32_f32_e32 v155, v155
	v_fmac_f32_e32 v160, 0x32a5705f, v9
	v_sub_f32_e32 v102, v102, v161
	v_exp_f32_e32 v100, v100
	v_sub_f32_e32 v107, v107, v171
	v_ldexp_f32 v98, v98, v153
	v_cndmask_b32_e32 v97, 0, v97, vcc_lo
	v_cmp_ngt_f32_e32 vcc_lo, 0xc2ce8ed0, v7
	v_cvt_i32_f32_e32 v157, v157
	v_dual_sub_f32 v105, v105, v167 :: v_dual_add_f32 v102, v102, v160
	v_add_f32_e32 v103, v103, v162
	v_exp_f32_e32 v101, v101
	v_ldexp_f32 v99, v99, v155
	v_cndmask_b32_e32 v98, 0, v98, vcc_lo
	v_cmp_ngt_f32_e32 vcc_lo, 0xc2ce8ed0, v55
	v_cvt_i32_f32_e32 v159, v159
	v_exp_f32_e32 v102, v102
	v_ldexp_f32 v100, v100, v157
	v_cvt_i32_f32_e32 v161, v161
	v_cndmask_b32_e32 v99, 0, v99, vcc_lo
	v_cmp_ngt_f32_e32 vcc_lo, 0xc2ce8ed0, v8
	v_dual_add_f32 v104, v104, v164 :: v_dual_add_f32 v105, v105, v166
	v_exp_f32_e32 v103, v103
	v_ldexp_f32 v101, v101, v159
	v_cndmask_b32_e32 v100, 0, v100, vcc_lo
	v_cmp_ngt_f32_e32 vcc_lo, 0xc2ce8ed0, v57
	v_cvt_i32_f32_e32 v163, v163
	v_exp_f32_e32 v104, v104
	v_ldexp_f32 v102, v102, v161
	v_cvt_i32_f32_e32 v165, v165
	v_cndmask_b32_e32 v101, 0, v101, vcc_lo
	v_cmp_ngt_f32_e32 vcc_lo, 0xc2ce8ed0, v9
	v_exp_f32_e32 v105, v105
	v_ldexp_f32 v103, v103, v163
	v_cvt_i32_f32_e32 v167, v167
	v_dual_add_f32 v106, v106, v168 :: v_dual_add_f32 v107, v107, v170
	v_cndmask_b32_e32 v102, 0, v102, vcc_lo
	v_cmp_ngt_f32_e32 vcc_lo, 0xc2ce8ed0, v59
	v_ldexp_f32 v104, v104, v165
	s_delay_alu instid0(VALU_DEP_4) | instskip(NEXT) | instid1(TRANS32_DEP_2)
	v_exp_f32_e32 v106, v106
	v_ldexp_f32 v105, v105, v167
	v_cndmask_b32_e32 v103, 0, v103, vcc_lo
	v_cmp_ngt_f32_e32 vcc_lo, 0xc2ce8ed0, v10
	v_cndmask_b32_e32 v104, 0, v104, vcc_lo
	v_cmp_ngt_f32_e32 vcc_lo, 0xc2ce8ed0, v81
	v_cndmask_b32_e32 v105, 0, v105, vcc_lo
	v_cmp_nlt_f32_e32 vcc_lo, 0x42b17218, v0
	v_cndmask_b32_e32 v0, 0x7f800000, v83, vcc_lo
	v_cmp_nlt_f32_e32 vcc_lo, 0x42b17218, v37
	v_cndmask_b32_e32 v37, 0x7f800000, v84, vcc_lo
	v_cmp_nlt_f32_e32 vcc_lo, 0x42b17218, v1
	v_cndmask_b32_e32 v1, 0x7f800000, v85, vcc_lo
	v_cmp_nlt_f32_e32 vcc_lo, 0x42b17218, v39
	v_cndmask_b32_e32 v39, 0x7f800000, v86, vcc_lo
	v_cmp_nlt_f32_e32 vcc_lo, 0x42b17218, v2
	v_cndmask_b32_e32 v2, 0x7f800000, v87, vcc_lo
	v_cmp_nlt_f32_e32 vcc_lo, 0x42b17218, v41
	v_cndmask_b32_e32 v41, 0x7f800000, v89, vcc_lo
	v_cmp_nlt_f32_e32 vcc_lo, 0x42b17218, v3
	v_cndmask_b32_e32 v3, 0x7f800000, v90, vcc_lo
	v_cmp_nlt_f32_e32 vcc_lo, 0x42b17218, v43
	v_cndmask_b32_e32 v43, 0x7f800000, v91, vcc_lo
	v_cmp_nlt_f32_e32 vcc_lo, 0x42b17218, v4
	v_cndmask_b32_e32 v4, 0x7f800000, v92, vcc_lo
	v_cmp_nlt_f32_e32 vcc_lo, 0x42b17218, v45
	v_cndmask_b32_e32 v45, 0x7f800000, v93, vcc_lo
	v_cmp_nlt_f32_e32 vcc_lo, 0x42b17218, v5
	v_cndmask_b32_e32 v5, 0x7f800000, v94, vcc_lo
	v_cmp_nlt_f32_e32 vcc_lo, 0x42b17218, v51
	v_cndmask_b32_e32 v51, 0x7f800000, v95, vcc_lo
	v_cmp_nlt_f32_e32 vcc_lo, 0x42b17218, v6
	s_delay_alu instid0(VALU_DEP_2) | instskip(SKIP_2) | instid1(VALU_DEP_3)
	v_dual_fmac_f32 v51, v52, v5 :: v_dual_cndmask_b32 v6, 0x7f800000, v96
	v_cmp_nlt_f32_e32 vcc_lo, 0x42b17218, v53
	v_cvt_f16_f32_e32 v5, v5
	v_dual_mov_b32 v52, v51 :: v_dual_cndmask_b32 v53, 0x7f800000, v97
	v_cmp_nlt_f32_e32 vcc_lo, 0x42b17218, v7
	s_delay_alu instid0(VALU_DEP_3) | instskip(NEXT) | instid1(VALU_DEP_3)
	v_pk_mul_f16 v120, v120, v5 op_sel_hi:[1,0]
	v_fmac_f32_e32 v53, v50, v6
	v_cndmask_b32_e32 v7, 0x7f800000, v98, vcc_lo
	v_cmp_nlt_f32_e32 vcc_lo, 0x42b17218, v55
	v_cvt_f16_f32_e32 v6, v6
	s_delay_alu instid0(VALU_DEP_4) | instskip(SKIP_1) | instid1(VALU_DEP_3)
	v_dual_mov_b32 v50, v53 :: v_dual_cndmask_b32 v55, 0x7f800000, v99
	v_cmp_nlt_f32_e32 vcc_lo, 0x42b17218, v8
	v_pk_mul_f16 v119, v119, v6 op_sel_hi:[1,0]
	v_max_f32_e32 v6, v13, v13
	v_fmac_f32_e32 v39, v60, v1
	v_fmac_f32_e32 v37, v62, v0
	v_cndmask_b32_e32 v8, 0x7f800000, v100, vcc_lo
	v_cmp_nlt_f32_e32 vcc_lo, 0x42b17218, v57
	v_cvt_f16_f32_e32 v0, v0
	v_cvt_f16_f32_e32 v1, v1
	v_fmac_f32_e32 v41, v58, v2
	v_cvt_f16_f32_e32 v2, v2
	v_cndmask_b32_e32 v57, 0x7f800000, v101, vcc_lo
	v_cmp_nlt_f32_e32 vcc_lo, 0x42b17218, v9
	v_pk_mul_f16 v127, v127, v0 op_sel_hi:[1,0]
	v_pk_mul_f16 v124, v124, v1 op_sel_hi:[1,0]
	v_cvt_i32_f32_e32 v1, v169
	v_pk_mul_f16 v123, v123, v2 op_sel_hi:[1,0]
	v_cndmask_b32_e32 v9, 0x7f800000, v102, vcc_lo
	v_cmp_nlt_f32_e32 vcc_lo, 0x42b17218, v59
	v_exp_f32_e32 v2, v107
	v_fmac_f32_e32 v45, v54, v4
	v_cvt_f16_f32_e32 v4, v4
	v_dual_mov_b32 v62, v37 :: v_dual_cndmask_b32 v59, 0x7f800000, v103
	v_cmp_nlt_f32_e32 vcc_lo, 0x42b17218, v10
	v_mov_b32_e32 v60, v39
	s_delay_alu instid0(VALU_DEP_4) | instskip(SKIP_3) | instid1(VALU_DEP_2)
	v_pk_mul_f16 v121, v121, v4 op_sel_hi:[1,0]
	v_mov_b32_e32 v58, v41
	v_cndmask_b32_e32 v10, 0x7f800000, v104, vcc_lo
	v_cmp_nlt_f32_e32 vcc_lo, 0x42b17218, v81
	v_cvt_f16_f32_e32 v0, v10
	v_cndmask_b32_e32 v81, 0x7f800000, v105, vcc_lo
	v_cmp_ngt_f32_e32 vcc_lo, 0xc2ce8ed0, v11
	s_delay_alu instid0(VALU_DEP_3) | instskip(SKIP_4) | instid1(VALU_DEP_4)
	v_pk_mul_f16 v115, v115, v0 op_sel_hi:[1,0]
	v_ldexp_f32 v0, v106, v1
	v_fmac_f32_e32 v59, v44, v9
	v_cvt_i32_f32_e32 v1, v171
	v_fmac_f32_e32 v81, v29, v10
	v_dual_max_f32 v29, v6, v47 :: v_dual_cndmask_b32 v0, 0, v0
	v_cmp_nlt_f32_e32 vcc_lo, 0x42b17218, v11
	s_delay_alu instid0(VALU_DEP_4) | instskip(SKIP_4) | instid1(VALU_DEP_4)
	v_ldexp_f32 v1, v2, v1
	v_cvt_f16_f32_e32 v9, v9
	v_mov_b32_e32 v44, v59
	v_cndmask_b32_e32 v0, 0x7f800000, v0, vcc_lo
	v_cmp_ngt_f32_e32 vcc_lo, 0xc2ce8ed0, v82
	v_pk_mul_f16 v116, v116, v9 op_sel_hi:[1,0]
	s_delay_alu instid0(VALU_DEP_3)
	v_cvt_f16_f32_e32 v6, v0
	v_cndmask_b32_e32 v1, 0, v1, vcc_lo
	v_cmp_nlt_f32_e32 vcc_lo, 0x42b17218, v82
	v_fmac_f32_e32 v57, v46, v8
	v_cvt_f16_f32_e32 v8, v8
	v_pk_mul_f16 v114, v114, v6 op_sel_hi:[1,0]
	v_cndmask_b32_e32 v82, 0x7f800000, v1, vcc_lo
	v_cmp_ngt_f32_e32 vcc_lo, 0xc2ce8ed0, v12
	s_delay_alu instid0(VALU_DEP_4) | instskip(SKIP_4) | instid1(VALU_DEP_2)
	v_pk_mul_f16 v117, v117, v8 op_sel_hi:[1,0]
	v_sub_f32_e32 v8, v13, v29
	v_mov_b32_e32 v46, v57
	v_dual_fmac_f32 v82, v42, v0 :: v_dual_fmac_f32 v43, v56, v3
	v_cvt_f16_f32_e32 v3, v3
	v_mov_b32_e32 v42, v82
	s_delay_alu instid0(VALU_DEP_2) | instskip(SKIP_1) | instid1(VALU_DEP_1)
	v_pk_mul_f16 v122, v122, v3 op_sel_hi:[1,0]
	v_mul_f32_e32 v3, 0x3fb8aa3b, v12
	v_fma_f32 v4, 0x3fb8aa3b, v12, -v3
	v_rndne_f32_e32 v5, v3
	s_delay_alu instid0(VALU_DEP_2) | instskip(NEXT) | instid1(VALU_DEP_2)
	v_fmac_f32_e32 v4, 0x32a5705f, v12
	v_sub_f32_e32 v2, v3, v5
	v_cvt_i32_f32_e32 v5, v5
	v_dual_sub_f32 v3, v30, v28 :: v_dual_mov_b32 v56, v43
	s_delay_alu instid0(VALU_DEP_3) | instskip(NEXT) | instid1(VALU_DEP_2)
	v_add_f32_e32 v2, v2, v4
	v_mul_f32_e32 v4, 0x3fb8aa3b, v3
	v_mov_b32_e32 v54, v45
	s_delay_alu instid0(VALU_DEP_3) | instskip(NEXT) | instid1(VALU_DEP_2)
	v_exp_f32_e32 v1, v2
	v_fma_f32 v2, 0x3fb8aa3b, v3, -v4
	s_delay_alu instid0(VALU_DEP_1) | instskip(SKIP_2) | instid1(VALU_DEP_1)
	v_fmac_f32_e32 v2, 0x32a5705f, v3
	s_waitcnt_depctr 0xfff
	v_ldexp_f32 v0, v1, v5
	v_cndmask_b32_e32 v0, 0, v0, vcc_lo
	v_cmp_nlt_f32_e32 vcc_lo, 0x42b17218, v12
	v_max_f32_e32 v12, v14, v14
	s_delay_alu instid0(VALU_DEP_1) | instskip(SKIP_2) | instid1(VALU_DEP_1)
	v_max_f32_e32 v30, v12, v49
	v_fmac_f32_e32 v55, v48, v7
	v_cvt_f16_f32_e32 v7, v7
	v_pk_mul_f16 v118, v118, v7 op_sel_hi:[1,0]
	v_rndne_f32_e32 v7, v4
	s_delay_alu instid0(VALU_DEP_1) | instskip(SKIP_1) | instid1(VALU_DEP_2)
	v_sub_f32_e32 v4, v4, v7
	v_cvt_i32_f32_e32 v7, v7
	v_dual_add_f32 v1, v4, v2 :: v_dual_mul_f32 v2, 0x3fb8aa3b, v8
	v_sub_f32_e32 v4, v31, v29
	v_mov_b32_e32 v48, v55
	s_delay_alu instid0(VALU_DEP_3) | instskip(SKIP_1) | instid1(VALU_DEP_4)
	v_fma_f32 v5, 0x3fb8aa3b, v8, -v2
	v_rndne_f32_e32 v6, v2
	v_mul_f32_e32 v9, 0x3fb8aa3b, v4
	s_delay_alu instid0(VALU_DEP_2) | instskip(NEXT) | instid1(VALU_DEP_2)
	v_dual_fmac_f32 v5, 0x32a5705f, v8 :: v_dual_sub_f32 v2, v2, v6
	v_rndne_f32_e32 v11, v9
	v_fma_f32 v10, 0x3fb8aa3b, v4, -v9
	s_delay_alu instid0(VALU_DEP_2) | instskip(SKIP_3) | instid1(VALU_DEP_3)
	v_dual_add_f32 v2, v2, v5 :: v_dual_sub_f32 v5, v9, v11
	v_cndmask_b32_e32 v0, 0x7f800000, v0, vcc_lo
	v_exp_f32_e32 v1, v1
	v_cmp_ngt_f32_e32 vcc_lo, 0xc2ce8ed0, v3
	v_exp_f32_e32 v2, v2
	s_waitcnt_depctr 0xfff
	v_ldexp_f32 v1, v1, v7
	s_delay_alu instid0(VALU_DEP_1) | instskip(SKIP_2) | instid1(VALU_DEP_3)
	v_dual_fmac_f32 v10, 0x32a5705f, v4 :: v_dual_cndmask_b32 v1, 0, v1
	v_cmp_nlt_f32_e32 vcc_lo, 0x42b17218, v3
	v_cvt_i32_f32_e32 v3, v6
	v_cndmask_b32_e32 v47, 0x7f800000, v1, vcc_lo
	v_cvt_f16_f32_e32 v1, v0
	v_cmp_ngt_f32_e32 vcc_lo, 0xc2ce8ed0, v8
	s_delay_alu instid0(VALU_DEP_3)
	v_fmac_f32_e32 v47, v40, v0
	v_ldexp_f32 v0, v2, v3
	v_add_f32_e32 v5, v5, v10
	v_max_f32_e32 v3, v15, v15
	v_pk_mul_f16 v113, v113, v1 op_sel_hi:[1,0]
	v_cvt_i32_f32_e32 v1, v11
	v_cndmask_b32_e32 v0, 0, v0, vcc_lo
	v_cmp_nlt_f32_e32 vcc_lo, 0x42b17218, v8
	v_sub_f32_e32 v7, v14, v30
	v_exp_f32_e32 v5, v5
	s_delay_alu instid0(VALU_DEP_3) | instskip(NEXT) | instid1(VALU_DEP_2)
	v_dual_max_f32 v31, v3, v35 :: v_dual_cndmask_b32 v0, 0x7f800000, v0
	v_mul_f32_e32 v6, 0x3fb8aa3b, v7
	v_cmp_ngt_f32_e32 vcc_lo, 0xc2ce8ed0, v4
	s_delay_alu instid0(VALU_DEP_2)
	v_fma_f32 v2, 0x3fb8aa3b, v7, -v6
	v_rndne_f32_e32 v9, v6
	s_waitcnt_depctr 0xfff
	v_ldexp_f32 v1, v5, v1
	v_dual_fmac_f32 v2, 0x32a5705f, v7 :: v_dual_sub_f32 v3, v6, v9
	v_cvt_i32_f32_e32 v9, v9
	s_delay_alu instid0(VALU_DEP_2) | instskip(SKIP_3) | instid1(VALU_DEP_4)
	v_add_f32_e32 v2, v3, v2
	v_sub_f32_e32 v3, v32, v30
	v_cndmask_b32_e32 v1, 0, v1, vcc_lo
	v_cmp_nlt_f32_e32 vcc_lo, 0x42b17218, v4
	v_exp_f32_e32 v2, v2
	s_delay_alu instid0(VALU_DEP_3) | instskip(NEXT) | instid1(VALU_DEP_3)
	v_mul_f32_e32 v4, 0x3fb8aa3b, v3
	v_cndmask_b32_e32 v32, 0x7f800000, v1, vcc_lo
	v_cmp_ngt_f32_e32 vcc_lo, 0xc2ce8ed0, v7
	v_mov_b32_e32 v40, v47
	s_delay_alu instid0(VALU_DEP_4) | instskip(SKIP_3) | instid1(TRANS32_DEP_1)
	v_fma_f32 v12, 0x3fb8aa3b, v3, -v4
	v_rndne_f32_e32 v13, v4
	v_fmac_f32_e32 v32, v38, v0
	v_cvt_f16_f32_e32 v0, v0
	v_ldexp_f32 v2, v2, v9
	v_sub_f32_e32 v1, v33, v31
	v_fmac_f32_e32 v12, 0x32a5705f, v3
	v_sub_f32_e32 v4, v4, v13
	v_pk_mul_f16 v112, v112, v0 op_sel_hi:[1,0]
	s_delay_alu instid0(VALU_DEP_4) | instskip(SKIP_1) | instid1(VALU_DEP_4)
	v_dual_cndmask_b32 v2, 0, v2 :: v_dual_mul_f32 v11, 0x3fb8aa3b, v1
	v_cmp_nlt_f32_e32 vcc_lo, 0x42b17218, v7
	v_add_f32_e32 v4, v4, v12
	v_mov_b32_e32 v38, v32
	s_delay_alu instid0(VALU_DEP_4) | instskip(SKIP_1) | instid1(VALU_DEP_4)
	v_fma_f32 v14, 0x3fb8aa3b, v1, -v11
	v_cndmask_b32_e32 v2, 0x7f800000, v2, vcc_lo
	v_exp_f32_e32 v4, v4
	s_delay_alu instid0(VALU_DEP_2) | instskip(SKIP_1) | instid1(VALU_DEP_2)
	v_dual_fmac_f32 v14, 0x32a5705f, v1 :: v_dual_sub_f32 v5, v15, v31
	v_rndne_f32_e32 v15, v11
	v_mul_f32_e32 v6, 0x3fb8aa3b, v5
	s_delay_alu instid0(VALU_DEP_1) | instskip(SKIP_1) | instid1(VALU_DEP_2)
	v_fma_f32 v8, 0x3fb8aa3b, v5, -v6
	v_rndne_f32_e32 v10, v6
	v_fmac_f32_e32 v8, 0x32a5705f, v5
	s_delay_alu instid0(VALU_DEP_2) | instskip(SKIP_2) | instid1(VALU_DEP_3)
	v_sub_f32_e32 v6, v6, v10
	v_cvt_i32_f32_e32 v9, v10
	v_cvt_i32_f32_e32 v10, v13
	v_add_f32_e32 v6, v6, v8
	v_sub_f32_e32 v8, v11, v15
	s_delay_alu instid0(VALU_DEP_3) | instskip(NEXT) | instid1(VALU_DEP_3)
	v_ldexp_f32 v4, v4, v10
	v_exp_f32_e32 v6, v6
	s_delay_alu instid0(VALU_DEP_2) | instskip(SKIP_1) | instid1(VALU_DEP_2)
	v_add_f32_e32 v8, v8, v14
	v_cmp_ngt_f32_e32 vcc_lo, 0xc2ce8ed0, v5
	v_exp_f32_e32 v8, v8
	s_waitcnt_depctr 0xfff
	v_ldexp_f32 v6, v6, v9
	v_cvt_i32_f32_e32 v9, v15
	s_delay_alu instid0(VALU_DEP_2) | instskip(SKIP_1) | instid1(VALU_DEP_3)
	v_cndmask_b32_e32 v6, 0, v6, vcc_lo
	v_cmp_ngt_f32_e32 vcc_lo, 0xc2ce8ed0, v3
	v_ldexp_f32 v7, v8, v9
	v_cndmask_b32_e32 v4, 0, v4, vcc_lo
	v_cmp_nlt_f32_e32 vcc_lo, 0x42b17218, v5
	v_cndmask_b32_e32 v5, 0x7f800000, v6, vcc_lo
	v_cmp_ngt_f32_e32 vcc_lo, 0xc2ce8ed0, v1
	v_cndmask_b32_e32 v6, 0, v7, vcc_lo
	v_cmp_nlt_f32_e32 vcc_lo, 0x42b17218, v3
	v_cndmask_b32_e32 v33, 0x7f800000, v4, vcc_lo
	v_cmp_nlt_f32_e32 vcc_lo, 0x42b17218, v1
	v_cvt_f16_f32_e32 v1, v5
	v_cndmask_b32_e32 v35, 0x7f800000, v6, vcc_lo
	s_delay_alu instid0(VALU_DEP_2) | instskip(NEXT) | instid1(VALU_DEP_2)
	v_pk_mul_f16 v110, v110, v1 op_sel_hi:[1,0]
	v_fmac_f32_e32 v35, v34, v5
	v_cvt_f16_f32_e32 v3, v2
	s_delay_alu instid0(VALU_DEP_2) | instskip(NEXT) | instid1(VALU_DEP_2)
	v_dual_fmac_f32 v33, v36, v2 :: v_dual_mov_b32 v34, v35
	v_pk_mul_f16 v111, v111, v3 op_sel_hi:[1,0]
	v_mov_b32_e32 v0, v16
	v_dual_mov_b32 v4, v20 :: v_dual_mov_b32 v1, v17
	v_mov_b32_e32 v6, v22
	v_dual_mov_b32 v2, v18 :: v_dual_mov_b32 v3, v19
	v_dual_mov_b32 v8, v24 :: v_dual_mov_b32 v5, v21
	;; [unrolled: 1-line block ×5, first 2 shown]
	v_mov_b32_e32 v13, v29
	v_mov_b32_e32 v15, v31
	;; [unrolled: 1-line block ×4, first 2 shown]
.LBB0_13:
	s_mov_b32 s3, exec_lo
	v_cmpx_gt_i32_e64 s6, v80
	s_cbranch_execz .LBB0_86
; %bb.14:
	s_load_b32 s1, s[0:1], 0xd4
	v_mov_b32_e32 v18, 1.0
	s_waitcnt lgkmcnt(0)
	s_cmp_lg_u32 s1, 1
	s_cselect_b32 s5, -1, 0
	s_cmp_eq_u32 s1, 1
	s_cselect_b32 s4, -1, 0
	s_and_b32 vcc_lo, exec_lo, s5
	s_cbranch_vccnz .LBB0_16
; %bb.15:
	v_div_scale_f32 v16, null, v62, v62, 1.0
	s_delay_alu instid0(VALU_DEP_1) | instskip(SKIP_2) | instid1(VALU_DEP_1)
	v_rcp_f32_e32 v17, v16
	s_waitcnt_depctr 0xfff
	v_fma_f32 v18, -v16, v17, 1.0
	v_fmac_f32_e32 v17, v18, v17
	v_div_scale_f32 v18, vcc_lo, 1.0, v62, 1.0
	s_delay_alu instid0(VALU_DEP_1) | instskip(NEXT) | instid1(VALU_DEP_1)
	v_mul_f32_e32 v19, v18, v17
	v_fma_f32 v20, -v16, v19, v18
	s_delay_alu instid0(VALU_DEP_1) | instskip(NEXT) | instid1(VALU_DEP_1)
	v_fmac_f32_e32 v19, v20, v17
	v_fma_f32 v16, -v16, v19, v18
	s_delay_alu instid0(VALU_DEP_1) | instskip(NEXT) | instid1(VALU_DEP_1)
	v_div_fmas_f32 v16, v16, v17, v19
	v_div_fixup_f32 v18, v16, v62, 1.0
.LBB0_16:
	s_mul_i32 s3, s33, s6
	v_cvt_f32_f16_e32 v22, v127
	s_add_i32 s3, s3, s15
	v_cmp_eq_u32_e32 vcc_lo, 0, v79
	v_dual_mov_b32 v21, 0 :: v_dual_add_nc_u32 v16, s3, v61
	s_and_b32 s5, vcc_lo, s5
	s_delay_alu instid0(VALU_DEP_1) | instskip(NEXT) | instid1(VALU_DEP_1)
	v_mul_lo_u32 v19, v16, s7
	v_add_nc_u32_e32 v20, s2, v19
	s_delay_alu instid0(VALU_DEP_1) | instskip(SKIP_1) | instid1(VALU_DEP_1)
	v_mad_u64_u32 v[16:17], null, s1, v20, s[14:15]
	v_lshrrev_b32_e32 v17, 16, v127
	v_cvt_f32_f16_e32 v23, v17
	v_mul_f32_e32 v17, v18, v22
	s_delay_alu instid0(VALU_DEP_4) | instskip(NEXT) | instid1(VALU_DEP_3)
	v_lshl_add_u32 v20, v16, 6, v88
	v_mul_f32_e32 v18, v18, v23
	s_delay_alu instid0(VALU_DEP_2) | instskip(NEXT) | instid1(VALU_DEP_1)
	v_lshlrev_b64 v[20:21], 2, v[20:21]
	v_add_co_u32 v20, s0, s28, v20
	s_delay_alu instid0(VALU_DEP_1)
	v_add_co_ci_u32_e64 v21, s0, s29, v21, s0
	global_store_b64 v[20:21], v[17:18], off
	s_and_saveexec_b32 s0, s5
	s_cbranch_execz .LBB0_18
; %bb.17:
	v_ashrrev_i32_e32 v17, 31, v16
	v_mov_b32_e32 v61, v0
	s_delay_alu instid0(VALU_DEP_2) | instskip(NEXT) | instid1(VALU_DEP_1)
	v_lshlrev_b64 v[16:17], 3, v[16:17]
	v_add_co_u32 v16, vcc_lo, s30, v16
	s_delay_alu instid0(VALU_DEP_2)
	v_add_co_ci_u32_e32 v17, vcc_lo, s31, v17, vcc_lo
	global_store_b64 v[16:17], v[61:62], off
.LBB0_18:
	s_or_b32 exec_lo, exec_lo, s0
	v_cndmask_b32_e64 v18, 0, 1, s4
	v_mov_b32_e32 v0, 1.0
	s_and_not1_b32 vcc_lo, exec_lo, s4
	s_cbranch_vccnz .LBB0_20
; %bb.19:
	v_div_scale_f32 v0, null, v60, v60, 1.0
	s_delay_alu instid0(VALU_DEP_1) | instskip(SKIP_2) | instid1(VALU_DEP_1)
	v_rcp_f32_e32 v16, v0
	s_waitcnt_depctr 0xfff
	v_fma_f32 v17, -v0, v16, 1.0
	v_fmac_f32_e32 v16, v17, v16
	v_div_scale_f32 v17, vcc_lo, 1.0, v60, 1.0
	s_delay_alu instid0(VALU_DEP_1) | instskip(NEXT) | instid1(VALU_DEP_1)
	v_mul_f32_e32 v20, v17, v16
	v_fma_f32 v21, -v0, v20, v17
	s_delay_alu instid0(VALU_DEP_1) | instskip(NEXT) | instid1(VALU_DEP_1)
	v_fmac_f32_e32 v20, v21, v16
	v_fma_f32 v0, -v0, v20, v17
	s_delay_alu instid0(VALU_DEP_1) | instskip(NEXT) | instid1(VALU_DEP_1)
	v_div_fmas_f32 v0, v0, v16, v20
	v_div_fixup_f32 v0, v0, v60, 1.0
.LBB0_20:
	s_add_i32 s18, s2, 1
	v_cvt_f32_f16_e32 v22, v124
	v_dual_mov_b32 v21, 0 :: v_dual_add_nc_u32 v20, s18, v19
	s_delay_alu instid0(VALU_DEP_2) | instskip(NEXT) | instid1(VALU_DEP_2)
	v_mul_f32_e32 v22, v0, v22
	v_mad_u64_u32 v[16:17], null, s1, v20, s[14:15]
	v_lshrrev_b32_e32 v17, 16, v124
	s_delay_alu instid0(VALU_DEP_1) | instskip(NEXT) | instid1(VALU_DEP_3)
	v_cvt_f32_f16_e32 v17, v17
	v_lshl_add_u32 v20, v16, 6, v88
	s_delay_alu instid0(VALU_DEP_2) | instskip(NEXT) | instid1(VALU_DEP_2)
	v_mul_f32_e32 v23, v0, v17
	v_lshlrev_b64 v[20:21], 2, v[20:21]
	s_delay_alu instid0(VALU_DEP_1) | instskip(NEXT) | instid1(VALU_DEP_2)
	v_add_co_u32 v20, vcc_lo, s28, v20
	v_add_co_ci_u32_e32 v21, vcc_lo, s29, v21, vcc_lo
	global_store_b64 v[20:21], v[22:23], off
	s_and_saveexec_b32 s0, s5
	s_cbranch_execz .LBB0_22
; %bb.21:
	v_ashrrev_i32_e32 v17, 31, v16
	v_mov_b32_e32 v59, v1
	s_delay_alu instid0(VALU_DEP_2) | instskip(NEXT) | instid1(VALU_DEP_1)
	v_lshlrev_b64 v[16:17], 3, v[16:17]
	v_add_co_u32 v16, vcc_lo, s30, v16
	s_delay_alu instid0(VALU_DEP_2)
	v_add_co_ci_u32_e32 v17, vcc_lo, s31, v17, vcc_lo
	global_store_b64 v[16:17], v[59:60], off
.LBB0_22:
	s_or_b32 exec_lo, exec_lo, s0
	v_cmp_ne_u32_e32 vcc_lo, 1, v18
	v_mov_b32_e32 v16, 1.0
	s_cbranch_vccnz .LBB0_24
; %bb.23:
	v_div_scale_f32 v0, null, v58, v58, 1.0
	s_delay_alu instid0(VALU_DEP_1) | instskip(SKIP_2) | instid1(VALU_DEP_1)
	v_rcp_f32_e32 v1, v0
	s_waitcnt_depctr 0xfff
	v_fma_f32 v16, -v0, v1, 1.0
	v_fmac_f32_e32 v1, v16, v1
	v_div_scale_f32 v16, vcc_lo, 1.0, v58, 1.0
	s_delay_alu instid0(VALU_DEP_1) | instskip(NEXT) | instid1(VALU_DEP_1)
	v_mul_f32_e32 v17, v16, v1
	v_fma_f32 v20, -v0, v17, v16
	s_delay_alu instid0(VALU_DEP_1) | instskip(NEXT) | instid1(VALU_DEP_1)
	v_fmac_f32_e32 v17, v20, v1
	v_fma_f32 v0, -v0, v17, v16
	s_delay_alu instid0(VALU_DEP_1) | instskip(NEXT) | instid1(VALU_DEP_1)
	v_div_fmas_f32 v0, v0, v1, v17
	v_div_fixup_f32 v16, v0, v58, 1.0
.LBB0_24:
	s_add_i32 s16, s2, 2
	s_delay_alu instid0(SALU_CYCLE_1) | instskip(NEXT) | instid1(VALU_DEP_1)
	v_add_nc_u32_e32 v17, s16, v19
	v_mad_u64_u32 v[0:1], null, s1, v17, s[14:15]
	v_cvt_f32_f16_e32 v17, v123
	v_mov_b32_e32 v21, 0
	v_lshrrev_b32_e32 v1, 16, v123
	s_delay_alu instid0(VALU_DEP_3) | instskip(SKIP_1) | instid1(VALU_DEP_3)
	v_mul_f32_e32 v22, v16, v17
	v_lshl_add_u32 v20, v0, 6, v88
	v_cvt_f32_f16_e32 v1, v1
	s_delay_alu instid0(VALU_DEP_2) | instskip(NEXT) | instid1(VALU_DEP_2)
	v_lshlrev_b64 v[20:21], 2, v[20:21]
	v_mul_f32_e32 v23, v16, v1
	s_delay_alu instid0(VALU_DEP_2) | instskip(NEXT) | instid1(VALU_DEP_3)
	v_add_co_u32 v16, vcc_lo, s28, v20
	v_add_co_ci_u32_e32 v17, vcc_lo, s29, v21, vcc_lo
	global_store_b64 v[16:17], v[22:23], off
	s_and_saveexec_b32 s0, s5
	s_cbranch_execz .LBB0_26
; %bb.25:
	v_ashrrev_i32_e32 v1, 31, v0
	v_mov_b32_e32 v57, v2
	s_delay_alu instid0(VALU_DEP_2) | instskip(NEXT) | instid1(VALU_DEP_1)
	v_lshlrev_b64 v[0:1], 3, v[0:1]
	v_add_co_u32 v0, vcc_lo, s30, v0
	s_delay_alu instid0(VALU_DEP_2)
	v_add_co_ci_u32_e32 v1, vcc_lo, s31, v1, vcc_lo
	global_store_b64 v[0:1], v[57:58], off
.LBB0_26:
	s_or_b32 exec_lo, exec_lo, s0
	v_cmp_ne_u32_e32 vcc_lo, 1, v18
	v_mov_b32_e32 v2, 1.0
	s_cbranch_vccnz .LBB0_28
; %bb.27:
	v_div_scale_f32 v0, null, v56, v56, 1.0
	s_delay_alu instid0(VALU_DEP_1) | instskip(SKIP_2) | instid1(VALU_DEP_1)
	v_rcp_f32_e32 v1, v0
	s_waitcnt_depctr 0xfff
	v_fma_f32 v2, -v0, v1, 1.0
	v_fmac_f32_e32 v1, v2, v1
	v_div_scale_f32 v2, vcc_lo, 1.0, v56, 1.0
	s_delay_alu instid0(VALU_DEP_1) | instskip(NEXT) | instid1(VALU_DEP_1)
	v_mul_f32_e32 v16, v2, v1
	v_fma_f32 v17, -v0, v16, v2
	s_delay_alu instid0(VALU_DEP_1) | instskip(NEXT) | instid1(VALU_DEP_1)
	v_fmac_f32_e32 v16, v17, v1
	v_fma_f32 v0, -v0, v16, v2
	s_delay_alu instid0(VALU_DEP_1) | instskip(NEXT) | instid1(VALU_DEP_1)
	v_div_fmas_f32 v0, v0, v1, v16
	v_div_fixup_f32 v2, v0, v56, 1.0
.LBB0_28:
	s_add_i32 s12, s2, 3
	v_cvt_f32_f16_e32 v20, v122
	v_dual_mov_b32 v17, 0 :: v_dual_add_nc_u32 v16, s12, v19
	s_delay_alu instid0(VALU_DEP_1) | instskip(SKIP_1) | instid1(VALU_DEP_1)
	v_mad_u64_u32 v[0:1], null, s1, v16, s[14:15]
	v_lshrrev_b32_e32 v1, 16, v122
	v_cvt_f32_f16_e32 v21, v1
	s_delay_alu instid0(VALU_DEP_3) | instskip(SKIP_1) | instid1(VALU_DEP_3)
	v_lshl_add_u32 v16, v0, 6, v88
	v_mul_f32_e32 v1, v2, v20
	v_mul_f32_e32 v2, v2, v21
	s_delay_alu instid0(VALU_DEP_3) | instskip(NEXT) | instid1(VALU_DEP_1)
	v_lshlrev_b64 v[16:17], 2, v[16:17]
	v_add_co_u32 v16, vcc_lo, s28, v16
	s_delay_alu instid0(VALU_DEP_2)
	v_add_co_ci_u32_e32 v17, vcc_lo, s29, v17, vcc_lo
	global_store_b64 v[16:17], v[1:2], off
	s_and_saveexec_b32 s0, s5
	s_cbranch_execz .LBB0_30
; %bb.29:
	v_ashrrev_i32_e32 v1, 31, v0
	v_mov_b32_e32 v55, v3
	s_delay_alu instid0(VALU_DEP_2) | instskip(NEXT) | instid1(VALU_DEP_1)
	v_lshlrev_b64 v[0:1], 3, v[0:1]
	v_add_co_u32 v0, vcc_lo, s30, v0
	s_delay_alu instid0(VALU_DEP_2)
	v_add_co_ci_u32_e32 v1, vcc_lo, s31, v1, vcc_lo
	global_store_b64 v[0:1], v[55:56], off
.LBB0_30:
	s_or_b32 exec_lo, exec_lo, s0
	v_cmp_ne_u32_e32 vcc_lo, 1, v18
	v_mov_b32_e32 v2, 1.0
	s_cbranch_vccnz .LBB0_32
; %bb.31:
	v_div_scale_f32 v0, null, v54, v54, 1.0
	s_delay_alu instid0(VALU_DEP_1) | instskip(SKIP_2) | instid1(VALU_DEP_1)
	v_rcp_f32_e32 v1, v0
	s_waitcnt_depctr 0xfff
	v_fma_f32 v2, -v0, v1, 1.0
	v_fmac_f32_e32 v1, v2, v1
	v_div_scale_f32 v2, vcc_lo, 1.0, v54, 1.0
	s_delay_alu instid0(VALU_DEP_1) | instskip(NEXT) | instid1(VALU_DEP_1)
	v_mul_f32_e32 v3, v2, v1
	v_fma_f32 v16, -v0, v3, v2
	s_delay_alu instid0(VALU_DEP_1) | instskip(NEXT) | instid1(VALU_DEP_1)
	v_fmac_f32_e32 v3, v16, v1
	v_fma_f32 v0, -v0, v3, v2
	s_delay_alu instid0(VALU_DEP_1) | instskip(NEXT) | instid1(VALU_DEP_1)
	v_div_fmas_f32 v0, v0, v1, v3
	v_div_fixup_f32 v2, v0, v54, 1.0
.LBB0_32:
	s_add_i32 s10, s2, 4
	v_mov_b32_e32 v17, 0
	v_add_nc_u32_e32 v3, s10, v19
	s_delay_alu instid0(VALU_DEP_1) | instskip(SKIP_2) | instid1(VALU_DEP_2)
	v_mad_u64_u32 v[0:1], null, s1, v3, s[14:15]
	v_lshrrev_b32_e32 v1, 16, v121
	v_cvt_f32_f16_e32 v3, v121
	v_cvt_f32_f16_e32 v20, v1
	s_delay_alu instid0(VALU_DEP_4) | instskip(NEXT) | instid1(VALU_DEP_3)
	v_lshl_add_u32 v16, v0, 6, v88
	v_mul_f32_e32 v1, v2, v3
	s_delay_alu instid0(VALU_DEP_3) | instskip(NEXT) | instid1(VALU_DEP_3)
	v_mul_f32_e32 v2, v2, v20
	v_lshlrev_b64 v[16:17], 2, v[16:17]
	s_delay_alu instid0(VALU_DEP_1) | instskip(NEXT) | instid1(VALU_DEP_2)
	v_add_co_u32 v16, vcc_lo, s28, v16
	v_add_co_ci_u32_e32 v17, vcc_lo, s29, v17, vcc_lo
	global_store_b64 v[16:17], v[1:2], off
	s_and_saveexec_b32 s0, s5
	s_cbranch_execz .LBB0_34
; %bb.33:
	v_ashrrev_i32_e32 v1, 31, v0
	v_mov_b32_e32 v53, v4
	s_delay_alu instid0(VALU_DEP_2) | instskip(NEXT) | instid1(VALU_DEP_1)
	v_lshlrev_b64 v[0:1], 3, v[0:1]
	v_add_co_u32 v0, vcc_lo, s30, v0
	s_delay_alu instid0(VALU_DEP_2)
	v_add_co_ci_u32_e32 v1, vcc_lo, s31, v1, vcc_lo
	global_store_b64 v[0:1], v[53:54], off
.LBB0_34:
	s_or_b32 exec_lo, exec_lo, s0
	v_cmp_ne_u32_e32 vcc_lo, 1, v18
	v_mov_b32_e32 v2, 1.0
	s_cbranch_vccnz .LBB0_36
; %bb.35:
	v_div_scale_f32 v0, null, v52, v52, 1.0
	s_delay_alu instid0(VALU_DEP_1) | instskip(SKIP_2) | instid1(VALU_DEP_1)
	v_rcp_f32_e32 v1, v0
	s_waitcnt_depctr 0xfff
	v_fma_f32 v2, -v0, v1, 1.0
	v_fmac_f32_e32 v1, v2, v1
	v_div_scale_f32 v2, vcc_lo, 1.0, v52, 1.0
	s_delay_alu instid0(VALU_DEP_1) | instskip(NEXT) | instid1(VALU_DEP_1)
	v_mul_f32_e32 v3, v2, v1
	v_fma_f32 v4, -v0, v3, v2
	s_delay_alu instid0(VALU_DEP_1) | instskip(NEXT) | instid1(VALU_DEP_1)
	v_fmac_f32_e32 v3, v4, v1
	v_fma_f32 v0, -v0, v3, v2
	s_delay_alu instid0(VALU_DEP_1) | instskip(NEXT) | instid1(VALU_DEP_1)
	v_div_fmas_f32 v0, v0, v1, v3
	v_div_fixup_f32 v2, v0, v52, 1.0
.LBB0_36:
	s_add_i32 s8, s2, 5
	v_cvt_f32_f16_e32 v16, v120
	v_dual_mov_b32 v4, 0 :: v_dual_add_nc_u32 v3, s8, v19
	s_delay_alu instid0(VALU_DEP_1) | instskip(SKIP_1) | instid1(VALU_DEP_1)
	v_mad_u64_u32 v[0:1], null, s1, v3, s[14:15]
	v_lshrrev_b32_e32 v1, 16, v120
	v_cvt_f32_f16_e32 v17, v1
	s_delay_alu instid0(VALU_DEP_3) | instskip(SKIP_1) | instid1(VALU_DEP_3)
	v_lshl_add_u32 v3, v0, 6, v88
	v_mul_f32_e32 v1, v2, v16
	v_mul_f32_e32 v2, v2, v17
	s_delay_alu instid0(VALU_DEP_3) | instskip(NEXT) | instid1(VALU_DEP_1)
	v_lshlrev_b64 v[3:4], 2, v[3:4]
	v_add_co_u32 v3, vcc_lo, s28, v3
	s_delay_alu instid0(VALU_DEP_2)
	v_add_co_ci_u32_e32 v4, vcc_lo, s29, v4, vcc_lo
	global_store_b64 v[3:4], v[1:2], off
	s_and_saveexec_b32 s0, s5
	s_cbranch_execz .LBB0_38
; %bb.37:
	v_ashrrev_i32_e32 v1, 31, v0
	v_mov_b32_e32 v51, v5
	s_delay_alu instid0(VALU_DEP_2) | instskip(NEXT) | instid1(VALU_DEP_1)
	v_lshlrev_b64 v[0:1], 3, v[0:1]
	v_add_co_u32 v0, vcc_lo, s30, v0
	s_delay_alu instid0(VALU_DEP_2)
	v_add_co_ci_u32_e32 v1, vcc_lo, s31, v1, vcc_lo
	global_store_b64 v[0:1], v[51:52], off
.LBB0_38:
	s_or_b32 exec_lo, exec_lo, s0
	v_cmp_ne_u32_e32 vcc_lo, 1, v18
	v_mov_b32_e32 v2, 1.0
	s_cbranch_vccnz .LBB0_40
; %bb.39:
	v_div_scale_f32 v0, null, v50, v50, 1.0
	s_delay_alu instid0(VALU_DEP_1) | instskip(SKIP_2) | instid1(VALU_DEP_1)
	v_rcp_f32_e32 v1, v0
	s_waitcnt_depctr 0xfff
	v_fma_f32 v2, -v0, v1, 1.0
	v_fmac_f32_e32 v1, v2, v1
	v_div_scale_f32 v2, vcc_lo, 1.0, v50, 1.0
	s_delay_alu instid0(VALU_DEP_1) | instskip(NEXT) | instid1(VALU_DEP_1)
	v_mul_f32_e32 v3, v2, v1
	v_fma_f32 v4, -v0, v3, v2
	s_delay_alu instid0(VALU_DEP_1) | instskip(NEXT) | instid1(VALU_DEP_1)
	v_fmac_f32_e32 v3, v4, v1
	v_fma_f32 v0, -v0, v3, v2
	s_delay_alu instid0(VALU_DEP_1) | instskip(NEXT) | instid1(VALU_DEP_1)
	v_div_fmas_f32 v0, v0, v1, v3
	v_div_fixup_f32 v2, v0, v50, 1.0
.LBB0_40:
	s_add_i32 s4, s2, 6
	v_cvt_f32_f16_e32 v5, v119
	v_dual_mov_b32 v4, 0 :: v_dual_add_nc_u32 v3, s4, v19
	s_delay_alu instid0(VALU_DEP_1) | instskip(SKIP_1) | instid1(VALU_DEP_1)
	v_mad_u64_u32 v[0:1], null, s1, v3, s[14:15]
	v_lshrrev_b32_e32 v1, 16, v119
	v_cvt_f32_f16_e32 v16, v1
	s_delay_alu instid0(VALU_DEP_3) | instskip(SKIP_1) | instid1(VALU_DEP_3)
	v_lshl_add_u32 v3, v0, 6, v88
	v_mul_f32_e32 v1, v2, v5
	v_mul_f32_e32 v2, v2, v16
	s_delay_alu instid0(VALU_DEP_3) | instskip(NEXT) | instid1(VALU_DEP_1)
	v_lshlrev_b64 v[3:4], 2, v[3:4]
	v_add_co_u32 v3, vcc_lo, s28, v3
	s_delay_alu instid0(VALU_DEP_2)
	;; [unrolled: 51-line block ×3, first 2 shown]
	v_add_co_ci_u32_e32 v4, vcc_lo, s29, v4, vcc_lo
	global_store_b64 v[3:4], v[1:2], off
	s_and_saveexec_b32 s9, s5
	s_cbranch_execz .LBB0_46
; %bb.45:
	v_ashrrev_i32_e32 v1, 31, v0
	v_mov_b32_e32 v47, v7
	s_delay_alu instid0(VALU_DEP_2) | instskip(NEXT) | instid1(VALU_DEP_1)
	v_lshlrev_b64 v[0:1], 3, v[0:1]
	v_add_co_u32 v0, vcc_lo, s30, v0
	s_delay_alu instid0(VALU_DEP_2)
	v_add_co_ci_u32_e32 v1, vcc_lo, s31, v1, vcc_lo
	global_store_b64 v[0:1], v[47:48], off
.LBB0_46:
	s_or_b32 exec_lo, exec_lo, s9
	v_cmp_gt_i32_e32 vcc_lo, s6, v78
	s_and_b32 exec_lo, exec_lo, vcc_lo
	s_cbranch_execz .LBB0_86
; %bb.47:
	v_cmp_ne_u32_e32 vcc_lo, 1, v18
	v_mov_b32_e32 v2, 1.0
	s_cbranch_vccnz .LBB0_49
; %bb.48:
	v_div_scale_f32 v0, null, v46, v46, 1.0
	s_delay_alu instid0(VALU_DEP_1) | instskip(SKIP_2) | instid1(VALU_DEP_1)
	v_rcp_f32_e32 v1, v0
	s_waitcnt_depctr 0xfff
	v_fma_f32 v2, -v0, v1, 1.0
	v_fmac_f32_e32 v1, v2, v1
	v_div_scale_f32 v2, vcc_lo, 1.0, v46, 1.0
	s_delay_alu instid0(VALU_DEP_1) | instskip(NEXT) | instid1(VALU_DEP_1)
	v_mul_f32_e32 v3, v2, v1
	v_fma_f32 v4, -v0, v3, v2
	s_delay_alu instid0(VALU_DEP_1) | instskip(NEXT) | instid1(VALU_DEP_1)
	v_fmac_f32_e32 v3, v4, v1
	v_fma_f32 v0, -v0, v3, v2
	s_delay_alu instid0(VALU_DEP_1) | instskip(NEXT) | instid1(VALU_DEP_1)
	v_div_fmas_f32 v0, v0, v1, v3
	v_div_fixup_f32 v2, v0, v46, 1.0
.LBB0_49:
	v_add_nc_u32_e32 v0, s3, v77
	v_cvt_f32_f16_e32 v5, v117
	s_delay_alu instid0(VALU_DEP_2) | instskip(SKIP_1) | instid1(VALU_DEP_2)
	v_mad_u64_u32 v[3:4], null, v0, s7, s[2:3]
	v_mov_b32_e32 v4, 0
	v_mad_u64_u32 v[0:1], null, s1, v3, s[14:15]
	v_lshrrev_b32_e32 v1, 16, v117
	s_delay_alu instid0(VALU_DEP_1) | instskip(SKIP_1) | instid1(VALU_DEP_4)
	v_cvt_f32_f16_e32 v6, v1
	v_mul_f32_e32 v1, v2, v5
	v_lshl_add_u32 v3, v0, 6, v88
	s_delay_alu instid0(VALU_DEP_3) | instskip(NEXT) | instid1(VALU_DEP_2)
	v_mul_f32_e32 v2, v2, v6
	v_lshlrev_b64 v[3:4], 2, v[3:4]
	s_delay_alu instid0(VALU_DEP_1) | instskip(NEXT) | instid1(VALU_DEP_2)
	v_add_co_u32 v3, vcc_lo, s28, v3
	v_add_co_ci_u32_e32 v4, vcc_lo, s29, v4, vcc_lo
	global_store_b64 v[3:4], v[1:2], off
	s_and_saveexec_b32 s2, s5
	s_cbranch_execz .LBB0_51
; %bb.50:
	v_ashrrev_i32_e32 v1, 31, v0
	v_mov_b32_e32 v45, v8
	s_delay_alu instid0(VALU_DEP_2) | instskip(NEXT) | instid1(VALU_DEP_1)
	v_lshlrev_b64 v[0:1], 3, v[0:1]
	v_add_co_u32 v0, vcc_lo, s30, v0
	s_delay_alu instid0(VALU_DEP_2)
	v_add_co_ci_u32_e32 v1, vcc_lo, s31, v1, vcc_lo
	global_store_b64 v[0:1], v[45:46], off
.LBB0_51:
	s_or_b32 exec_lo, exec_lo, s2
	v_cmp_gt_i32_e32 vcc_lo, s6, v76
	s_and_b32 exec_lo, exec_lo, vcc_lo
	s_cbranch_execz .LBB0_86
; %bb.52:
	v_cmp_ne_u32_e32 vcc_lo, 1, v18
	v_mov_b32_e32 v2, 1.0
	s_cbranch_vccnz .LBB0_54
; %bb.53:
	v_div_scale_f32 v0, null, v44, v44, 1.0
	s_delay_alu instid0(VALU_DEP_1) | instskip(SKIP_2) | instid1(VALU_DEP_1)
	v_rcp_f32_e32 v1, v0
	s_waitcnt_depctr 0xfff
	v_fma_f32 v2, -v0, v1, 1.0
	v_fmac_f32_e32 v1, v2, v1
	v_div_scale_f32 v2, vcc_lo, 1.0, v44, 1.0
	s_delay_alu instid0(VALU_DEP_1) | instskip(NEXT) | instid1(VALU_DEP_1)
	v_mul_f32_e32 v3, v2, v1
	v_fma_f32 v4, -v0, v3, v2
	s_delay_alu instid0(VALU_DEP_1) | instskip(NEXT) | instid1(VALU_DEP_1)
	v_fmac_f32_e32 v3, v4, v1
	v_fma_f32 v0, -v0, v3, v2
	s_delay_alu instid0(VALU_DEP_1) | instskip(NEXT) | instid1(VALU_DEP_1)
	v_div_fmas_f32 v0, v0, v1, v3
	v_div_fixup_f32 v2, v0, v44, 1.0
.LBB0_54:
	v_cvt_f32_f16_e32 v5, v116
	v_add_nc_u32_e32 v0, s3, v75
	s_delay_alu instid0(VALU_DEP_1) | instskip(SKIP_1) | instid1(VALU_DEP_2)
	v_mad_u64_u32 v[3:4], null, v0, s7, s[18:19]
	v_mov_b32_e32 v4, 0
	v_mad_u64_u32 v[0:1], null, s1, v3, s[14:15]
	v_lshrrev_b32_e32 v1, 16, v116
	s_delay_alu instid0(VALU_DEP_1) | instskip(SKIP_1) | instid1(VALU_DEP_4)
	v_cvt_f32_f16_e32 v6, v1
	v_mul_f32_e32 v1, v2, v5
	v_lshl_add_u32 v3, v0, 6, v88
	s_delay_alu instid0(VALU_DEP_3) | instskip(NEXT) | instid1(VALU_DEP_2)
	v_mul_f32_e32 v2, v2, v6
	v_lshlrev_b64 v[3:4], 2, v[3:4]
	s_delay_alu instid0(VALU_DEP_1) | instskip(NEXT) | instid1(VALU_DEP_2)
	v_add_co_u32 v3, vcc_lo, s28, v3
	v_add_co_ci_u32_e32 v4, vcc_lo, s29, v4, vcc_lo
	global_store_b64 v[3:4], v[1:2], off
	s_and_saveexec_b32 s2, s5
	s_cbranch_execz .LBB0_56
; %bb.55:
	v_ashrrev_i32_e32 v1, 31, v0
	v_mov_b32_e32 v43, v9
	s_delay_alu instid0(VALU_DEP_2) | instskip(NEXT) | instid1(VALU_DEP_1)
	v_lshlrev_b64 v[0:1], 3, v[0:1]
	v_add_co_u32 v0, vcc_lo, s30, v0
	s_delay_alu instid0(VALU_DEP_2)
	v_add_co_ci_u32_e32 v1, vcc_lo, s31, v1, vcc_lo
	global_store_b64 v[0:1], v[43:44], off
.LBB0_56:
	s_or_b32 exec_lo, exec_lo, s2
	v_cmp_gt_i32_e32 vcc_lo, s6, v74
	s_and_b32 exec_lo, exec_lo, vcc_lo
	s_cbranch_execz .LBB0_86
; %bb.57:
	v_cmp_ne_u32_e32 vcc_lo, 1, v18
	v_mov_b32_e32 v2, 1.0
	s_cbranch_vccnz .LBB0_59
; %bb.58:
	v_div_scale_f32 v0, null, v29, v29, 1.0
	s_delay_alu instid0(VALU_DEP_1) | instskip(SKIP_2) | instid1(VALU_DEP_1)
	v_rcp_f32_e32 v1, v0
	s_waitcnt_depctr 0xfff
	v_fma_f32 v2, -v0, v1, 1.0
	v_fmac_f32_e32 v1, v2, v1
	v_div_scale_f32 v2, vcc_lo, 1.0, v29, 1.0
	s_delay_alu instid0(VALU_DEP_1) | instskip(NEXT) | instid1(VALU_DEP_1)
	v_mul_f32_e32 v3, v2, v1
	v_fma_f32 v4, -v0, v3, v2
	s_delay_alu instid0(VALU_DEP_1) | instskip(NEXT) | instid1(VALU_DEP_1)
	v_fmac_f32_e32 v3, v4, v1
	v_fma_f32 v0, -v0, v3, v2
	s_delay_alu instid0(VALU_DEP_1) | instskip(NEXT) | instid1(VALU_DEP_1)
	v_div_fmas_f32 v0, v0, v1, v3
	v_div_fixup_f32 v2, v0, v29, 1.0
.LBB0_59:
	v_add_nc_u32_e32 v0, s3, v73
	v_cvt_f32_f16_e32 v5, v115
	s_delay_alu instid0(VALU_DEP_2) | instskip(SKIP_1) | instid1(VALU_DEP_2)
	v_mad_u64_u32 v[3:4], null, v0, s7, s[16:17]
	v_mov_b32_e32 v4, 0
	v_mad_u64_u32 v[0:1], null, s1, v3, s[14:15]
	v_lshrrev_b32_e32 v1, 16, v115
	s_delay_alu instid0(VALU_DEP_1) | instskip(SKIP_1) | instid1(VALU_DEP_4)
	v_cvt_f32_f16_e32 v6, v1
	v_mul_f32_e32 v1, v2, v5
	v_lshl_add_u32 v3, v0, 6, v88
	s_delay_alu instid0(VALU_DEP_3) | instskip(NEXT) | instid1(VALU_DEP_2)
	v_mul_f32_e32 v2, v2, v6
	v_lshlrev_b64 v[3:4], 2, v[3:4]
	s_delay_alu instid0(VALU_DEP_1) | instskip(NEXT) | instid1(VALU_DEP_2)
	v_add_co_u32 v3, vcc_lo, s28, v3
	v_add_co_ci_u32_e32 v4, vcc_lo, s29, v4, vcc_lo
	global_store_b64 v[3:4], v[1:2], off
	s_and_saveexec_b32 s2, s5
	s_cbranch_execz .LBB0_61
; %bb.60:
	v_ashrrev_i32_e32 v1, 31, v0
	v_mov_b32_e32 v28, v10
	s_delay_alu instid0(VALU_DEP_2) | instskip(NEXT) | instid1(VALU_DEP_1)
	v_lshlrev_b64 v[0:1], 3, v[0:1]
	v_add_co_u32 v0, vcc_lo, s30, v0
	s_delay_alu instid0(VALU_DEP_2)
	v_add_co_ci_u32_e32 v1, vcc_lo, s31, v1, vcc_lo
	global_store_b64 v[0:1], v[28:29], off
.LBB0_61:
	s_or_b32 exec_lo, exec_lo, s2
	v_cmp_gt_i32_e32 vcc_lo, s6, v72
	s_and_b32 exec_lo, exec_lo, vcc_lo
	s_cbranch_execz .LBB0_86
; %bb.62:
	v_cmp_ne_u32_e32 vcc_lo, 1, v18
	v_mov_b32_e32 v2, 1.0
	s_cbranch_vccnz .LBB0_64
; %bb.63:
	v_div_scale_f32 v0, null, v42, v42, 1.0
	s_delay_alu instid0(VALU_DEP_1) | instskip(SKIP_2) | instid1(VALU_DEP_1)
	v_rcp_f32_e32 v1, v0
	s_waitcnt_depctr 0xfff
	v_fma_f32 v2, -v0, v1, 1.0
	v_fmac_f32_e32 v1, v2, v1
	v_div_scale_f32 v2, vcc_lo, 1.0, v42, 1.0
	s_delay_alu instid0(VALU_DEP_1) | instskip(NEXT) | instid1(VALU_DEP_1)
	v_mul_f32_e32 v3, v2, v1
	v_fma_f32 v4, -v0, v3, v2
	s_delay_alu instid0(VALU_DEP_1) | instskip(NEXT) | instid1(VALU_DEP_1)
	v_fmac_f32_e32 v3, v4, v1
	v_fma_f32 v0, -v0, v3, v2
	s_delay_alu instid0(VALU_DEP_1) | instskip(NEXT) | instid1(VALU_DEP_1)
	v_div_fmas_f32 v0, v0, v1, v3
	v_div_fixup_f32 v2, v0, v42, 1.0
.LBB0_64:
	v_cvt_f32_f16_e32 v5, v114
	v_add_nc_u32_e32 v0, s3, v71
	s_delay_alu instid0(VALU_DEP_1) | instskip(SKIP_1) | instid1(VALU_DEP_2)
	v_mad_u64_u32 v[3:4], null, v0, s7, s[12:13]
	v_mov_b32_e32 v4, 0
	v_mad_u64_u32 v[0:1], null, s1, v3, s[14:15]
	v_lshrrev_b32_e32 v1, 16, v114
	s_delay_alu instid0(VALU_DEP_1) | instskip(SKIP_1) | instid1(VALU_DEP_4)
	v_cvt_f32_f16_e32 v6, v1
	v_mul_f32_e32 v1, v2, v5
	v_lshl_add_u32 v3, v0, 6, v88
	s_delay_alu instid0(VALU_DEP_3) | instskip(NEXT) | instid1(VALU_DEP_2)
	v_mul_f32_e32 v2, v2, v6
	v_lshlrev_b64 v[3:4], 2, v[3:4]
	s_delay_alu instid0(VALU_DEP_1) | instskip(NEXT) | instid1(VALU_DEP_2)
	v_add_co_u32 v3, vcc_lo, s28, v3
	v_add_co_ci_u32_e32 v4, vcc_lo, s29, v4, vcc_lo
	global_store_b64 v[3:4], v[1:2], off
	s_and_saveexec_b32 s2, s5
	s_cbranch_execz .LBB0_66
; %bb.65:
	v_ashrrev_i32_e32 v1, 31, v0
	v_mov_b32_e32 v41, v11
	s_delay_alu instid0(VALU_DEP_2) | instskip(NEXT) | instid1(VALU_DEP_1)
	v_lshlrev_b64 v[0:1], 3, v[0:1]
	v_add_co_u32 v0, vcc_lo, s30, v0
	s_delay_alu instid0(VALU_DEP_2)
	v_add_co_ci_u32_e32 v1, vcc_lo, s31, v1, vcc_lo
	global_store_b64 v[0:1], v[41:42], off
.LBB0_66:
	s_or_b32 exec_lo, exec_lo, s2
	v_cmp_gt_i32_e32 vcc_lo, s6, v70
	s_and_b32 exec_lo, exec_lo, vcc_lo
	s_cbranch_execz .LBB0_86
; %bb.67:
	v_cmp_ne_u32_e32 vcc_lo, 1, v18
	v_mov_b32_e32 v2, 1.0
	s_cbranch_vccnz .LBB0_69
; %bb.68:
	v_div_scale_f32 v0, null, v40, v40, 1.0
	s_delay_alu instid0(VALU_DEP_1) | instskip(SKIP_2) | instid1(VALU_DEP_1)
	v_rcp_f32_e32 v1, v0
	s_waitcnt_depctr 0xfff
	v_fma_f32 v2, -v0, v1, 1.0
	v_fmac_f32_e32 v1, v2, v1
	v_div_scale_f32 v2, vcc_lo, 1.0, v40, 1.0
	s_delay_alu instid0(VALU_DEP_1) | instskip(NEXT) | instid1(VALU_DEP_1)
	v_mul_f32_e32 v3, v2, v1
	v_fma_f32 v4, -v0, v3, v2
	s_delay_alu instid0(VALU_DEP_1) | instskip(NEXT) | instid1(VALU_DEP_1)
	v_fmac_f32_e32 v3, v4, v1
	v_fma_f32 v0, -v0, v3, v2
	s_delay_alu instid0(VALU_DEP_1) | instskip(NEXT) | instid1(VALU_DEP_1)
	v_div_fmas_f32 v0, v0, v1, v3
	v_div_fixup_f32 v2, v0, v40, 1.0
.LBB0_69:
	v_add_nc_u32_e32 v0, s3, v69
	v_cvt_f32_f16_e32 v5, v113
	s_delay_alu instid0(VALU_DEP_2) | instskip(SKIP_1) | instid1(VALU_DEP_2)
	v_mad_u64_u32 v[3:4], null, v0, s7, s[10:11]
	v_mov_b32_e32 v4, 0
	v_mad_u64_u32 v[0:1], null, s1, v3, s[14:15]
	v_lshrrev_b32_e32 v1, 16, v113
	s_delay_alu instid0(VALU_DEP_1) | instskip(SKIP_1) | instid1(VALU_DEP_4)
	v_cvt_f32_f16_e32 v6, v1
	v_mul_f32_e32 v1, v2, v5
	v_lshl_add_u32 v3, v0, 6, v88
	s_delay_alu instid0(VALU_DEP_3) | instskip(NEXT) | instid1(VALU_DEP_2)
	v_mul_f32_e32 v2, v2, v6
	v_lshlrev_b64 v[3:4], 2, v[3:4]
	s_delay_alu instid0(VALU_DEP_1) | instskip(NEXT) | instid1(VALU_DEP_2)
	v_add_co_u32 v3, vcc_lo, s28, v3
	v_add_co_ci_u32_e32 v4, vcc_lo, s29, v4, vcc_lo
	global_store_b64 v[3:4], v[1:2], off
	s_and_saveexec_b32 s2, s5
	s_cbranch_execz .LBB0_71
; %bb.70:
	v_ashrrev_i32_e32 v1, 31, v0
	v_mov_b32_e32 v39, v12
	s_delay_alu instid0(VALU_DEP_2) | instskip(NEXT) | instid1(VALU_DEP_1)
	v_lshlrev_b64 v[0:1], 3, v[0:1]
	v_add_co_u32 v0, vcc_lo, s30, v0
	s_delay_alu instid0(VALU_DEP_2)
	v_add_co_ci_u32_e32 v1, vcc_lo, s31, v1, vcc_lo
	global_store_b64 v[0:1], v[39:40], off
.LBB0_71:
	s_or_b32 exec_lo, exec_lo, s2
	v_cmp_gt_i32_e32 vcc_lo, s6, v68
	s_and_b32 exec_lo, exec_lo, vcc_lo
	s_cbranch_execz .LBB0_86
; %bb.72:
	v_cmp_ne_u32_e32 vcc_lo, 1, v18
	v_mov_b32_e32 v2, 1.0
	s_cbranch_vccnz .LBB0_74
; %bb.73:
	v_div_scale_f32 v0, null, v38, v38, 1.0
	s_delay_alu instid0(VALU_DEP_1) | instskip(SKIP_2) | instid1(VALU_DEP_1)
	v_rcp_f32_e32 v1, v0
	s_waitcnt_depctr 0xfff
	v_fma_f32 v2, -v0, v1, 1.0
	v_fmac_f32_e32 v1, v2, v1
	v_div_scale_f32 v2, vcc_lo, 1.0, v38, 1.0
	s_delay_alu instid0(VALU_DEP_1) | instskip(NEXT) | instid1(VALU_DEP_1)
	v_mul_f32_e32 v3, v2, v1
	v_fma_f32 v4, -v0, v3, v2
	s_delay_alu instid0(VALU_DEP_1) | instskip(NEXT) | instid1(VALU_DEP_1)
	v_fmac_f32_e32 v3, v4, v1
	v_fma_f32 v0, -v0, v3, v2
	s_delay_alu instid0(VALU_DEP_1) | instskip(NEXT) | instid1(VALU_DEP_1)
	v_div_fmas_f32 v0, v0, v1, v3
	v_div_fixup_f32 v2, v0, v38, 1.0
.LBB0_74:
	v_cvt_f32_f16_e32 v5, v112
	v_add_nc_u32_e32 v0, s3, v66
	s_delay_alu instid0(VALU_DEP_1) | instskip(SKIP_1) | instid1(VALU_DEP_2)
	v_mad_u64_u32 v[3:4], null, v0, s7, s[8:9]
	v_mov_b32_e32 v4, 0
	v_mad_u64_u32 v[0:1], null, s1, v3, s[14:15]
	v_lshrrev_b32_e32 v1, 16, v112
	s_delay_alu instid0(VALU_DEP_1) | instskip(SKIP_1) | instid1(VALU_DEP_4)
	v_cvt_f32_f16_e32 v6, v1
	v_mul_f32_e32 v1, v2, v5
	v_lshl_add_u32 v3, v0, 6, v88
	s_delay_alu instid0(VALU_DEP_3) | instskip(NEXT) | instid1(VALU_DEP_2)
	v_mul_f32_e32 v2, v2, v6
	v_lshlrev_b64 v[3:4], 2, v[3:4]
	s_delay_alu instid0(VALU_DEP_1) | instskip(NEXT) | instid1(VALU_DEP_2)
	v_add_co_u32 v3, vcc_lo, s28, v3
	v_add_co_ci_u32_e32 v4, vcc_lo, s29, v4, vcc_lo
	global_store_b64 v[3:4], v[1:2], off
	s_and_saveexec_b32 s2, s5
	s_cbranch_execz .LBB0_76
; %bb.75:
	v_ashrrev_i32_e32 v1, 31, v0
	v_mov_b32_e32 v37, v13
	s_delay_alu instid0(VALU_DEP_2) | instskip(NEXT) | instid1(VALU_DEP_1)
	v_lshlrev_b64 v[0:1], 3, v[0:1]
	v_add_co_u32 v0, vcc_lo, s30, v0
	s_delay_alu instid0(VALU_DEP_2)
	v_add_co_ci_u32_e32 v1, vcc_lo, s31, v1, vcc_lo
	global_store_b64 v[0:1], v[37:38], off
.LBB0_76:
	s_or_b32 exec_lo, exec_lo, s2
	v_cmp_gt_i32_e32 vcc_lo, s6, v67
	s_and_b32 exec_lo, exec_lo, vcc_lo
	s_cbranch_execz .LBB0_86
; %bb.77:
	v_cmp_ne_u32_e32 vcc_lo, 1, v18
	v_mov_b32_e32 v2, 1.0
	s_cbranch_vccnz .LBB0_79
; %bb.78:
	v_div_scale_f32 v0, null, v36, v36, 1.0
	s_delay_alu instid0(VALU_DEP_1) | instskip(SKIP_2) | instid1(VALU_DEP_1)
	v_rcp_f32_e32 v1, v0
	s_waitcnt_depctr 0xfff
	v_fma_f32 v2, -v0, v1, 1.0
	v_fmac_f32_e32 v1, v2, v1
	v_div_scale_f32 v2, vcc_lo, 1.0, v36, 1.0
	s_delay_alu instid0(VALU_DEP_1) | instskip(NEXT) | instid1(VALU_DEP_1)
	v_mul_f32_e32 v3, v2, v1
	v_fma_f32 v4, -v0, v3, v2
	s_delay_alu instid0(VALU_DEP_1) | instskip(NEXT) | instid1(VALU_DEP_1)
	v_fmac_f32_e32 v3, v4, v1
	v_fma_f32 v0, -v0, v3, v2
	s_delay_alu instid0(VALU_DEP_1) | instskip(NEXT) | instid1(VALU_DEP_1)
	v_div_fmas_f32 v0, v0, v1, v3
	v_div_fixup_f32 v2, v0, v36, 1.0
.LBB0_79:
	v_add_nc_u32_e32 v0, s3, v65
	v_cvt_f32_f16_e32 v5, v111
	s_delay_alu instid0(VALU_DEP_2) | instskip(SKIP_1) | instid1(VALU_DEP_2)
	v_mad_u64_u32 v[3:4], null, v0, s7, s[4:5]
	v_mov_b32_e32 v4, 0
	v_mad_u64_u32 v[0:1], null, s1, v3, s[14:15]
	v_lshrrev_b32_e32 v1, 16, v111
	s_delay_alu instid0(VALU_DEP_1) | instskip(SKIP_1) | instid1(VALU_DEP_4)
	v_cvt_f32_f16_e32 v6, v1
	v_mul_f32_e32 v1, v2, v5
	v_lshl_add_u32 v3, v0, 6, v88
	s_delay_alu instid0(VALU_DEP_3) | instskip(NEXT) | instid1(VALU_DEP_2)
	v_mul_f32_e32 v2, v2, v6
	v_lshlrev_b64 v[3:4], 2, v[3:4]
	s_delay_alu instid0(VALU_DEP_1) | instskip(NEXT) | instid1(VALU_DEP_2)
	v_add_co_u32 v3, vcc_lo, s28, v3
	v_add_co_ci_u32_e32 v4, vcc_lo, s29, v4, vcc_lo
	global_store_b64 v[3:4], v[1:2], off
	s_and_saveexec_b32 s2, s5
	s_cbranch_execz .LBB0_81
; %bb.80:
	v_ashrrev_i32_e32 v1, 31, v0
	v_mov_b32_e32 v35, v14
	s_delay_alu instid0(VALU_DEP_2) | instskip(NEXT) | instid1(VALU_DEP_1)
	v_lshlrev_b64 v[0:1], 3, v[0:1]
	v_add_co_u32 v0, vcc_lo, s30, v0
	s_delay_alu instid0(VALU_DEP_2)
	v_add_co_ci_u32_e32 v1, vcc_lo, s31, v1, vcc_lo
	global_store_b64 v[0:1], v[35:36], off
.LBB0_81:
	s_or_b32 exec_lo, exec_lo, s2
	v_cmp_gt_i32_e32 vcc_lo, s6, v64
	s_and_b32 exec_lo, exec_lo, vcc_lo
	s_cbranch_execz .LBB0_86
; %bb.82:
	v_cmp_ne_u32_e32 vcc_lo, 1, v18
	v_mov_b32_e32 v2, 1.0
	s_cbranch_vccnz .LBB0_84
; %bb.83:
	v_div_scale_f32 v0, null, v34, v34, 1.0
	s_delay_alu instid0(VALU_DEP_1) | instskip(SKIP_2) | instid1(VALU_DEP_1)
	v_rcp_f32_e32 v1, v0
	s_waitcnt_depctr 0xfff
	v_fma_f32 v2, -v0, v1, 1.0
	v_fmac_f32_e32 v1, v2, v1
	v_div_scale_f32 v2, vcc_lo, 1.0, v34, 1.0
	s_delay_alu instid0(VALU_DEP_1) | instskip(NEXT) | instid1(VALU_DEP_1)
	v_mul_f32_e32 v3, v2, v1
	v_fma_f32 v4, -v0, v3, v2
	s_delay_alu instid0(VALU_DEP_1) | instskip(NEXT) | instid1(VALU_DEP_1)
	v_fmac_f32_e32 v3, v4, v1
	v_fma_f32 v0, -v0, v3, v2
	s_delay_alu instid0(VALU_DEP_1) | instskip(NEXT) | instid1(VALU_DEP_1)
	v_div_fmas_f32 v0, v0, v1, v3
	v_div_fixup_f32 v2, v0, v34, 1.0
.LBB0_84:
	v_cvt_f32_f16_e32 v5, v110
	v_add_nc_u32_e32 v0, s3, v63
	s_delay_alu instid0(VALU_DEP_1) | instskip(SKIP_1) | instid1(VALU_DEP_2)
	v_mad_u64_u32 v[3:4], null, v0, s7, s[0:1]
	v_mov_b32_e32 v4, 0
	v_mad_u64_u32 v[0:1], null, s1, v3, s[14:15]
	v_lshrrev_b32_e32 v1, 16, v110
	s_delay_alu instid0(VALU_DEP_1) | instskip(SKIP_1) | instid1(VALU_DEP_4)
	v_cvt_f32_f16_e32 v6, v1
	v_mul_f32_e32 v1, v2, v5
	v_lshl_add_u32 v3, v0, 6, v88
	s_delay_alu instid0(VALU_DEP_3) | instskip(NEXT) | instid1(VALU_DEP_2)
	v_mul_f32_e32 v2, v2, v6
	v_lshlrev_b64 v[3:4], 2, v[3:4]
	s_delay_alu instid0(VALU_DEP_1) | instskip(NEXT) | instid1(VALU_DEP_2)
	v_add_co_u32 v3, vcc_lo, s28, v3
	v_add_co_ci_u32_e32 v4, vcc_lo, s29, v4, vcc_lo
	global_store_b64 v[3:4], v[1:2], off
	s_and_b32 exec_lo, exec_lo, s5
	s_cbranch_execz .LBB0_86
; %bb.85:
	v_ashrrev_i32_e32 v1, 31, v0
	v_mov_b32_e32 v33, v15
	s_delay_alu instid0(VALU_DEP_2) | instskip(NEXT) | instid1(VALU_DEP_1)
	v_lshlrev_b64 v[0:1], 3, v[0:1]
	v_add_co_u32 v0, vcc_lo, s30, v0
	s_delay_alu instid0(VALU_DEP_2)
	v_add_co_ci_u32_e32 v1, vcc_lo, s31, v1, vcc_lo
	global_store_b64 v[0:1], v[33:34], off
.LBB0_86:
	s_nop 0
	s_sendmsg sendmsg(MSG_DEALLOC_VGPRS)
	s_endpgm
	.section	.rodata,"a",@progbits
	.p2align	6, 0x0
	.amdhsa_kernel _ZL15flash_attn_tileILi64ELi64ELi8ELi8ELb0EEvPKcS1_S1_S1_S1_PKiPfP15HIP_vector_typeIfLj2EEffffjfiS5_IjLj3EEiiiiiiiiiiiliiliiiiil
		.amdhsa_group_segment_fixed_size 25600
		.amdhsa_private_segment_fixed_size 0
		.amdhsa_kernarg_size 464
		.amdhsa_user_sgpr_count 13
		.amdhsa_user_sgpr_dispatch_ptr 0
		.amdhsa_user_sgpr_queue_ptr 0
		.amdhsa_user_sgpr_kernarg_segment_ptr 1
		.amdhsa_user_sgpr_dispatch_id 0
		.amdhsa_user_sgpr_private_segment_size 0
		.amdhsa_wavefront_size32 1
		.amdhsa_uses_dynamic_stack 0
		.amdhsa_enable_private_segment 0
		.amdhsa_system_sgpr_workgroup_id_x 1
		.amdhsa_system_sgpr_workgroup_id_y 1
		.amdhsa_system_sgpr_workgroup_id_z 1
		.amdhsa_system_sgpr_workgroup_info 0
		.amdhsa_system_vgpr_workitem_id 1
		.amdhsa_next_free_vgpr 228
		.amdhsa_next_free_sgpr 58
		.amdhsa_reserve_vcc 1
		.amdhsa_float_round_mode_32 0
		.amdhsa_float_round_mode_16_64 0
		.amdhsa_float_denorm_mode_32 3
		.amdhsa_float_denorm_mode_16_64 3
		.amdhsa_dx10_clamp 1
		.amdhsa_ieee_mode 1
		.amdhsa_fp16_overflow 0
		.amdhsa_workgroup_processor_mode 1
		.amdhsa_memory_ordered 1
		.amdhsa_forward_progress 0
		.amdhsa_shared_vgpr_count 0
		.amdhsa_exception_fp_ieee_invalid_op 0
		.amdhsa_exception_fp_denorm_src 0
		.amdhsa_exception_fp_ieee_div_zero 0
		.amdhsa_exception_fp_ieee_overflow 0
		.amdhsa_exception_fp_ieee_underflow 0
		.amdhsa_exception_fp_ieee_inexact 0
		.amdhsa_exception_int_div_zero 0
	.end_amdhsa_kernel
	.section	.text._ZL15flash_attn_tileILi64ELi64ELi8ELi8ELb0EEvPKcS1_S1_S1_S1_PKiPfP15HIP_vector_typeIfLj2EEffffjfiS5_IjLj3EEiiiiiiiiiiiliiliiiiil,"axG",@progbits,_ZL15flash_attn_tileILi64ELi64ELi8ELi8ELb0EEvPKcS1_S1_S1_S1_PKiPfP15HIP_vector_typeIfLj2EEffffjfiS5_IjLj3EEiiiiiiiiiiiliiliiiiil,comdat
.Lfunc_end0:
	.size	_ZL15flash_attn_tileILi64ELi64ELi8ELi8ELb0EEvPKcS1_S1_S1_S1_PKiPfP15HIP_vector_typeIfLj2EEffffjfiS5_IjLj3EEiiiiiiiiiiiliiliiiiil, .Lfunc_end0-_ZL15flash_attn_tileILi64ELi64ELi8ELi8ELb0EEvPKcS1_S1_S1_S1_PKiPfP15HIP_vector_typeIfLj2EEffffjfiS5_IjLj3EEiiiiiiiiiiiliiliiiiil
                                        ; -- End function
	.section	.AMDGPU.csdata,"",@progbits
; Kernel info:
; codeLenInByte = 54292
; NumSgprs: 60
; NumVgprs: 228
; ScratchSize: 0
; MemoryBound: 0
; FloatMode: 240
; IeeeMode: 1
; LDSByteSize: 25600 bytes/workgroup (compile time only)
; SGPRBlocks: 7
; VGPRBlocks: 28
; NumSGPRsForWavesPerEU: 60
; NumVGPRsForWavesPerEU: 228
; Occupancy: 5
; WaveLimiterHint : 0
; COMPUTE_PGM_RSRC2:SCRATCH_EN: 0
; COMPUTE_PGM_RSRC2:USER_SGPR: 13
; COMPUTE_PGM_RSRC2:TRAP_HANDLER: 0
; COMPUTE_PGM_RSRC2:TGID_X_EN: 1
; COMPUTE_PGM_RSRC2:TGID_Y_EN: 1
; COMPUTE_PGM_RSRC2:TGID_Z_EN: 1
; COMPUTE_PGM_RSRC2:TIDIG_COMP_CNT: 1
	.section	.text._ZL25flash_attn_mask_to_KV_maxILi8EEvPK7__half2Piiii,"axG",@progbits,_ZL25flash_attn_mask_to_KV_maxILi8EEvPK7__half2Piiii,comdat
	.globl	_ZL25flash_attn_mask_to_KV_maxILi8EEvPK7__half2Piiii ; -- Begin function _ZL25flash_attn_mask_to_KV_maxILi8EEvPK7__half2Piiii
	.p2align	8
	.type	_ZL25flash_attn_mask_to_KV_maxILi8EEvPK7__half2Piiii,@function
_ZL25flash_attn_mask_to_KV_maxILi8EEvPK7__half2Piiii: ; @_ZL25flash_attn_mask_to_KV_maxILi8EEvPK7__half2Piiii
; %bb.0:
	s_load_b128 s[4:7], s[0:1], 0x0
	s_mov_b32 s2, exec_lo
	v_cmpx_gt_u32_e32 32, v0
	s_cbranch_execz .LBB1_2
; %bb.1:
	v_dual_mov_b32 v2, 1 :: v_dual_lshlrev_b32 v1, 2, v0
	ds_store_b32 v1, v2
.LBB1_2:
	s_or_b32 exec_lo, exec_lo, s2
	s_clause 0x1
	s_load_b128 s[8:11], s[0:1], 0x10
	s_load_b32 s1, s[0:1], 0x20
	v_dual_mov_b32 v2, 0 :: v_dual_and_b32 v1, 31, v0
	v_lshrrev_b32_e32 v5, 3, v0
	s_waitcnt lgkmcnt(0)
	s_barrier
	s_delay_alu instid0(VALU_DEP_2) | instskip(SKIP_4) | instid1(SALU_CYCLE_1)
	v_lshlrev_b32_e32 v6, 2, v1
	buffer_gl0_inv
	s_mul_i32 s0, s14, s9
	s_mul_i32 s2, s15, s10
	s_lshl_b32 s0, s0, 3
	s_add_i32 s2, s2, s0
	v_cmp_eq_u32_e64 s0, 0, v1
	s_ashr_i32 s3, s2, 31
	s_delay_alu instid0(SALU_CYCLE_1) | instskip(NEXT) | instid1(SALU_CYCLE_1)
	s_lshl_b64 s[10:11], s[2:3], 2
	s_add_u32 s3, s4, s10
	s_addc_u32 s4, s5, s11
	s_lshl_b32 s5, s8, 8
	s_branch .LBB1_4
.LBB1_3:                                ;   in Loop: Header=BB1_4 Depth=1
	s_or_b32 exec_lo, exec_lo, s10
	s_waitcnt lgkmcnt(0)
	s_barrier
	buffer_gl0_inv
	ds_load_b32 v1, v6
	s_waitcnt lgkmcnt(0)
	s_barrier
	buffer_gl0_inv
	;;#ASMSTART
	;;#ASMEND
	v_cmp_ne_u32_e32 vcc_lo, 0, v1
	s_cmp_lg_u32 vcc_lo, exec_lo
	s_cselect_b32 s8, -1, 0
	s_delay_alu instid0(SALU_CYCLE_1)
	s_and_b32 vcc_lo, exec_lo, s8
	s_cbranch_vccnz .LBB1_36
.LBB1_4:                                ; =>This Inner Loop Header: Depth=1
	s_mov_b32 s2, s5
	s_addk_i32 s5, 0xff00
	s_delay_alu instid0(SALU_CYCLE_1)
	s_cmp_lt_i32 s5, 0
	s_cbranch_scc1 .LBB1_35
; %bb.5:                                ;   in Loop: Header=BB1_4 Depth=1
	s_lshr_b32 s8, s5, 1
	s_mov_b32 s10, 0
	v_add_nc_u32_e32 v1, s8, v0
	s_delay_alu instid0(VALU_DEP_1) | instskip(NEXT) | instid1(VALU_DEP_1)
	v_lshlrev_b64 v[3:4], 2, v[1:2]
	v_add_co_u32 v3, vcc_lo, s3, v3
	s_delay_alu instid0(VALU_DEP_2) | instskip(SKIP_4) | instid1(VALU_DEP_2)
	v_add_co_ci_u32_e32 v4, vcc_lo, s4, v4, vcc_lo
	global_load_b32 v3, v[3:4], off
	s_waitcnt vmcnt(0)
	v_lshrrev_b32_e32 v4, 16, v3
	v_cmp_class_f16_e64 s8, v3, 0x204
	v_and_b32_e32 v4, 0x7fff, v4
	s_delay_alu instid0(VALU_DEP_1) | instskip(NEXT) | instid1(VALU_DEP_3)
	v_cmp_eq_f16_e32 vcc_lo, 0x7c00, v4
	s_and_b32 s11, s8, vcc_lo
	s_delay_alu instid0(SALU_CYCLE_1)
	s_and_saveexec_b32 s8, s11
	s_cbranch_execz .LBB1_33
; %bb.6:                                ;   in Loop: Header=BB1_4 Depth=1
	v_add_nc_u32_e32 v3, s9, v1
	s_mov_b32 s11, 0
	s_delay_alu instid0(VALU_DEP_1) | instskip(NEXT) | instid1(VALU_DEP_1)
	v_ashrrev_i32_e32 v4, 31, v3
	v_lshlrev_b64 v[7:8], 2, v[3:4]
	s_delay_alu instid0(VALU_DEP_1) | instskip(NEXT) | instid1(VALU_DEP_2)
	v_add_co_u32 v7, vcc_lo, s3, v7
	v_add_co_ci_u32_e32 v8, vcc_lo, s4, v8, vcc_lo
	global_load_b32 v1, v[7:8], off
	s_waitcnt vmcnt(0)
	v_cmp_class_f16_e64 s12, v1, 0x204
	s_delay_alu instid0(VALU_DEP_1)
	s_and_saveexec_b32 s10, s12
	s_cbranch_execz .LBB1_32
; %bb.7:                                ;   in Loop: Header=BB1_4 Depth=1
	v_lshrrev_b32_e32 v1, 16, v1
	s_mov_b32 s12, 0
	s_delay_alu instid0(VALU_DEP_1) | instskip(NEXT) | instid1(VALU_DEP_1)
	v_cmp_class_f16_e64 s13, v1, 0x204
	s_and_saveexec_b32 s11, s13
	s_cbranch_execz .LBB1_31
; %bb.8:                                ;   in Loop: Header=BB1_4 Depth=1
	v_add_nc_u32_e32 v3, s9, v3
	s_mov_b32 s13, 0
	s_delay_alu instid0(VALU_DEP_1) | instskip(NEXT) | instid1(VALU_DEP_1)
	v_ashrrev_i32_e32 v4, 31, v3
	v_lshlrev_b64 v[7:8], 2, v[3:4]
	s_delay_alu instid0(VALU_DEP_1) | instskip(NEXT) | instid1(VALU_DEP_2)
	v_add_co_u32 v7, vcc_lo, s3, v7
	v_add_co_ci_u32_e32 v8, vcc_lo, s4, v8, vcc_lo
	global_load_b32 v1, v[7:8], off
	s_waitcnt vmcnt(0)
	v_cmp_class_f16_e64 s16, v1, 0x204
	s_delay_alu instid0(VALU_DEP_1)
	s_and_saveexec_b32 s12, s16
	s_cbranch_execz .LBB1_30
; %bb.9:                                ;   in Loop: Header=BB1_4 Depth=1
	v_lshrrev_b32_e32 v1, 16, v1
	s_mov_b32 s16, 0
	s_delay_alu instid0(VALU_DEP_1) | instskip(NEXT) | instid1(VALU_DEP_1)
	v_cmp_class_f16_e64 s17, v1, 0x204
	s_and_saveexec_b32 s13, s17
	s_cbranch_execz .LBB1_29
; %bb.10:                               ;   in Loop: Header=BB1_4 Depth=1
	v_add_nc_u32_e32 v3, s9, v3
	s_mov_b32 s17, 0
	s_delay_alu instid0(VALU_DEP_1) | instskip(NEXT) | instid1(VALU_DEP_1)
	v_ashrrev_i32_e32 v4, 31, v3
	v_lshlrev_b64 v[7:8], 2, v[3:4]
	s_delay_alu instid0(VALU_DEP_1) | instskip(NEXT) | instid1(VALU_DEP_2)
	v_add_co_u32 v7, vcc_lo, s3, v7
	v_add_co_ci_u32_e32 v8, vcc_lo, s4, v8, vcc_lo
	global_load_b32 v1, v[7:8], off
	s_waitcnt vmcnt(0)
	v_cmp_class_f16_e64 s18, v1, 0x204
	s_delay_alu instid0(VALU_DEP_1)
	s_and_saveexec_b32 s16, s18
	s_cbranch_execz .LBB1_28
; %bb.11:                               ;   in Loop: Header=BB1_4 Depth=1
	v_lshrrev_b32_e32 v1, 16, v1
	s_mov_b32 s18, 0
	s_delay_alu instid0(VALU_DEP_1) | instskip(NEXT) | instid1(VALU_DEP_1)
	v_cmp_class_f16_e64 s19, v1, 0x204
	s_and_saveexec_b32 s17, s19
	s_cbranch_execz .LBB1_27
; %bb.12:                               ;   in Loop: Header=BB1_4 Depth=1
	v_add_nc_u32_e32 v3, s9, v3
	s_mov_b32 s19, 0
	s_delay_alu instid0(VALU_DEP_1) | instskip(NEXT) | instid1(VALU_DEP_1)
	v_ashrrev_i32_e32 v4, 31, v3
	v_lshlrev_b64 v[7:8], 2, v[3:4]
	s_delay_alu instid0(VALU_DEP_1) | instskip(NEXT) | instid1(VALU_DEP_2)
	v_add_co_u32 v7, vcc_lo, s3, v7
	v_add_co_ci_u32_e32 v8, vcc_lo, s4, v8, vcc_lo
	global_load_b32 v1, v[7:8], off
	s_waitcnt vmcnt(0)
	v_cmp_class_f16_e64 s20, v1, 0x204
	s_delay_alu instid0(VALU_DEP_1)
	s_and_saveexec_b32 s18, s20
	s_cbranch_execz .LBB1_26
; %bb.13:                               ;   in Loop: Header=BB1_4 Depth=1
	;; [unrolled: 22-line block ×4, first 2 shown]
	v_lshrrev_b32_e32 v1, 16, v1
	s_mov_b32 s24, 0
	s_delay_alu instid0(VALU_DEP_1) | instskip(NEXT) | instid1(VALU_DEP_1)
	v_cmp_class_f16_e64 s25, v1, 0x204
	s_and_saveexec_b32 s23, s25
	s_cbranch_execz .LBB1_21
; %bb.18:                               ;   in Loop: Header=BB1_4 Depth=1
	v_add_nc_u32_e32 v3, s9, v3
	s_delay_alu instid0(VALU_DEP_1) | instskip(NEXT) | instid1(VALU_DEP_1)
	v_ashrrev_i32_e32 v4, 31, v3
	v_lshlrev_b64 v[3:4], 2, v[3:4]
	s_delay_alu instid0(VALU_DEP_1) | instskip(NEXT) | instid1(VALU_DEP_2)
	v_add_co_u32 v3, vcc_lo, s3, v3
	v_add_co_ci_u32_e32 v4, vcc_lo, s4, v4, vcc_lo
	global_load_b32 v1, v[3:4], off
	s_waitcnt vmcnt(0)
	v_cmp_class_f16_e64 s26, v1, 0x204
	s_delay_alu instid0(VALU_DEP_1)
	s_and_saveexec_b32 s25, s26
; %bb.19:                               ;   in Loop: Header=BB1_4 Depth=1
	v_lshrrev_b32_e32 v1, 16, v1
	s_delay_alu instid0(VALU_DEP_1) | instskip(NEXT) | instid1(VALU_DEP_1)
	v_cmp_class_f16_e64 s24, v1, 0x204
	s_and_b32 s24, s24, exec_lo
; %bb.20:                               ;   in Loop: Header=BB1_4 Depth=1
	s_or_b32 exec_lo, exec_lo, s25
	s_delay_alu instid0(SALU_CYCLE_1)
	s_and_b32 s24, s24, exec_lo
.LBB1_21:                               ;   in Loop: Header=BB1_4 Depth=1
	s_or_b32 exec_lo, exec_lo, s23
	s_delay_alu instid0(SALU_CYCLE_1)
	s_and_b32 s23, s24, exec_lo
.LBB1_22:                               ;   in Loop: Header=BB1_4 Depth=1
	s_or_b32 exec_lo, exec_lo, s22
	s_delay_alu instid0(SALU_CYCLE_1)
	s_and_b32 s22, s23, exec_lo
.LBB1_23:                               ;   in Loop: Header=BB1_4 Depth=1
	s_or_b32 exec_lo, exec_lo, s21
	s_delay_alu instid0(SALU_CYCLE_1)
	s_and_b32 s21, s22, exec_lo
.LBB1_24:                               ;   in Loop: Header=BB1_4 Depth=1
	s_or_b32 exec_lo, exec_lo, s20
	s_delay_alu instid0(SALU_CYCLE_1)
	s_and_b32 s20, s21, exec_lo
.LBB1_25:                               ;   in Loop: Header=BB1_4 Depth=1
	s_or_b32 exec_lo, exec_lo, s19
	s_delay_alu instid0(SALU_CYCLE_1)
	s_and_b32 s19, s20, exec_lo
.LBB1_26:                               ;   in Loop: Header=BB1_4 Depth=1
	s_or_b32 exec_lo, exec_lo, s18
	s_delay_alu instid0(SALU_CYCLE_1)
	s_and_b32 s18, s19, exec_lo
.LBB1_27:                               ;   in Loop: Header=BB1_4 Depth=1
	s_or_b32 exec_lo, exec_lo, s17
	s_delay_alu instid0(SALU_CYCLE_1)
	s_and_b32 s17, s18, exec_lo
.LBB1_28:                               ;   in Loop: Header=BB1_4 Depth=1
	s_or_b32 exec_lo, exec_lo, s16
	s_delay_alu instid0(SALU_CYCLE_1)
	s_and_b32 s16, s17, exec_lo
.LBB1_29:                               ;   in Loop: Header=BB1_4 Depth=1
	s_or_b32 exec_lo, exec_lo, s13
	s_delay_alu instid0(SALU_CYCLE_1)
	s_and_b32 s13, s16, exec_lo
.LBB1_30:                               ;   in Loop: Header=BB1_4 Depth=1
	s_or_b32 exec_lo, exec_lo, s12
	s_delay_alu instid0(SALU_CYCLE_1)
	s_and_b32 s12, s13, exec_lo
.LBB1_31:                               ;   in Loop: Header=BB1_4 Depth=1
	s_or_b32 exec_lo, exec_lo, s11
	s_delay_alu instid0(SALU_CYCLE_1)
	s_and_b32 s11, s12, exec_lo
.LBB1_32:                               ;   in Loop: Header=BB1_4 Depth=1
	s_or_b32 exec_lo, exec_lo, s10
	s_delay_alu instid0(SALU_CYCLE_1)
	s_and_b32 s10, s11, exec_lo
.LBB1_33:                               ;   in Loop: Header=BB1_4 Depth=1
	s_or_b32 exec_lo, exec_lo, s8
	v_cndmask_b32_e64 v1, 0, 1, s10
	;;#ASMSTART
	;;#ASMEND
	s_delay_alu instid0(VALU_DEP_1)
	v_cmp_ne_u32_e32 vcc_lo, 0, v1
	s_mov_b32 s8, exec_lo
	s_and_saveexec_b32 s10, s0
	s_cbranch_execz .LBB1_3
; %bb.34:                               ;   in Loop: Header=BB1_4 Depth=1
	s_cmp_eq_u32 vcc_lo, s8
	s_cselect_b32 s8, -1, 0
	s_delay_alu instid0(SALU_CYCLE_1)
	v_cndmask_b32_e64 v1, 0, 1, s8
	ds_store_b32 v5, v1
	s_branch .LBB1_3
.LBB1_35:                               ;   in Loop: Header=BB1_4 Depth=1
                                        ; implicit-def: $sgpr5
	s_cbranch_execz .LBB1_4
.LBB1_36:
	s_mov_b32 s0, exec_lo
	v_cmpx_eq_u32_e32 0, v0
	s_cbranch_execz .LBB1_38
; %bb.37:
	s_mul_i32 s0, s1, s15
	v_dual_mov_b32 v0, 0 :: v_dual_mov_b32 v1, s2
	s_add_i32 s0, s0, s14
	s_delay_alu instid0(SALU_CYCLE_1) | instskip(NEXT) | instid1(SALU_CYCLE_1)
	s_ashr_i32 s1, s0, 31
	s_lshl_b64 s[0:1], s[0:1], 2
	s_delay_alu instid0(SALU_CYCLE_1)
	s_add_u32 s0, s6, s0
	s_addc_u32 s1, s7, s1
	global_store_b32 v0, v1, s[0:1]
.LBB1_38:
	s_nop 0
	s_sendmsg sendmsg(MSG_DEALLOC_VGPRS)
	s_endpgm
	.section	.rodata,"a",@progbits
	.p2align	6, 0x0
	.amdhsa_kernel _ZL25flash_attn_mask_to_KV_maxILi8EEvPK7__half2Piiii
		.amdhsa_group_segment_fixed_size 128
		.amdhsa_private_segment_fixed_size 0
		.amdhsa_kernarg_size 288
		.amdhsa_user_sgpr_count 14
		.amdhsa_user_sgpr_dispatch_ptr 0
		.amdhsa_user_sgpr_queue_ptr 0
		.amdhsa_user_sgpr_kernarg_segment_ptr 1
		.amdhsa_user_sgpr_dispatch_id 0
		.amdhsa_user_sgpr_private_segment_size 0
		.amdhsa_wavefront_size32 1
		.amdhsa_uses_dynamic_stack 0
		.amdhsa_enable_private_segment 0
		.amdhsa_system_sgpr_workgroup_id_x 1
		.amdhsa_system_sgpr_workgroup_id_y 1
		.amdhsa_system_sgpr_workgroup_id_z 0
		.amdhsa_system_sgpr_workgroup_info 0
		.amdhsa_system_vgpr_workitem_id 0
		.amdhsa_next_free_vgpr 9
		.amdhsa_next_free_sgpr 27
		.amdhsa_reserve_vcc 1
		.amdhsa_float_round_mode_32 0
		.amdhsa_float_round_mode_16_64 0
		.amdhsa_float_denorm_mode_32 3
		.amdhsa_float_denorm_mode_16_64 3
		.amdhsa_dx10_clamp 1
		.amdhsa_ieee_mode 1
		.amdhsa_fp16_overflow 0
		.amdhsa_workgroup_processor_mode 1
		.amdhsa_memory_ordered 1
		.amdhsa_forward_progress 0
		.amdhsa_shared_vgpr_count 0
		.amdhsa_exception_fp_ieee_invalid_op 0
		.amdhsa_exception_fp_denorm_src 0
		.amdhsa_exception_fp_ieee_div_zero 0
		.amdhsa_exception_fp_ieee_overflow 0
		.amdhsa_exception_fp_ieee_underflow 0
		.amdhsa_exception_fp_ieee_inexact 0
		.amdhsa_exception_int_div_zero 0
	.end_amdhsa_kernel
	.section	.text._ZL25flash_attn_mask_to_KV_maxILi8EEvPK7__half2Piiii,"axG",@progbits,_ZL25flash_attn_mask_to_KV_maxILi8EEvPK7__half2Piiii,comdat
.Lfunc_end1:
	.size	_ZL25flash_attn_mask_to_KV_maxILi8EEvPK7__half2Piiii, .Lfunc_end1-_ZL25flash_attn_mask_to_KV_maxILi8EEvPK7__half2Piiii
                                        ; -- End function
	.section	.AMDGPU.csdata,"",@progbits
; Kernel info:
; codeLenInByte = 1376
; NumSgprs: 29
; NumVgprs: 9
; ScratchSize: 0
; MemoryBound: 0
; FloatMode: 240
; IeeeMode: 1
; LDSByteSize: 128 bytes/workgroup (compile time only)
; SGPRBlocks: 3
; VGPRBlocks: 1
; NumSGPRsForWavesPerEU: 29
; NumVGPRsForWavesPerEU: 9
; Occupancy: 16
; WaveLimiterHint : 0
; COMPUTE_PGM_RSRC2:SCRATCH_EN: 0
; COMPUTE_PGM_RSRC2:USER_SGPR: 14
; COMPUTE_PGM_RSRC2:TRAP_HANDLER: 0
; COMPUTE_PGM_RSRC2:TGID_X_EN: 1
; COMPUTE_PGM_RSRC2:TGID_Y_EN: 1
; COMPUTE_PGM_RSRC2:TGID_Z_EN: 0
; COMPUTE_PGM_RSRC2:TIDIG_COMP_CNT: 0
	.section	.text._ZL33flash_attn_stream_k_fixup_uniformILi64ELi8ELi8EEvPfPK15HIP_vector_typeIfLj2EEiiiiiiS1_IjLj3EES5_S5_,"axG",@progbits,_ZL33flash_attn_stream_k_fixup_uniformILi64ELi8ELi8EEvPfPK15HIP_vector_typeIfLj2EEiiiiiiS1_IjLj3EES5_S5_,comdat
	.globl	_ZL33flash_attn_stream_k_fixup_uniformILi64ELi8ELi8EEvPfPK15HIP_vector_typeIfLj2EEiiiiiiS1_IjLj3EES5_S5_ ; -- Begin function _ZL33flash_attn_stream_k_fixup_uniformILi64ELi8ELi8EEvPfPK15HIP_vector_typeIfLj2EEiiiiiiS1_IjLj3EES5_S5_
	.p2align	8
	.type	_ZL33flash_attn_stream_k_fixup_uniformILi64ELi8ELi8EEvPfPK15HIP_vector_typeIfLj2EEiiiiiiS1_IjLj3EES5_S5_,@function
_ZL33flash_attn_stream_k_fixup_uniformILi64ELi8ELi8EEvPfPK15HIP_vector_typeIfLj2EEiiiiiiS1_IjLj3EES5_S5_: ; @_ZL33flash_attn_stream_k_fixup_uniformILi64ELi8ELi8EEvPfPK15HIP_vector_typeIfLj2EEiiiiiiS1_IjLj3EES5_S5_
; %bb.0:
	s_clause 0x1
	s_load_b256 s[4:11], s[0:1], 0x1c
	s_load_b128 s[16:19], s[0:1], 0x3c
	s_waitcnt lgkmcnt(0)
	s_mul_hi_u32 s2, s7, s13
	s_delay_alu instid0(SALU_CYCLE_1) | instskip(NEXT) | instid1(SALU_CYCLE_1)
	s_add_i32 s2, s13, s2
	s_lshr_b32 s2, s2, s8
	s_delay_alu instid0(SALU_CYCLE_1) | instskip(SKIP_2) | instid1(SALU_CYCLE_1)
	s_mul_i32 s3, s2, s9
	s_load_b64 s[8:9], s[0:1], 0x10
	s_sub_i32 s7, s13, s3
	s_mul_hi_u32 s3, s7, s10
	s_delay_alu instid0(SALU_CYCLE_1) | instskip(NEXT) | instid1(SALU_CYCLE_1)
	s_add_i32 s3, s7, s3
	s_lshr_b32 s3, s3, s11
	s_delay_alu instid0(SALU_CYCLE_1) | instskip(NEXT) | instid1(SALU_CYCLE_1)
	s_mul_i32 s10, s3, s16
	s_sub_i32 s7, s7, s10
	s_delay_alu instid0(SALU_CYCLE_1) | instskip(NEXT) | instid1(SALU_CYCLE_1)
	s_mul_hi_u32 s10, s7, s17
	s_add_i32 s10, s7, s10
	s_delay_alu instid0(SALU_CYCLE_1) | instskip(NEXT) | instid1(SALU_CYCLE_1)
	s_lshr_b32 s10, s10, s18
	s_mul_i32 s11, s10, s19
	s_lshl_b32 s10, s10, 3
	s_sub_i32 s7, s7, s11
	s_delay_alu instid0(SALU_CYCLE_1) | instskip(NEXT) | instid1(SALU_CYCLE_1)
	s_lshl_b32 s11, s7, 3
	s_add_i32 s11, s11, s14
	s_waitcnt lgkmcnt(0)
	s_cmp_lt_i32 s11, s8
	s_cselect_b32 s11, -1, 0
	s_add_i32 s12, s10, s15
	s_delay_alu instid0(SALU_CYCLE_1) | instskip(SKIP_1) | instid1(SALU_CYCLE_1)
	s_cmp_lt_i32 s12, s5
	s_cselect_b32 s12, -1, 0
	s_and_b32 s11, s11, s12
	s_delay_alu instid0(SALU_CYCLE_1)
	s_and_not1_b32 vcc_lo, exec_lo, s11
	s_cbranch_vccnz .LBB2_6
; %bb.1:
	s_mul_i32 s2, s2, s8
	s_mul_i32 s5, s3, s5
	s_add_i32 s2, s2, s14
	s_mul_i32 s7, s9, s7
	s_mul_i32 s2, s2, s9
	s_lshl_b32 s7, s7, 9
	s_add_i32 s8, s2, s15
	s_load_b128 s[0:3], s[0:1], 0x0
	s_add_i32 s5, s8, s5
	s_lshl_b32 s9, s14, 3
	s_add_i32 s5, s5, s10
	s_delay_alu instid0(SALU_CYCLE_1) | instskip(NEXT) | instid1(SALU_CYCLE_1)
	s_lshl_b32 s5, s5, 6
	s_add_i32 s7, s7, s5
	s_mul_i32 s5, s13, s6
	v_or_b32_e32 v1, s7, v0
	s_add_i32 s10, s5, s6
	s_delay_alu instid0(VALU_DEP_1) | instskip(NEXT) | instid1(VALU_DEP_1)
	v_ashrrev_i32_e32 v2, 31, v1
	v_lshlrev_b64 v[1:2], 2, v[1:2]
	s_waitcnt lgkmcnt(0)
	s_delay_alu instid0(VALU_DEP_1) | instskip(NEXT) | instid1(VALU_DEP_2)
	v_add_co_u32 v1, vcc_lo, s0, v1
	v_add_co_ci_u32_e32 v2, vcc_lo, s1, v2, vcc_lo
	s_add_i32 s0, s9, s15
	s_lshl_b32 s1, s10, 6
	s_delay_alu instid0(SALU_CYCLE_1) | instskip(SKIP_2) | instid1(SALU_CYCLE_1)
	s_add_i32 s0, s0, s1
	global_load_b32 v5, v[1:2], off
	s_sub_i32 s0, s0, 64
	s_ashr_i32 s1, s0, 31
	s_delay_alu instid0(SALU_CYCLE_1) | instskip(NEXT) | instid1(SALU_CYCLE_1)
	s_lshl_b64 s[0:1], s[0:1], 3
	s_add_u32 s0, s2, s0
	s_addc_u32 s1, s3, s1
	s_add_i32 s7, s10, -2
	s_load_b32 s11, s[0:1], 0x4
	s_cmp_lt_i32 s7, s5
	s_cbranch_scc1 .LBB2_4
; %bb.2:
	s_lshl_b32 s16, s4, 8
	s_load_b32 s12, s[0:1], 0x0
	s_ashr_i32 s17, s16, 31
	s_delay_alu instid0(SALU_CYCLE_1) | instskip(NEXT) | instid1(SALU_CYCLE_1)
	s_lshl_b64 s[0:1], s[16:17], 2
	s_add_u32 s7, s2, s0
	s_addc_u32 s8, s3, s1
	s_add_i32 s13, s13, 1
	s_lshl_b32 s0, s14, 9
	s_lshl_b32 s1, s15, 6
	s_mul_i32 s6, s6, s13
	s_add_i32 s0, s1, s0
	s_lshl_b32 s1, s6, 12
	s_delay_alu instid0(SALU_CYCLE_1)
	s_add_i32 s0, s0, s1
	s_lshl_b32 s1, s6, 6
	v_or_b32_e32 v0, s0, v0
	s_lshl_b32 s0, s4, 6
	s_add_i32 s1, s15, s1
	s_waitcnt lgkmcnt(0)
	v_mov_b32_e32 v6, s11
	s_add_i32 s0, s1, s0
	v_dual_mov_b32 v0, s12 :: v_dual_add_nc_u32 v3, 0xffffe000, v0
	s_add_i32 s0, s0, s9
	s_add_i32 s4, s10, -1
	s_addk_i32 s0, 0xff80
.LBB2_3:                                ; =>This Inner Loop Header: Depth=1
	s_delay_alu instid0(VALU_DEP_1) | instskip(SKIP_1) | instid1(SALU_CYCLE_1)
	v_ashrrev_i32_e32 v4, 31, v3
	s_ashr_i32 s1, s0, 31
	s_lshl_b64 s[10:11], s[0:1], 3
	s_delay_alu instid0(SALU_CYCLE_1) | instskip(NEXT) | instid1(VALU_DEP_1)
	s_add_u32 s10, s2, s10
	v_lshlrev_b64 v[7:8], 2, v[3:4]
	s_addc_u32 s11, s3, s11
	s_add_i32 s4, s4, -1
	s_sub_i32 s0, s0, 64
	s_cmp_le_i32 s4, s5
	s_load_b64 s[10:11], s[10:11], 0x0
	v_add_co_u32 v7, vcc_lo, s7, v7
	v_add_co_ci_u32_e32 v8, vcc_lo, s8, v8, vcc_lo
	global_load_b32 v4, v[7:8], off
	v_max_f32_e32 v7, v0, v0
	s_waitcnt lgkmcnt(0)
	v_max_f32_e64 v8, s10, s10
	s_delay_alu instid0(VALU_DEP_1) | instskip(NEXT) | instid1(VALU_DEP_1)
	v_max_f32_e32 v7, v7, v8
	v_sub_f32_e32 v8, s10, v7
	s_delay_alu instid0(VALU_DEP_1) | instskip(NEXT) | instid1(VALU_DEP_1)
	v_dual_sub_f32 v0, v0, v7 :: v_dual_mul_f32 v9, 0x3fb8aa3b, v8
	v_fma_f32 v10, 0x3fb8aa3b, v8, -v9
	v_rndne_f32_e32 v11, v9
	s_delay_alu instid0(VALU_DEP_3) | instskip(NEXT) | instid1(VALU_DEP_2)
	v_mul_f32_e32 v12, 0x3fb8aa3b, v0
	v_dual_fmac_f32 v10, 0x32a5705f, v8 :: v_dual_sub_f32 v9, v9, v11
	v_cvt_i32_f32_e32 v11, v11
	s_delay_alu instid0(VALU_DEP_3) | instskip(SKIP_1) | instid1(VALU_DEP_4)
	v_fma_f32 v13, 0x3fb8aa3b, v0, -v12
	v_rndne_f32_e32 v14, v12
	v_add_f32_e32 v9, v9, v10
	v_cmp_ngt_f32_e32 vcc_lo, 0xc2ce8ed0, v8
	s_delay_alu instid0(VALU_DEP_3) | instskip(NEXT) | instid1(VALU_DEP_3)
	v_sub_f32_e32 v10, v12, v14
	v_exp_f32_e32 v9, v9
	s_waitcnt_depctr 0xfff
	v_ldexp_f32 v9, v9, v11
	v_cvt_i32_f32_e32 v11, v14
	s_delay_alu instid0(VALU_DEP_2) | instskip(SKIP_1) | instid1(VALU_DEP_2)
	v_cndmask_b32_e32 v9, 0, v9, vcc_lo
	v_cmp_nlt_f32_e32 vcc_lo, 0x42b17218, v8
	v_cndmask_b32_e32 v9, 0x7f800000, v9, vcc_lo
	v_cmp_ngt_f32_e32 vcc_lo, 0xc2ce8ed0, v0
	v_fmac_f32_e32 v13, 0x32a5705f, v0
	s_delay_alu instid0(VALU_DEP_1) | instskip(NEXT) | instid1(VALU_DEP_1)
	v_add_f32_e32 v10, v10, v13
	v_exp_f32_e32 v10, v10
	s_waitcnt_depctr 0xfff
	v_ldexp_f32 v10, v10, v11
	s_delay_alu instid0(VALU_DEP_1)
	v_dual_mov_b32 v11, v6 :: v_dual_cndmask_b32 v10, 0, v10
	v_cmp_le_f32_e32 vcc_lo, 0xc1a00000, v8
	s_waitcnt vmcnt(1)
	v_dual_cndmask_b32 v8, 0, v9 :: v_dual_mov_b32 v9, v5
	v_cmp_nlt_f32_e32 vcc_lo, 0x42b17218, v0
	v_cndmask_b32_e32 v5, 0x7f800000, v10, vcc_lo
	s_delay_alu instid0(VALU_DEP_3) | instskip(SKIP_2) | instid1(VALU_DEP_3)
	v_mul_f32_e32 v10, s11, v8
	v_cmp_le_f32_e32 vcc_lo, 0xc1a00000, v0
	v_mov_b32_e32 v0, v7
	v_mov_b32_e32 v6, v10
	s_waitcnt vmcnt(0)
	v_dual_cndmask_b32 v12, 0, v5 :: v_dual_mul_f32 v5, v4, v8
	s_delay_alu instid0(VALU_DEP_1) | instskip(NEXT) | instid1(VALU_DEP_2)
	v_dual_fmac_f32 v6, v11, v12 :: v_dual_add_nc_u32 v3, 0xfffff000, v3
	v_fmac_f32_e32 v5, v9, v12
	s_cbranch_scc0 .LBB2_3
	s_branch .LBB2_5
.LBB2_4:
	s_waitcnt lgkmcnt(0)
	v_mov_b32_e32 v6, s11
.LBB2_5:
	s_waitcnt vmcnt(0)
	s_delay_alu instid0(VALU_DEP_1) | instskip(NEXT) | instid1(VALU_DEP_1)
	v_div_scale_f32 v0, null, v6, v6, v5
	v_rcp_f32_e32 v3, v0
	s_waitcnt_depctr 0xfff
	v_fma_f32 v4, -v0, v3, 1.0
	s_delay_alu instid0(VALU_DEP_1) | instskip(SKIP_1) | instid1(VALU_DEP_1)
	v_fmac_f32_e32 v3, v4, v3
	v_div_scale_f32 v4, vcc_lo, v5, v6, v5
	v_mul_f32_e32 v7, v4, v3
	s_delay_alu instid0(VALU_DEP_1) | instskip(NEXT) | instid1(VALU_DEP_1)
	v_fma_f32 v8, -v0, v7, v4
	v_fmac_f32_e32 v7, v8, v3
	s_delay_alu instid0(VALU_DEP_1) | instskip(NEXT) | instid1(VALU_DEP_1)
	v_fma_f32 v0, -v0, v7, v4
	v_div_fmas_f32 v0, v0, v3, v7
	s_delay_alu instid0(VALU_DEP_1)
	v_div_fixup_f32 v0, v0, v6, v5
	global_store_b32 v[1:2], v0, off
.LBB2_6:
	s_nop 0
	s_sendmsg sendmsg(MSG_DEALLOC_VGPRS)
	s_endpgm
	.section	.rodata,"a",@progbits
	.p2align	6, 0x0
	.amdhsa_kernel _ZL33flash_attn_stream_k_fixup_uniformILi64ELi8ELi8EEvPfPK15HIP_vector_typeIfLj2EEiiiiiiS1_IjLj3EES5_S5_
		.amdhsa_group_segment_fixed_size 0
		.amdhsa_private_segment_fixed_size 0
		.amdhsa_kernarg_size 76
		.amdhsa_user_sgpr_count 13
		.amdhsa_user_sgpr_dispatch_ptr 0
		.amdhsa_user_sgpr_queue_ptr 0
		.amdhsa_user_sgpr_kernarg_segment_ptr 1
		.amdhsa_user_sgpr_dispatch_id 0
		.amdhsa_user_sgpr_private_segment_size 0
		.amdhsa_wavefront_size32 1
		.amdhsa_uses_dynamic_stack 0
		.amdhsa_enable_private_segment 0
		.amdhsa_system_sgpr_workgroup_id_x 1
		.amdhsa_system_sgpr_workgroup_id_y 1
		.amdhsa_system_sgpr_workgroup_id_z 1
		.amdhsa_system_sgpr_workgroup_info 0
		.amdhsa_system_vgpr_workitem_id 0
		.amdhsa_next_free_vgpr 15
		.amdhsa_next_free_sgpr 20
		.amdhsa_reserve_vcc 1
		.amdhsa_float_round_mode_32 0
		.amdhsa_float_round_mode_16_64 0
		.amdhsa_float_denorm_mode_32 3
		.amdhsa_float_denorm_mode_16_64 3
		.amdhsa_dx10_clamp 1
		.amdhsa_ieee_mode 1
		.amdhsa_fp16_overflow 0
		.amdhsa_workgroup_processor_mode 1
		.amdhsa_memory_ordered 1
		.amdhsa_forward_progress 0
		.amdhsa_shared_vgpr_count 0
		.amdhsa_exception_fp_ieee_invalid_op 0
		.amdhsa_exception_fp_denorm_src 0
		.amdhsa_exception_fp_ieee_div_zero 0
		.amdhsa_exception_fp_ieee_overflow 0
		.amdhsa_exception_fp_ieee_underflow 0
		.amdhsa_exception_fp_ieee_inexact 0
		.amdhsa_exception_int_div_zero 0
	.end_amdhsa_kernel
	.section	.text._ZL33flash_attn_stream_k_fixup_uniformILi64ELi8ELi8EEvPfPK15HIP_vector_typeIfLj2EEiiiiiiS1_IjLj3EES5_S5_,"axG",@progbits,_ZL33flash_attn_stream_k_fixup_uniformILi64ELi8ELi8EEvPfPK15HIP_vector_typeIfLj2EEiiiiiiS1_IjLj3EES5_S5_,comdat
.Lfunc_end2:
	.size	_ZL33flash_attn_stream_k_fixup_uniformILi64ELi8ELi8EEvPfPK15HIP_vector_typeIfLj2EEiiiiiiS1_IjLj3EES5_S5_, .Lfunc_end2-_ZL33flash_attn_stream_k_fixup_uniformILi64ELi8ELi8EEvPfPK15HIP_vector_typeIfLj2EEiiiiiiS1_IjLj3EES5_S5_
                                        ; -- End function
	.section	.AMDGPU.csdata,"",@progbits
; Kernel info:
; codeLenInByte = 996
; NumSgprs: 22
; NumVgprs: 15
; ScratchSize: 0
; MemoryBound: 0
; FloatMode: 240
; IeeeMode: 1
; LDSByteSize: 0 bytes/workgroup (compile time only)
; SGPRBlocks: 2
; VGPRBlocks: 1
; NumSGPRsForWavesPerEU: 22
; NumVGPRsForWavesPerEU: 15
; Occupancy: 16
; WaveLimiterHint : 0
; COMPUTE_PGM_RSRC2:SCRATCH_EN: 0
; COMPUTE_PGM_RSRC2:USER_SGPR: 13
; COMPUTE_PGM_RSRC2:TRAP_HANDLER: 0
; COMPUTE_PGM_RSRC2:TGID_X_EN: 1
; COMPUTE_PGM_RSRC2:TGID_Y_EN: 1
; COMPUTE_PGM_RSRC2:TGID_Z_EN: 1
; COMPUTE_PGM_RSRC2:TIDIG_COMP_CNT: 0
	.section	.text._ZL33flash_attn_stream_k_fixup_generalILi64ELi8ELi8EEvPfPK15HIP_vector_typeIfLj2EEiiiiS1_IjLj3EES5_S5_S5_,"axG",@progbits,_ZL33flash_attn_stream_k_fixup_generalILi64ELi8ELi8EEvPfPK15HIP_vector_typeIfLj2EEiiiiS1_IjLj3EES5_S5_S5_,comdat
	.globl	_ZL33flash_attn_stream_k_fixup_generalILi64ELi8ELi8EEvPfPK15HIP_vector_typeIfLj2EEiiiiS1_IjLj3EES5_S5_S5_ ; -- Begin function _ZL33flash_attn_stream_k_fixup_generalILi64ELi8ELi8EEvPfPK15HIP_vector_typeIfLj2EEiiiiS1_IjLj3EES5_S5_S5_
	.p2align	8
	.type	_ZL33flash_attn_stream_k_fixup_generalILi64ELi8ELi8EEvPfPK15HIP_vector_typeIfLj2EEiiiiS1_IjLj3EES5_S5_S5_,@function
_ZL33flash_attn_stream_k_fixup_generalILi64ELi8ELi8EEvPfPK15HIP_vector_typeIfLj2EEiiiiS1_IjLj3EES5_S5_S5_: ; @_ZL33flash_attn_stream_k_fixup_generalILi64ELi8ELi8EEvPfPK15HIP_vector_typeIfLj2EEiiiiS1_IjLj3EES5_S5_S5_
; %bb.0:
	s_clause 0x1
	s_load_b128 s[4:7], s[0:1], 0x10
	s_load_b32 s20, s[0:1], 0x50
	s_mov_b32 s2, 0
	s_waitcnt lgkmcnt(0)
	s_mul_hi_i32 s3, s7, s13
	s_mul_i32 s12, s7, s13
	s_cmp_lg_u64 s[2:3], 0
	s_cbranch_scc0 .LBB3_21
; %bb.1:
	v_cvt_f32_ubyte0_e32 v1, 0
	v_cvt_f32_u32_e32 v2, s20
	s_sub_u32 s10, 0, s20
	s_subb_u32 s11, 0, 0
	s_delay_alu instid0(VALU_DEP_1) | instskip(NEXT) | instid1(VALU_DEP_1)
	v_fmamk_f32 v1, v1, 0x4f800000, v2
	v_rcp_f32_e32 v1, v1
	s_waitcnt_depctr 0xfff
	v_mul_f32_e32 v1, 0x5f7ffffc, v1
	s_delay_alu instid0(VALU_DEP_1) | instskip(NEXT) | instid1(VALU_DEP_1)
	v_mul_f32_e32 v2, 0x2f800000, v1
	v_trunc_f32_e32 v2, v2
	s_delay_alu instid0(VALU_DEP_1) | instskip(SKIP_1) | instid1(VALU_DEP_2)
	v_fmamk_f32 v1, v2, 0xcf800000, v1
	v_cvt_u32_f32_e32 v2, v2
	v_cvt_u32_f32_e32 v1, v1
	s_delay_alu instid0(VALU_DEP_2) | instskip(NEXT) | instid1(VALU_DEP_2)
	v_readfirstlane_b32 s8, v2
	v_readfirstlane_b32 s9, v1
	s_delay_alu instid0(VALU_DEP_2) | instskip(NEXT) | instid1(VALU_DEP_1)
	s_mul_i32 s16, s10, s8
	s_mul_hi_u32 s18, s10, s9
	s_mul_i32 s17, s11, s9
	s_add_i32 s16, s18, s16
	s_mul_i32 s19, s10, s9
	s_add_i32 s16, s16, s17
	s_mul_hi_u32 s18, s9, s19
	s_mul_hi_u32 s21, s8, s19
	s_mul_i32 s17, s8, s19
	s_mul_hi_u32 s19, s9, s16
	s_mul_i32 s9, s9, s16
	s_mul_hi_u32 s22, s8, s16
	s_add_u32 s9, s18, s9
	s_addc_u32 s18, 0, s19
	s_add_u32 s9, s9, s17
	s_mul_i32 s16, s8, s16
	s_addc_u32 s9, s18, s21
	s_addc_u32 s17, s22, 0
	s_add_u32 s9, s9, s16
	s_addc_u32 s16, 0, s17
	v_add_co_u32 v1, s9, v1, s9
	s_delay_alu instid0(VALU_DEP_1) | instskip(SKIP_1) | instid1(VALU_DEP_1)
	s_cmp_lg_u32 s9, 0
	s_addc_u32 s8, s8, s16
	v_readfirstlane_b32 s9, v1
	s_mul_i32 s16, s10, s8
	s_delay_alu instid0(VALU_DEP_1)
	s_mul_hi_u32 s17, s10, s9
	s_mul_i32 s11, s11, s9
	s_add_i32 s16, s17, s16
	s_mul_i32 s10, s10, s9
	s_add_i32 s16, s16, s11
	s_mul_hi_u32 s17, s8, s10
	s_mul_i32 s18, s8, s10
	s_mul_hi_u32 s10, s9, s10
	s_mul_hi_u32 s19, s9, s16
	s_mul_i32 s9, s9, s16
	s_mul_hi_u32 s11, s8, s16
	s_add_u32 s9, s10, s9
	s_addc_u32 s10, 0, s19
	s_add_u32 s9, s9, s18
	s_mul_i32 s16, s8, s16
	s_addc_u32 s9, s10, s17
	s_addc_u32 s10, s11, 0
	s_add_u32 s9, s9, s16
	s_addc_u32 s10, 0, s10
	v_add_co_u32 v1, s9, v1, s9
	s_delay_alu instid0(VALU_DEP_1) | instskip(SKIP_2) | instid1(SALU_CYCLE_1)
	s_cmp_lg_u32 s9, 0
	s_addc_u32 s16, s8, s10
	s_ashr_i32 s8, s3, 31
	s_add_u32 s10, s12, s8
	s_addc_u32 s11, s3, s8
	v_readfirstlane_b32 s3, v1
	s_mov_b32 s9, s8
	s_delay_alu instid0(SALU_CYCLE_1) | instskip(NEXT) | instid1(SALU_CYCLE_1)
	s_xor_b64 s[10:11], s[10:11], s[8:9]
	s_mul_i32 s18, s10, s16
	s_delay_alu instid0(VALU_DEP_1)
	s_mul_hi_u32 s19, s10, s3
	s_mul_hi_u32 s17, s10, s16
	;; [unrolled: 1-line block ×3, first 2 shown]
	s_mul_i32 s3, s11, s3
	s_add_u32 s18, s19, s18
	s_addc_u32 s17, 0, s17
	s_mul_hi_u32 s21, s11, s16
	s_add_u32 s3, s18, s3
	s_mul_i32 s16, s11, s16
	s_addc_u32 s3, s17, s22
	s_addc_u32 s17, s21, 0
	s_add_u32 s3, s3, s16
	s_addc_u32 s16, 0, s17
	s_mul_i32 s18, s20, s3
	s_add_u32 s17, s3, 1
	v_sub_co_u32 v1, s10, s10, s18
	s_mul_hi_u32 s18, s20, s3
	s_addc_u32 s19, s16, 0
	s_mul_i32 s21, s20, s16
	s_delay_alu instid0(VALU_DEP_1)
	v_sub_co_u32 v2, s22, v1, s20
	s_add_u32 s23, s3, 2
	s_addc_u32 s24, s16, 0
	s_add_i32 s18, s18, s21
	s_cmp_lg_u32 s10, 0
	v_readfirstlane_b32 s10, v2
	s_subb_u32 s11, s11, s18
	s_cmp_lg_u32 s22, 0
	s_subb_u32 s18, s11, 0
	s_delay_alu instid0(VALU_DEP_1) | instskip(SKIP_4) | instid1(SALU_CYCLE_1)
	s_cmp_ge_u32 s10, s20
	s_cselect_b32 s10, -1, 0
	s_cmp_eq_u32 s18, 0
	v_readfirstlane_b32 s18, v1
	s_cselect_b32 s10, s10, -1
	s_cmp_lg_u32 s10, 0
	s_cselect_b32 s10, s23, s17
	s_cselect_b32 s17, s24, s19
	s_cmp_ge_u32 s18, s20
	s_cselect_b32 s18, -1, 0
	s_cmp_eq_u32 s11, 0
	s_cselect_b32 s11, s18, -1
	s_delay_alu instid0(SALU_CYCLE_1) | instskip(SKIP_2) | instid1(SALU_CYCLE_1)
	s_cmp_lg_u32 s11, 0
	s_cselect_b32 s11, s17, s16
	s_cselect_b32 s10, s10, s3
	s_xor_b64 s[10:11], s[10:11], s[8:9]
	s_delay_alu instid0(SALU_CYCLE_1)
	s_sub_u32 s16, s10, s8
	s_load_b128 s[8:11], s[0:1], 0x44
	s_and_not1_b32 vcc_lo, exec_lo, s2
	s_cbranch_vccnz .LBB3_3
.LBB3_2:
	v_cvt_f32_u32_e32 v1, s20
	s_sub_i32 s3, 0, s20
	s_delay_alu instid0(VALU_DEP_1) | instskip(SKIP_2) | instid1(VALU_DEP_1)
	v_rcp_iflag_f32_e32 v1, v1
	s_waitcnt_depctr 0xfff
	v_mul_f32_e32 v1, 0x4f7ffffe, v1
	v_cvt_u32_f32_e32 v1, v1
	s_delay_alu instid0(VALU_DEP_1) | instskip(NEXT) | instid1(VALU_DEP_1)
	v_readfirstlane_b32 s2, v1
	s_mul_i32 s3, s3, s2
	s_delay_alu instid0(SALU_CYCLE_1) | instskip(NEXT) | instid1(SALU_CYCLE_1)
	s_mul_hi_u32 s3, s2, s3
	s_add_i32 s2, s2, s3
	s_delay_alu instid0(SALU_CYCLE_1) | instskip(NEXT) | instid1(SALU_CYCLE_1)
	s_mul_hi_u32 s2, s12, s2
	s_mul_i32 s3, s2, s20
	s_waitcnt lgkmcnt(0)
	s_add_i32 s11, s2, 1
	s_sub_i32 s3, s12, s3
	s_delay_alu instid0(SALU_CYCLE_1)
	s_sub_i32 s12, s3, s20
	s_cmp_ge_u32 s3, s20
	s_cselect_b32 s2, s11, s2
	s_cselect_b32 s3, s12, s3
	s_add_i32 s11, s2, 1
	s_cmp_ge_u32 s3, s20
	s_cselect_b32 s16, s11, s2
.LBB3_3:
	s_waitcnt lgkmcnt(0)
	s_add_i32 s11, s13, 1
	s_mov_b32 s2, 0
	s_mul_hi_i32 s3, s7, s11
	s_mul_i32 s11, s7, s11
	s_cmp_lg_u64 s[2:3], 0
	s_cbranch_scc0 .LBB3_22
; %bb.4:
	v_cvt_f32_ubyte0_e32 v1, 0
	v_cvt_f32_u32_e32 v2, s20
	s_sub_u32 s18, 0, s20
	s_subb_u32 s19, 0, 0
	s_delay_alu instid0(VALU_DEP_1) | instskip(NEXT) | instid1(VALU_DEP_1)
	v_fmamk_f32 v1, v1, 0x4f800000, v2
	v_rcp_f32_e32 v1, v1
	s_waitcnt_depctr 0xfff
	v_mul_f32_e32 v1, 0x5f7ffffc, v1
	s_delay_alu instid0(VALU_DEP_1) | instskip(NEXT) | instid1(VALU_DEP_1)
	v_mul_f32_e32 v2, 0x2f800000, v1
	v_trunc_f32_e32 v2, v2
	s_delay_alu instid0(VALU_DEP_1) | instskip(SKIP_1) | instid1(VALU_DEP_2)
	v_fmamk_f32 v1, v2, 0xcf800000, v1
	v_cvt_u32_f32_e32 v2, v2
	v_cvt_u32_f32_e32 v1, v1
	s_delay_alu instid0(VALU_DEP_2) | instskip(NEXT) | instid1(VALU_DEP_2)
	v_readfirstlane_b32 s12, v2
	v_readfirstlane_b32 s17, v1
	s_delay_alu instid0(VALU_DEP_2) | instskip(NEXT) | instid1(VALU_DEP_1)
	s_mul_i32 s21, s18, s12
	s_mul_hi_u32 s23, s18, s17
	s_mul_i32 s22, s19, s17
	s_add_i32 s21, s23, s21
	s_mul_i32 s24, s18, s17
	s_add_i32 s21, s21, s22
	s_mul_hi_u32 s23, s17, s24
	s_mul_hi_u32 s25, s12, s24
	s_mul_i32 s22, s12, s24
	s_mul_hi_u32 s24, s17, s21
	s_mul_i32 s17, s17, s21
	s_mul_hi_u32 s26, s12, s21
	s_add_u32 s17, s23, s17
	s_addc_u32 s23, 0, s24
	s_add_u32 s17, s17, s22
	s_mul_i32 s21, s12, s21
	s_addc_u32 s17, s23, s25
	s_addc_u32 s22, s26, 0
	s_add_u32 s17, s17, s21
	s_addc_u32 s21, 0, s22
	v_add_co_u32 v1, s17, v1, s17
	s_delay_alu instid0(VALU_DEP_1) | instskip(SKIP_1) | instid1(VALU_DEP_1)
	s_cmp_lg_u32 s17, 0
	s_addc_u32 s12, s12, s21
	v_readfirstlane_b32 s17, v1
	s_mul_i32 s21, s18, s12
	s_delay_alu instid0(VALU_DEP_1)
	s_mul_hi_u32 s22, s18, s17
	s_mul_i32 s19, s19, s17
	s_add_i32 s21, s22, s21
	s_mul_i32 s18, s18, s17
	s_add_i32 s21, s21, s19
	s_mul_hi_u32 s22, s12, s18
	s_mul_i32 s23, s12, s18
	s_mul_hi_u32 s18, s17, s18
	s_mul_hi_u32 s24, s17, s21
	s_mul_i32 s17, s17, s21
	s_mul_hi_u32 s19, s12, s21
	s_add_u32 s17, s18, s17
	s_addc_u32 s18, 0, s24
	s_add_u32 s17, s17, s23
	s_mul_i32 s21, s12, s21
	s_addc_u32 s17, s18, s22
	s_addc_u32 s18, s19, 0
	s_add_u32 s17, s17, s21
	s_addc_u32 s18, 0, s18
	v_add_co_u32 v1, s17, v1, s17
	s_delay_alu instid0(VALU_DEP_1) | instskip(SKIP_2) | instid1(SALU_CYCLE_1)
	s_cmp_lg_u32 s17, 0
	s_addc_u32 s12, s12, s18
	s_ashr_i32 s18, s3, 31
	s_add_u32 s22, s11, s18
	s_addc_u32 s23, s3, s18
	v_readfirstlane_b32 s3, v1
	s_mov_b32 s19, s18
	s_delay_alu instid0(SALU_CYCLE_1) | instskip(NEXT) | instid1(SALU_CYCLE_1)
	s_xor_b64 s[22:23], s[22:23], s[18:19]
	s_mul_i32 s21, s22, s12
	s_delay_alu instid0(VALU_DEP_1)
	s_mul_hi_u32 s24, s22, s3
	s_mul_hi_u32 s17, s22, s12
	;; [unrolled: 1-line block ×3, first 2 shown]
	s_mul_i32 s3, s23, s3
	s_add_u32 s21, s24, s21
	s_addc_u32 s17, 0, s17
	s_mul_hi_u32 s25, s23, s12
	s_add_u32 s3, s21, s3
	s_mul_i32 s12, s23, s12
	s_addc_u32 s3, s17, s26
	s_addc_u32 s17, s25, 0
	s_add_u32 s3, s3, s12
	s_addc_u32 s12, 0, s17
	s_mul_i32 s21, s20, s3
	s_add_u32 s17, s3, 1
	v_sub_co_u32 v1, s21, s22, s21
	s_mul_hi_u32 s22, s20, s3
	s_addc_u32 s24, s12, 0
	s_mul_i32 s25, s20, s12
	s_delay_alu instid0(VALU_DEP_1)
	v_sub_co_u32 v2, s26, v1, s20
	s_add_u32 s27, s3, 2
	s_addc_u32 s28, s12, 0
	s_add_i32 s22, s22, s25
	s_cmp_lg_u32 s21, 0
	v_readfirstlane_b32 s21, v2
	s_subb_u32 s22, s23, s22
	s_cmp_lg_u32 s26, 0
	s_subb_u32 s23, s22, 0
	s_delay_alu instid0(VALU_DEP_1) | instskip(SKIP_4) | instid1(SALU_CYCLE_1)
	s_cmp_ge_u32 s21, s20
	s_cselect_b32 s21, -1, 0
	s_cmp_eq_u32 s23, 0
	v_readfirstlane_b32 s23, v1
	s_cselect_b32 s21, s21, -1
	s_cmp_lg_u32 s21, 0
	s_cselect_b32 s17, s27, s17
	s_cselect_b32 s21, s28, s24
	s_cmp_ge_u32 s23, s20
	s_cselect_b32 s23, -1, 0
	s_cmp_eq_u32 s22, 0
	s_cselect_b32 s22, s23, -1
	s_delay_alu instid0(SALU_CYCLE_1) | instskip(SKIP_2) | instid1(SALU_CYCLE_1)
	s_cmp_lg_u32 s22, 0
	s_cselect_b32 s23, s21, s12
	s_cselect_b32 s22, s17, s3
	s_xor_b64 s[22:23], s[22:23], s[18:19]
	s_delay_alu instid0(SALU_CYCLE_1)
	s_sub_u32 s18, s22, s18
	s_and_not1_b32 vcc_lo, exec_lo, s2
	s_cbranch_vccnz .LBB3_6
.LBB3_5:
	v_cvt_f32_u32_e32 v1, s20
	s_sub_i32 s3, 0, s20
	s_delay_alu instid0(VALU_DEP_1) | instskip(SKIP_2) | instid1(VALU_DEP_1)
	v_rcp_iflag_f32_e32 v1, v1
	s_waitcnt_depctr 0xfff
	v_mul_f32_e32 v1, 0x4f7ffffe, v1
	v_cvt_u32_f32_e32 v1, v1
	s_delay_alu instid0(VALU_DEP_1) | instskip(NEXT) | instid1(VALU_DEP_1)
	v_readfirstlane_b32 s2, v1
	s_mul_i32 s3, s3, s2
	s_delay_alu instid0(SALU_CYCLE_1) | instskip(NEXT) | instid1(SALU_CYCLE_1)
	s_mul_hi_u32 s3, s2, s3
	s_add_i32 s2, s2, s3
	s_delay_alu instid0(SALU_CYCLE_1) | instskip(NEXT) | instid1(SALU_CYCLE_1)
	s_mul_hi_u32 s2, s11, s2
	s_mul_i32 s3, s2, s20
	s_delay_alu instid0(SALU_CYCLE_1)
	s_sub_i32 s3, s11, s3
	s_add_i32 s11, s2, 1
	s_sub_i32 s12, s3, s20
	s_cmp_ge_u32 s3, s20
	s_cselect_b32 s2, s11, s2
	s_cselect_b32 s3, s12, s3
	s_add_i32 s11, s2, 1
	s_cmp_ge_u32 s3, s20
	s_cselect_b32 s18, s11, s2
.LBB3_6:
	s_delay_alu instid0(SALU_CYCLE_1) | instskip(SKIP_3) | instid1(SALU_CYCLE_1)
	s_cmp_eq_u32 s16, s18
	s_mul_hi_u32 s2, s16, s8
	s_cselect_b32 s3, -1, 0
	s_add_i32 s2, s2, s16
	s_lshr_b32 s11, s2, s9
	s_delay_alu instid0(SALU_CYCLE_1) | instskip(NEXT) | instid1(SALU_CYCLE_1)
	s_mul_i32 s2, s11, s10
	s_cmp_eq_u32 s2, s16
	s_mul_hi_u32 s2, s18, s8
	s_cselect_b32 s12, -1, 0
	s_add_i32 s2, s2, s18
	s_delay_alu instid0(SALU_CYCLE_1) | instskip(NEXT) | instid1(SALU_CYCLE_1)
	s_lshr_b32 s2, s2, s9
	s_cmp_eq_u32 s11, s2
	s_mul_i32 s2, s2, s10
	s_cselect_b32 s17, -1, 0
	s_cmp_lg_u32 s2, s18
	s_cselect_b32 s2, -1, 0
	s_or_b32 s3, s3, s12
	s_and_b32 s2, s17, s2
	s_delay_alu instid0(SALU_CYCLE_1) | instskip(NEXT) | instid1(SALU_CYCLE_1)
	s_or_b32 s2, s3, s2
	s_and_b32 vcc_lo, exec_lo, s2
	s_cbranch_vccnz .LBB3_24
; %bb.7:
	s_load_b256 s[24:31], s[0:1], 0x20
	s_waitcnt lgkmcnt(0)
	s_mul_hi_u32 s2, s16, s24
	s_delay_alu instid0(SALU_CYCLE_1) | instskip(NEXT) | instid1(SALU_CYCLE_1)
	s_add_i32 s2, s2, s16
	s_lshr_b32 s17, s2, s25
	s_load_b32 s2, s[0:1], 0x40
	s_mul_i32 s3, s17, s26
	s_delay_alu instid0(SALU_CYCLE_1) | instskip(NEXT) | instid1(SALU_CYCLE_1)
	s_sub_i32 s3, s16, s3
	s_mul_hi_u32 s12, s3, s27
	s_delay_alu instid0(SALU_CYCLE_1) | instskip(NEXT) | instid1(SALU_CYCLE_1)
	s_add_i32 s12, s3, s12
	s_lshr_b32 s21, s12, s28
	s_delay_alu instid0(SALU_CYCLE_1) | instskip(NEXT) | instid1(SALU_CYCLE_1)
	s_mul_i32 s12, s21, s29
	s_sub_i32 s3, s3, s12
	s_delay_alu instid0(SALU_CYCLE_1) | instskip(NEXT) | instid1(SALU_CYCLE_1)
	s_mul_hi_u32 s12, s3, s30
	s_add_i32 s12, s3, s12
	s_delay_alu instid0(SALU_CYCLE_1)
	s_lshr_b32 s12, s12, s31
	s_waitcnt lgkmcnt(0)
	s_mul_i32 s2, s12, s2
	s_lshl_b32 s23, s12, 3
	s_sub_i32 s2, s3, s2
	s_mov_b32 s12, 0
	s_mul_hi_u32 s3, s2, s8
	s_delay_alu instid0(SALU_CYCLE_1) | instskip(NEXT) | instid1(SALU_CYCLE_1)
	s_add_i32 s2, s2, s3
	s_lshr_b32 s22, s2, s9
	s_delay_alu instid0(SALU_CYCLE_1) | instskip(NEXT) | instid1(SALU_CYCLE_1)
	s_lshl_b32 s2, s22, 3
	s_add_i32 s2, s2, s14
	s_delay_alu instid0(SALU_CYCLE_1) | instskip(SKIP_2) | instid1(SALU_CYCLE_1)
	s_cmp_lt_i32 s2, s4
	s_cselect_b32 s2, -1, 0
	s_add_i32 s3, s23, s15
	s_cmp_lt_i32 s3, s6
	s_cselect_b32 s3, -1, 0
	s_delay_alu instid0(SALU_CYCLE_1) | instskip(NEXT) | instid1(SALU_CYCLE_1)
	s_and_b32 s2, s2, s3
	s_and_not1_b32 vcc_lo, exec_lo, s2
	s_cbranch_vccnz .LBB3_24
; %bb.8:
	s_load_b128 s[0:3], s[0:1], 0x0
	s_lshl_b32 s18, s20, 8
	s_mov_b32 s19, s12
	s_lshl_b32 s24, s14, 3
	s_lshl_b64 s[18:19], s[18:19], 2
	s_mul_i32 s4, s17, s4
	s_add_i32 s17, s24, s15
	s_mul_i32 s21, s21, s6
	v_cvt_f32_ubyte0_e32 v4, 0
	v_cvt_f32_u32_e32 v5, s20
	s_waitcnt lgkmcnt(0)
	s_add_u32 s18, s2, s18
	s_addc_u32 s19, s3, s19
	s_add_i32 s4, s4, s14
	s_delay_alu instid0(SALU_CYCLE_1) | instskip(SKIP_4) | instid1(SALU_CYCLE_1)
	s_mul_i32 s4, s4, s5
	s_mul_i32 s5, s5, s22
	s_add_i32 s4, s4, s15
	s_lshl_b32 s5, s5, 9
	s_add_i32 s4, s4, s21
	s_add_i32 s4, s4, s23
	s_delay_alu instid0(SALU_CYCLE_1) | instskip(NEXT) | instid1(SALU_CYCLE_1)
	s_lshl_b32 s4, s4, 6
	s_add_i32 s5, s5, s4
	s_delay_alu instid0(SALU_CYCLE_1) | instskip(SKIP_1) | instid1(VALU_DEP_2)
	v_or_b32_e32 v1, s5, v0
	v_lshl_or_b32 v0, s17, 6, v0
	v_ashrrev_i32_e32 v2, 31, v1
	s_delay_alu instid0(VALU_DEP_1) | instskip(NEXT) | instid1(VALU_DEP_1)
	v_lshlrev_b64 v[1:2], 2, v[1:2]
	v_add_co_u32 v1, vcc_lo, s0, v1
	s_delay_alu instid0(VALU_DEP_2) | instskip(SKIP_1) | instid1(SALU_CYCLE_1)
	v_add_co_ci_u32_e32 v2, vcc_lo, s1, v2, vcc_lo
	s_lshl_b32 s0, s13, 6
	s_add_i32 s0, s17, s0
	global_load_b32 v3, v[1:2], off
	s_ashr_i32 s1, s0, 31
	s_delay_alu instid0(SALU_CYCLE_1) | instskip(NEXT) | instid1(SALU_CYCLE_1)
	s_lshl_b64 s[0:1], s[0:1], 3
	s_add_u32 s0, s2, s0
	s_addc_u32 s1, s3, s1
	s_add_i32 s14, s13, -1
	s_load_b64 s[0:1], s[0:1], 0x0
	v_fmac_f32_e32 v5, 0x4f800000, v4
	s_sub_i32 s6, 0, s20
	s_waitcnt lgkmcnt(0)
	v_mov_b32_e32 v8, s0
	s_delay_alu instid0(VALU_DEP_2) | instskip(SKIP_2) | instid1(VALU_DEP_2)
	v_rcp_f32_e32 v4, v5
	v_cvt_f32_u32_e32 v5, s20
	v_mov_b32_e32 v7, s1
	v_rcp_iflag_f32_e32 v5, v5
	s_waitcnt_depctr 0xfff
	v_mul_f32_e32 v4, 0x5f7ffffc, v4
	s_delay_alu instid0(VALU_DEP_1) | instskip(SKIP_1) | instid1(VALU_DEP_2)
	v_mul_f32_e32 v6, 0x2f800000, v4
	v_mul_f32_e32 v9, 0x4f7ffffe, v5
	v_trunc_f32_e32 v6, v6
	s_delay_alu instid0(VALU_DEP_1) | instskip(SKIP_1) | instid1(VALU_DEP_4)
	v_fmac_f32_e32 v4, 0xcf800000, v6
	v_cvt_u32_f32_e32 v5, v6
	v_cvt_u32_f32_e32 v6, v9
	s_delay_alu instid0(VALU_DEP_3)
	v_cvt_u32_f32_e32 v4, v4
.LBB3_9:                                ; =>This Inner Loop Header: Depth=1
	s_mul_hi_i32 s13, s14, s7
	s_mul_i32 s4, s14, s7
	s_cmp_lg_u64 s[12:13], 0
	s_mov_b32 s5, -1
                                        ; implicit-def: $sgpr0_sgpr1
	s_cbranch_scc0 .LBB3_11
; %bb.10:                               ;   in Loop: Header=BB3_9 Depth=1
	v_readfirstlane_b32 s0, v4
	v_readfirstlane_b32 s1, v5
	s_sub_u32 s5, 0, s20
	s_subb_u32 s15, 0, 0
	s_delay_alu instid0(VALU_DEP_2) | instskip(NEXT) | instid1(VALU_DEP_1)
	s_mul_hi_u32 s21, s5, s0
	s_mul_i32 s22, s5, s1
	s_mul_i32 s23, s15, s0
	s_add_i32 s21, s21, s22
	s_mul_i32 s22, s5, s0
	s_add_i32 s21, s21, s23
	s_mul_hi_u32 s23, s0, s22
	s_mul_i32 s24, s0, s21
	s_mul_hi_u32 s0, s0, s21
	s_add_u32 s23, s23, s24
	s_mul_i32 s25, s1, s22
	s_addc_u32 s0, 0, s0
	s_mul_hi_u32 s22, s1, s22
	s_mul_hi_u32 s24, s1, s21
	s_add_u32 s23, s23, s25
	s_addc_u32 s0, s0, s22
	s_mul_i32 s21, s1, s21
	s_addc_u32 s22, s24, 0
	s_add_u32 s0, s0, s21
	s_addc_u32 s21, 0, s22
	v_add_co_u32 v9, s0, v4, s0
	s_delay_alu instid0(VALU_DEP_1) | instskip(SKIP_1) | instid1(VALU_DEP_1)
	s_cmp_lg_u32 s0, 0
	s_addc_u32 s1, s1, s21
	v_readfirstlane_b32 s0, v9
	s_mul_i32 s21, s5, s1
	s_delay_alu instid0(VALU_DEP_1)
	s_mul_hi_u32 s22, s5, s0
	s_mul_i32 s15, s15, s0
	s_add_i32 s21, s22, s21
	s_mul_i32 s5, s5, s0
	s_add_i32 s21, s21, s15
	s_mul_hi_u32 s15, s1, s5
	s_mul_i32 s23, s1, s5
	s_mul_i32 s24, s0, s21
	s_mul_hi_u32 s5, s0, s5
	s_mul_hi_u32 s0, s0, s21
	s_add_u32 s5, s5, s24
	s_addc_u32 s0, 0, s0
	s_mul_hi_u32 s22, s1, s21
	s_add_u32 s5, s5, s23
	s_addc_u32 s0, s0, s15
	s_mul_i32 s5, s1, s21
	s_addc_u32 s15, s22, 0
	s_add_u32 s0, s0, s5
	s_addc_u32 s5, 0, s15
	v_add_co_u32 v9, s0, v9, s0
	s_delay_alu instid0(VALU_DEP_1) | instskip(SKIP_2) | instid1(SALU_CYCLE_1)
	s_cmp_lg_u32 s0, 0
	s_addc_u32 s5, s1, s5
	s_ashr_i32 s0, s13, 31
	s_add_u32 s22, s4, s0
	s_addc_u32 s23, s13, s0
	v_readfirstlane_b32 s13, v9
	s_mov_b32 s1, s0
	s_delay_alu instid0(SALU_CYCLE_1) | instskip(NEXT) | instid1(SALU_CYCLE_1)
	s_xor_b64 s[22:23], s[22:23], s[0:1]
	s_mul_i32 s15, s22, s5
	s_delay_alu instid0(VALU_DEP_1)
	s_mul_hi_u32 s21, s22, s13
	s_mul_hi_u32 s24, s22, s5
	s_add_u32 s15, s21, s15
	s_mul_i32 s25, s23, s13
	s_addc_u32 s21, 0, s24
	s_mul_hi_u32 s13, s23, s13
	s_mul_hi_u32 s24, s23, s5
	s_add_u32 s15, s15, s25
	s_addc_u32 s13, s21, s13
	s_mul_i32 s5, s23, s5
	s_addc_u32 s15, s24, 0
	s_add_u32 s5, s13, s5
	s_addc_u32 s13, 0, s15
	s_mul_i32 s21, s20, s5
	s_add_u32 s15, s5, 1
	v_sub_co_u32 v9, s21, s22, s21
	s_addc_u32 s22, s13, 0
	s_mul_i32 s25, s20, s13
	s_mul_hi_u32 s27, s20, s5
	s_delay_alu instid0(VALU_DEP_1)
	v_sub_co_u32 v10, s26, v9, s20
	s_add_u32 s24, s5, 2
	s_addc_u32 s28, s13, 0
	s_add_i32 s27, s27, s25
	s_cmp_lg_u32 s21, 0
	v_readfirstlane_b32 s21, v10
	s_subb_u32 s23, s23, s27
	s_cmp_lg_u32 s26, 0
	s_subb_u32 s25, s23, 0
	s_delay_alu instid0(VALU_DEP_1) | instskip(SKIP_4) | instid1(SALU_CYCLE_1)
	s_cmp_ge_u32 s21, s20
	s_cselect_b32 s21, -1, 0
	s_cmp_eq_u32 s25, 0
	v_readfirstlane_b32 s25, v9
	s_cselect_b32 s21, s21, -1
	s_cmp_lg_u32 s21, 0
	s_cselect_b32 s15, s24, s15
	s_cselect_b32 s21, s28, s22
	s_cmp_ge_u32 s25, s20
	s_cselect_b32 s22, -1, 0
	s_cmp_eq_u32 s23, 0
	s_cselect_b32 s22, s22, -1
	s_delay_alu instid0(SALU_CYCLE_1) | instskip(SKIP_4) | instid1(SALU_CYCLE_1)
	s_cmp_lg_u32 s22, 0
	s_cselect_b32 s23, s21, s13
	s_cselect_b32 s22, s15, s5
	s_mov_b32 s5, 0
	s_xor_b64 s[22:23], s[22:23], s[0:1]
	s_sub_u32 s0, s22, s0
.LBB3_11:                               ;   in Loop: Header=BB3_9 Depth=1
	s_and_not1_b32 vcc_lo, exec_lo, s5
	s_cbranch_vccnz .LBB3_13
; %bb.12:                               ;   in Loop: Header=BB3_9 Depth=1
	v_readfirstlane_b32 s0, v6
	s_delay_alu instid0(VALU_DEP_1) | instskip(NEXT) | instid1(SALU_CYCLE_1)
	s_mul_i32 s1, s6, s0
	s_mul_hi_u32 s1, s0, s1
	s_delay_alu instid0(SALU_CYCLE_1) | instskip(NEXT) | instid1(SALU_CYCLE_1)
	s_add_i32 s0, s0, s1
	s_mul_hi_u32 s0, s4, s0
	s_delay_alu instid0(SALU_CYCLE_1) | instskip(NEXT) | instid1(SALU_CYCLE_1)
	s_mul_i32 s1, s0, s20
	s_sub_i32 s1, s4, s1
	s_add_i32 s4, s0, 1
	s_sub_i32 s5, s1, s20
	s_cmp_ge_u32 s1, s20
	s_cselect_b32 s0, s4, s0
	s_cselect_b32 s1, s5, s1
	s_add_i32 s4, s0, 1
	s_cmp_ge_u32 s1, s20
	s_cselect_b32 s0, s4, s0
.LBB3_13:                               ;   in Loop: Header=BB3_9 Depth=1
	s_delay_alu instid0(SALU_CYCLE_1)
	s_cmp_lg_u32 s16, s0
	s_cbranch_scc0 .LBB3_17
; %bb.14:                               ;   in Loop: Header=BB3_9 Depth=1
	s_add_i32 s1, s14, s20
	s_mov_b32 s5, s12
	s_lshl_b32 s1, s1, 6
	s_mov_b32 s15, s16
	s_add_i32 s4, s1, s17
	s_mul_hi_u32 s1, s0, s8
	s_lshl_b64 s[4:5], s[4:5], 3
	s_delay_alu instid0(SALU_CYCLE_1) | instskip(SKIP_2) | instid1(SALU_CYCLE_1)
	s_add_u32 s4, s2, s4
	s_addc_u32 s5, s3, s5
	s_add_i32 s1, s1, s0
	s_lshr_b32 s1, s1, s9
	s_delay_alu instid0(SALU_CYCLE_1) | instskip(NEXT) | instid1(SALU_CYCLE_1)
	s_mul_i32 s13, s1, s10
	s_cmp_eq_u32 s13, s0
	s_cselect_b32 s13, -1, 0
	s_cmp_lt_u32 s1, s11
	s_cselect_b32 s1, -1, 0
	s_delay_alu instid0(SALU_CYCLE_1)
	s_or_b32 s1, s1, s13
	s_mov_b32 s13, -1
	s_and_b32 vcc_lo, exec_lo, s1
	s_mov_b32 s1, s14
	s_cbranch_vccnz .LBB3_16
; %bb.15:                               ;   in Loop: Header=BB3_9 Depth=1
	s_add_i32 s1, s14, -1
	s_mov_b32 s13, 0
	s_mov_b32 s15, s0
.LBB3_16:                               ;   in Loop: Header=BB3_9 Depth=1
	v_lshl_add_u32 v9, s14, 12, v0
	s_load_b64 s[4:5], s[4:5], 0x0
	s_delay_alu instid0(VALU_DEP_1) | instskip(NEXT) | instid1(VALU_DEP_1)
	v_ashrrev_i32_e32 v10, 31, v9
	v_lshlrev_b64 v[9:10], 2, v[9:10]
	s_delay_alu instid0(VALU_DEP_1) | instskip(NEXT) | instid1(VALU_DEP_2)
	v_add_co_u32 v9, vcc_lo, s18, v9
	v_add_co_ci_u32_e32 v10, vcc_lo, s19, v10, vcc_lo
	s_waitcnt lgkmcnt(0)
	v_max_f32_e64 v11, s4, s4
	global_load_b32 v10, v[9:10], off
	v_max_f32_e32 v9, v8, v8
	s_delay_alu instid0(VALU_DEP_1) | instskip(NEXT) | instid1(VALU_DEP_1)
	v_max_f32_e32 v9, v9, v11
	v_sub_f32_e32 v12, v8, v9
	s_delay_alu instid0(VALU_DEP_1) | instskip(NEXT) | instid1(VALU_DEP_1)
	v_dual_mul_f32 v14, 0x3fb8aa3b, v12 :: v_dual_sub_f32 v11, s4, v9
	v_rndne_f32_e32 v18, v14
	s_delay_alu instid0(VALU_DEP_2) | instskip(SKIP_2) | instid1(VALU_DEP_4)
	v_mul_f32_e32 v13, 0x3fb8aa3b, v11
	v_fma_f32 v17, 0x3fb8aa3b, v12, -v14
	v_cmp_ngt_f32_e32 vcc_lo, 0xc2ce8ed0, v11
	v_sub_f32_e32 v14, v14, v18
	s_delay_alu instid0(VALU_DEP_4) | instskip(SKIP_2) | instid1(VALU_DEP_3)
	v_fma_f32 v15, 0x3fb8aa3b, v11, -v13
	v_rndne_f32_e32 v16, v13
	v_fmac_f32_e32 v17, 0x32a5705f, v12
	v_fmac_f32_e32 v15, 0x32a5705f, v11
	s_delay_alu instid0(VALU_DEP_2) | instskip(NEXT) | instid1(VALU_DEP_1)
	v_dual_sub_f32 v13, v13, v16 :: v_dual_add_f32 v14, v14, v17
	v_add_f32_e32 v13, v13, v15
	s_delay_alu instid0(VALU_DEP_2) | instskip(SKIP_2) | instid1(VALU_DEP_3)
	v_exp_f32_e32 v14, v14
	v_cvt_i32_f32_e32 v15, v16
	v_cvt_i32_f32_e32 v16, v18
	v_exp_f32_e32 v13, v13
	s_waitcnt_depctr 0xfff
	v_ldexp_f32 v14, v14, v16
	v_ldexp_f32 v13, v13, v15
	s_delay_alu instid0(VALU_DEP_1) | instskip(SKIP_1) | instid1(VALU_DEP_4)
	v_cndmask_b32_e32 v13, 0, v13, vcc_lo
	v_cmp_ngt_f32_e32 vcc_lo, 0xc2ce8ed0, v12
	v_cndmask_b32_e32 v14, 0, v14, vcc_lo
	v_cmp_nlt_f32_e32 vcc_lo, 0x42b17218, v11
	s_delay_alu instid0(VALU_DEP_4) | instskip(SKIP_1) | instid1(VALU_DEP_4)
	v_cndmask_b32_e32 v13, 0x7f800000, v13, vcc_lo
	v_cmp_nlt_f32_e32 vcc_lo, 0x42b17218, v12
	v_cndmask_b32_e32 v14, 0x7f800000, v14, vcc_lo
	v_cmp_le_f32_e32 vcc_lo, 0xc1a00000, v11
	s_delay_alu instid0(VALU_DEP_4) | instskip(SKIP_1) | instid1(VALU_DEP_4)
	v_cndmask_b32_e32 v11, 0, v13, vcc_lo
	v_cmp_le_f32_e32 vcc_lo, 0xc1a00000, v12
	v_cndmask_b32_e32 v12, 0, v14, vcc_lo
	s_waitcnt vmcnt(0)
	s_delay_alu instid0(VALU_DEP_3) | instskip(NEXT) | instid1(VALU_DEP_1)
	v_mul_f32_e32 v10, v10, v11
	v_dual_mul_f32 v11, s5, v11 :: v_dual_fmac_f32 v10, v3, v12
	s_delay_alu instid0(VALU_DEP_1)
	v_fmac_f32_e32 v11, v7, v12
	s_cbranch_execz .LBB3_18
	s_branch .LBB3_19
.LBB3_17:                               ;   in Loop: Header=BB3_9 Depth=1
                                        ; implicit-def: $sgpr13
                                        ; implicit-def: $vgpr10
                                        ; implicit-def: $vgpr9
                                        ; implicit-def: $vgpr11
                                        ; implicit-def: $sgpr1
                                        ; implicit-def: $sgpr15
.LBB3_18:                               ;   in Loop: Header=BB3_9 Depth=1
	v_mov_b32_e32 v11, v7
	s_waitcnt vmcnt(0)
	v_dual_mov_b32 v9, v8 :: v_dual_mov_b32 v10, v3
	s_add_i32 s1, s14, -1
	s_mov_b32 s13, 0
	s_mov_b32 s15, s16
.LBB3_19:                               ;   in Loop: Header=BB3_9 Depth=1
	s_and_not1_b32 vcc_lo, exec_lo, s13
	s_cbranch_vccz .LBB3_23
; %bb.20:                               ;   in Loop: Header=BB3_9 Depth=1
	v_dual_mov_b32 v7, v11 :: v_dual_mov_b32 v8, v9
	s_waitcnt vmcnt(0)
	v_mov_b32_e32 v3, v10
	s_mov_b32 s16, s15
	s_mov_b32 s14, s1
	s_branch .LBB3_9
.LBB3_21:
                                        ; implicit-def: $sgpr16_sgpr17
	s_load_b128 s[8:11], s[0:1], 0x44
	s_branch .LBB3_2
.LBB3_22:
                                        ; implicit-def: $sgpr18_sgpr19
	s_branch .LBB3_5
.LBB3_23:
	v_div_scale_f32 v0, null, v11, v11, v10
	s_waitcnt vmcnt(0)
	s_delay_alu instid0(VALU_DEP_1) | instskip(SKIP_2) | instid1(VALU_DEP_1)
	v_rcp_f32_e32 v3, v0
	s_waitcnt_depctr 0xfff
	v_fma_f32 v4, -v0, v3, 1.0
	v_fmac_f32_e32 v3, v4, v3
	v_div_scale_f32 v4, vcc_lo, v10, v11, v10
	s_delay_alu instid0(VALU_DEP_1) | instskip(NEXT) | instid1(VALU_DEP_1)
	v_mul_f32_e32 v5, v4, v3
	v_fma_f32 v6, -v0, v5, v4
	s_delay_alu instid0(VALU_DEP_1) | instskip(NEXT) | instid1(VALU_DEP_1)
	v_fmac_f32_e32 v5, v6, v3
	v_fma_f32 v0, -v0, v5, v4
	s_delay_alu instid0(VALU_DEP_1) | instskip(NEXT) | instid1(VALU_DEP_1)
	v_div_fmas_f32 v0, v0, v3, v5
	v_div_fixup_f32 v0, v0, v11, v10
	global_store_b32 v[1:2], v0, off
.LBB3_24:
	s_nop 0
	s_sendmsg sendmsg(MSG_DEALLOC_VGPRS)
	s_endpgm
	.section	.rodata,"a",@progbits
	.p2align	6, 0x0
	.amdhsa_kernel _ZL33flash_attn_stream_k_fixup_generalILi64ELi8ELi8EEvPfPK15HIP_vector_typeIfLj2EEiiiiS1_IjLj3EES5_S5_S5_
		.amdhsa_group_segment_fixed_size 0
		.amdhsa_private_segment_fixed_size 0
		.amdhsa_kernarg_size 336
		.amdhsa_user_sgpr_count 13
		.amdhsa_user_sgpr_dispatch_ptr 0
		.amdhsa_user_sgpr_queue_ptr 0
		.amdhsa_user_sgpr_kernarg_segment_ptr 1
		.amdhsa_user_sgpr_dispatch_id 0
		.amdhsa_user_sgpr_private_segment_size 0
		.amdhsa_wavefront_size32 1
		.amdhsa_uses_dynamic_stack 0
		.amdhsa_enable_private_segment 0
		.amdhsa_system_sgpr_workgroup_id_x 1
		.amdhsa_system_sgpr_workgroup_id_y 1
		.amdhsa_system_sgpr_workgroup_id_z 1
		.amdhsa_system_sgpr_workgroup_info 0
		.amdhsa_system_vgpr_workitem_id 0
		.amdhsa_next_free_vgpr 19
		.amdhsa_next_free_sgpr 32
		.amdhsa_reserve_vcc 1
		.amdhsa_float_round_mode_32 0
		.amdhsa_float_round_mode_16_64 0
		.amdhsa_float_denorm_mode_32 3
		.amdhsa_float_denorm_mode_16_64 3
		.amdhsa_dx10_clamp 1
		.amdhsa_ieee_mode 1
		.amdhsa_fp16_overflow 0
		.amdhsa_workgroup_processor_mode 1
		.amdhsa_memory_ordered 1
		.amdhsa_forward_progress 0
		.amdhsa_shared_vgpr_count 0
		.amdhsa_exception_fp_ieee_invalid_op 0
		.amdhsa_exception_fp_denorm_src 0
		.amdhsa_exception_fp_ieee_div_zero 0
		.amdhsa_exception_fp_ieee_overflow 0
		.amdhsa_exception_fp_ieee_underflow 0
		.amdhsa_exception_fp_ieee_inexact 0
		.amdhsa_exception_int_div_zero 0
	.end_amdhsa_kernel
	.section	.text._ZL33flash_attn_stream_k_fixup_generalILi64ELi8ELi8EEvPfPK15HIP_vector_typeIfLj2EEiiiiS1_IjLj3EES5_S5_S5_,"axG",@progbits,_ZL33flash_attn_stream_k_fixup_generalILi64ELi8ELi8EEvPfPK15HIP_vector_typeIfLj2EEiiiiS1_IjLj3EES5_S5_S5_,comdat
.Lfunc_end3:
	.size	_ZL33flash_attn_stream_k_fixup_generalILi64ELi8ELi8EEvPfPK15HIP_vector_typeIfLj2EEiiiiS1_IjLj3EES5_S5_S5_, .Lfunc_end3-_ZL33flash_attn_stream_k_fixup_generalILi64ELi8ELi8EEvPfPK15HIP_vector_typeIfLj2EEiiiiS1_IjLj3EES5_S5_S5_
                                        ; -- End function
	.section	.AMDGPU.csdata,"",@progbits
; Kernel info:
; codeLenInByte = 3224
; NumSgprs: 34
; NumVgprs: 19
; ScratchSize: 0
; MemoryBound: 0
; FloatMode: 240
; IeeeMode: 1
; LDSByteSize: 0 bytes/workgroup (compile time only)
; SGPRBlocks: 4
; VGPRBlocks: 2
; NumSGPRsForWavesPerEU: 34
; NumVGPRsForWavesPerEU: 19
; Occupancy: 16
; WaveLimiterHint : 0
; COMPUTE_PGM_RSRC2:SCRATCH_EN: 0
; COMPUTE_PGM_RSRC2:USER_SGPR: 13
; COMPUTE_PGM_RSRC2:TRAP_HANDLER: 0
; COMPUTE_PGM_RSRC2:TGID_X_EN: 1
; COMPUTE_PGM_RSRC2:TGID_Y_EN: 1
; COMPUTE_PGM_RSRC2:TGID_Z_EN: 1
; COMPUTE_PGM_RSRC2:TIDIG_COMP_CNT: 0
	.section	.text._ZL26flash_attn_combine_resultsILi64EEvPKfPK15HIP_vector_typeIfLj2EEPfi,"axG",@progbits,_ZL26flash_attn_combine_resultsILi64EEvPKfPK15HIP_vector_typeIfLj2EEPfi,comdat
	.globl	_ZL26flash_attn_combine_resultsILi64EEvPKfPK15HIP_vector_typeIfLj2EEPfi ; -- Begin function _ZL26flash_attn_combine_resultsILi64EEvPKfPK15HIP_vector_typeIfLj2EEPfi
	.p2align	8
	.type	_ZL26flash_attn_combine_resultsILi64EEvPKfPK15HIP_vector_typeIfLj2EEPfi,@function
_ZL26flash_attn_combine_resultsILi64EEvPKfPK15HIP_vector_typeIfLj2EEPfi: ; @_ZL26flash_attn_combine_resultsILi64EEvPKfPK15HIP_vector_typeIfLj2EEPfi
; %bb.0:
	s_clause 0x3
	s_load_b64 s[2:3], s[0:1], 0x20
	s_load_b32 s11, s[0:1], 0x18
	s_load_b128 s[4:7], s[0:1], 0x0
	s_load_b64 s[8:9], s[0:1], 0x10
	v_lshlrev_b32_e32 v5, 2, v0
	s_mov_b32 s12, exec_lo
	s_waitcnt lgkmcnt(0)
	s_mul_i32 s0, s2, s15
	s_lshl_b32 s1, s11, 1
	s_add_i32 s0, s0, s13
	s_delay_alu instid0(SALU_CYCLE_1) | instskip(NEXT) | instid1(SALU_CYCLE_1)
	s_mul_i32 s10, s0, s3
	s_add_i32 s10, s10, s14
	s_delay_alu instid0(SALU_CYCLE_1)
	s_mul_i32 s2, s10, s11
	v_cmpx_gt_i32_e64 s1, v0
	s_cbranch_execz .LBB4_3
; %bb.1:
	s_ashr_i32 s3, s2, 31
	v_dual_mov_b32 v4, v0 :: v_dual_add_nc_u32 v3, 0, v5
	s_lshl_b64 s[14:15], s[2:3], 3
	s_delay_alu instid0(SALU_CYCLE_1) | instskip(SKIP_2) | instid1(VALU_DEP_1)
	s_add_u32 s0, s6, s14
	s_addc_u32 s3, s7, s15
	v_add_co_u32 v1, s0, s0, v5
	v_add_co_ci_u32_e64 v2, null, s3, 0, s0
	s_mov_b32 s3, 0
.LBB4_2:                                ; =>This Inner Loop Header: Depth=1
	global_load_b32 v6, v[1:2], off
	v_add_nc_u32_e32 v4, 64, v4
	v_add_co_u32 v1, vcc_lo, 0x100, v1
	v_add_co_ci_u32_e32 v2, vcc_lo, 0, v2, vcc_lo
	s_delay_alu instid0(VALU_DEP_3) | instskip(NEXT) | instid1(VALU_DEP_1)
	v_cmp_le_i32_e64 s0, s1, v4
	s_or_b32 s3, s0, s3
	s_waitcnt vmcnt(0)
	ds_store_b32 v3, v6
	v_add_nc_u32_e32 v3, 0x100, v3
	s_and_not1_b32 exec_lo, exec_lo, s3
	s_cbranch_execnz .LBB4_2
.LBB4_3:
	s_or_b32 exec_lo, exec_lo, s12
	v_mov_b32_e32 v1, 0
	s_waitcnt lgkmcnt(0)
	s_barrier
	buffer_gl0_inv
	s_cmp_lt_i32 s11, 2
	ds_load_b32 v6, v1
	s_cbranch_scc1 .LBB4_11
; %bb.4:
	s_add_i32 s1, s11, -2
	s_add_i32 s0, s11, -1
	s_cmp_lt_u32 s1, 7
	s_cbranch_scc1 .LBB4_8
; %bb.5:
	s_mov_b32 s3, 0
	s_add_i32 s1, 0, 8
	s_and_b32 s6, s0, -8
	.p2align	6
.LBB4_6:                                ; =>This Inner Loop Header: Depth=1
	v_mov_b32_e32 v9, s1
	s_mov_b32 s7, s3
	s_add_i32 s3, s3, 8
	s_add_i32 s1, s1, 64
	s_cmp_eq_u32 s6, s3
	ds_load_2addr_b32 v[1:2], v9 offset1:2
	ds_load_2addr_b32 v[3:4], v9 offset0:4 offset1:6
	ds_load_2addr_b32 v[7:8], v9 offset0:8 offset1:10
	;; [unrolled: 1-line block ×3, first 2 shown]
	s_waitcnt lgkmcnt(3)
	v_max3_f32 v1, v6, v1, v2
	s_waitcnt lgkmcnt(2)
	s_delay_alu instid0(VALU_DEP_1) | instskip(SKIP_1) | instid1(VALU_DEP_1)
	v_max3_f32 v1, v1, v3, v4
	s_waitcnt lgkmcnt(1)
	v_max3_f32 v1, v1, v7, v8
	s_waitcnt lgkmcnt(0)
	s_delay_alu instid0(VALU_DEP_1)
	v_max3_f32 v6, v1, v9, v10
	s_cbranch_scc0 .LBB4_6
; %bb.7:
	s_add_i32 s1, s7, 9
	s_and_b32 s0, s0, 7
	s_delay_alu instid0(SALU_CYCLE_1)
	s_cmp_eq_u32 s0, 0
	s_cbranch_scc0 .LBB4_9
	s_branch .LBB4_11
.LBB4_8:
	s_mov_b32 s1, 1
	s_and_b32 s0, s0, 7
	s_delay_alu instid0(SALU_CYCLE_1)
	s_cmp_eq_u32 s0, 0
	s_cbranch_scc1 .LBB4_11
.LBB4_9:
	s_lshl_b32 s1, s1, 3
	s_delay_alu instid0(SALU_CYCLE_1)
	s_add_i32 s1, s1, 0
.LBB4_10:                               ; =>This Inner Loop Header: Depth=1
	s_waitcnt lgkmcnt(0)
	s_delay_alu instid0(VALU_DEP_1)
	v_dual_mov_b32 v1, s1 :: v_dual_max_f32 v2, v6, v6
	s_add_i32 s0, s0, -1
	s_add_i32 s1, s1, 8
	s_cmp_lg_u32 s0, 0
	ds_load_b32 v1, v1
	s_waitcnt lgkmcnt(0)
	v_max_f32_e32 v1, v1, v1
	s_delay_alu instid0(VALU_DEP_1)
	v_max_f32_e32 v6, v2, v1
	s_cbranch_scc1 .LBB4_10
.LBB4_11:
	s_cmp_lt_i32 s11, 1
	s_cbranch_scc1 .LBB4_16
; %bb.12:
	s_lshl_b32 s0, s2, 6
	v_mov_b32_e32 v7, 0
	s_ashr_i32 s1, s0, 31
	s_mov_b32 s13, 0
	s_lshl_b64 s[0:1], s[0:1], 2
	s_delay_alu instid0(SALU_CYCLE_1)
	s_add_u32 s6, s4, s0
	s_addc_u32 s7, s5, s1
	s_cmp_lt_u32 s11, 8
	s_cbranch_scc1 .LBB4_17
; %bb.13:
	v_or_b32_e32 v1, 0x1c0, v0
	v_dual_mov_b32 v4, 0 :: v_dual_mov_b32 v7, 0
	v_mov_b32_e32 v8, 0
	s_and_b32 s12, s11, 0x7ffffff8
	s_mov_b32 s14, 0
.LBB4_14:                               ; =>This Inner Loop Header: Depth=1
	s_delay_alu instid0(VALU_DEP_2) | instskip(SKIP_3) | instid1(VALU_DEP_2)
	v_dual_mov_b32 v2, v4 :: v_dual_add_nc_u32 v3, 0xfffffe40, v1
	v_mov_b32_e32 v21, s13
	s_add_i32 s14, s14, 8
	s_add_i32 s13, s13, 64
	v_lshlrev_b64 v[9:10], 2, v[3:4]
	v_add_nc_u32_e32 v3, 0xfffffe80, v1
	v_lshlrev_b64 v[11:12], 2, v[1:2]
	s_cmp_eq_u32 s12, s14
	s_delay_alu instid0(VALU_DEP_2) | instskip(NEXT) | instid1(VALU_DEP_4)
	v_lshlrev_b64 v[13:14], 2, v[3:4]
	v_add_co_u32 v9, vcc_lo, s6, v9
	v_add_co_ci_u32_e32 v10, vcc_lo, s7, v10, vcc_lo
	v_add_nc_u32_e32 v3, 0xfffffec0, v1
	s_delay_alu instid0(VALU_DEP_4)
	v_add_co_u32 v13, vcc_lo, s6, v13
	global_load_b32 v25, v[9:10], off
	v_add_co_ci_u32_e32 v14, vcc_lo, s7, v14, vcc_lo
	v_lshlrev_b64 v[15:16], 2, v[3:4]
	v_add_nc_u32_e32 v3, 0xffffff00, v1
	global_load_b32 v26, v[13:14], off
	v_lshlrev_b64 v[9:10], 2, v[3:4]
	v_add_nc_u32_e32 v3, 0xffffff40, v1
	v_add_co_u32 v13, vcc_lo, s6, v15
	v_add_co_ci_u32_e32 v14, vcc_lo, s7, v16, vcc_lo
	s_delay_alu instid0(VALU_DEP_4) | instskip(NEXT) | instid1(VALU_DEP_4)
	v_add_co_u32 v9, vcc_lo, s6, v9
	v_lshlrev_b64 v[15:16], 2, v[3:4]
	v_add_nc_u32_e32 v3, 0xffffff80, v1
	v_add_co_ci_u32_e32 v10, vcc_lo, s7, v10, vcc_lo
	s_clause 0x1
	global_load_b32 v27, v[13:14], off
	global_load_b32 v28, v[9:10], off
	v_lshlrev_b64 v[13:14], 2, v[3:4]
	v_subrev_nc_u32_e32 v3, 64, v1
	v_add_co_u32 v9, vcc_lo, s6, v15
	v_add_co_ci_u32_e32 v10, vcc_lo, s7, v16, vcc_lo
	s_delay_alu instid0(VALU_DEP_4) | instskip(NEXT) | instid1(VALU_DEP_4)
	v_add_co_u32 v13, vcc_lo, s6, v13
	v_lshlrev_b64 v[2:3], 2, v[3:4]
	v_add_co_ci_u32_e32 v14, vcc_lo, s7, v14, vcc_lo
	s_clause 0x1
	global_load_b32 v29, v[9:10], off
	global_load_b32 v30, v[13:14], off
	v_add_co_u32 v2, vcc_lo, s6, v2
	v_add_co_ci_u32_e32 v3, vcc_lo, s7, v3, vcc_lo
	v_add_co_u32 v9, vcc_lo, s6, v11
	v_add_co_ci_u32_e32 v10, vcc_lo, s7, v12, vcc_lo
	s_clause 0x1
	global_load_b32 v2, v[2:3], off
	global_load_b32 v3, v[9:10], off
	ds_load_2addr_b64 v[9:12], v21 offset1:1
	ds_load_2addr_b64 v[13:16], v21 offset0:2 offset1:3
	ds_load_2addr_b64 v[17:20], v21 offset0:4 offset1:5
	;; [unrolled: 1-line block ×3, first 2 shown]
	v_add_nc_u32_e32 v1, 0x200, v1
	s_waitcnt lgkmcnt(1)
	v_sub_f32_e32 v19, v19, v6
	v_sub_f32_e32 v11, v11, v6
	s_waitcnt lgkmcnt(0)
	v_sub_f32_e32 v23, v23, v6
	s_delay_alu instid0(VALU_DEP_3) | instskip(NEXT) | instid1(VALU_DEP_3)
	v_dual_sub_f32 v13, v13, v6 :: v_dual_mul_f32 v36, 0x3fb8aa3b, v19
	v_mul_f32_e32 v32, 0x3fb8aa3b, v11
	s_delay_alu instid0(VALU_DEP_2) | instskip(SKIP_1) | instid1(VALU_DEP_4)
	v_dual_mul_f32 v38, 0x3fb8aa3b, v23 :: v_dual_mul_f32 v33, 0x3fb8aa3b, v13
	v_cmp_ngt_f32_e32 vcc_lo, 0xc2ce8ed0, v13
	v_fma_f32 v49, 0x3fb8aa3b, v19, -v36
	s_delay_alu instid0(VALU_DEP_4) | instskip(SKIP_4) | instid1(VALU_DEP_4)
	v_fma_f32 v41, 0x3fb8aa3b, v11, -v32
	v_rndne_f32_e32 v42, v32
	v_fma_f32 v43, 0x3fb8aa3b, v13, -v33
	v_rndne_f32_e32 v44, v33
	v_rndne_f32_e32 v54, v38
	v_dual_fmac_f32 v41, 0x32a5705f, v11 :: v_dual_sub_f32 v32, v32, v42
	v_sub_f32_e32 v15, v15, v6
	v_fmac_f32_e32 v43, 0x32a5705f, v13
	v_sub_f32_e32 v33, v33, v44
	v_cvt_i32_f32_e32 v42, v42
	v_dual_add_f32 v32, v32, v41 :: v_dual_sub_f32 v9, v9, v6
	v_mul_f32_e32 v34, 0x3fb8aa3b, v15
	s_delay_alu instid0(VALU_DEP_4) | instskip(SKIP_1) | instid1(VALU_DEP_4)
	v_add_f32_e32 v33, v33, v43
	v_cvt_i32_f32_e32 v44, v44
	v_exp_f32_e32 v32, v32
	v_mul_f32_e32 v31, 0x3fb8aa3b, v9
	v_fma_f32 v45, 0x3fb8aa3b, v15, -v34
	v_rndne_f32_e32 v46, v34
	v_exp_f32_e32 v33, v33
	v_cmp_ngt_f32_e64 s5, 0xc2ce8ed0, v9
	v_fma_f32 v39, 0x3fb8aa3b, v9, -v31
	v_rndne_f32_e32 v40, v31
	v_dual_fmac_f32 v45, 0x32a5705f, v15 :: v_dual_sub_f32 v34, v34, v46
	v_sub_f32_e32 v17, v17, v6
	s_delay_alu instid0(VALU_DEP_4) | instskip(NEXT) | instid1(VALU_DEP_4)
	v_fmac_f32_e32 v39, 0x32a5705f, v9
	v_sub_f32_e32 v31, v31, v40
	v_cvt_i32_f32_e32 v40, v40
	v_add_f32_e32 v34, v34, v45
	v_ldexp_f32 v32, v32, v42
	v_ldexp_f32 v33, v33, v44
	v_add_f32_e32 v31, v31, v39
	v_cvt_i32_f32_e32 v46, v46
	v_exp_f32_e32 v34, v34
	v_cmp_ngt_f32_e64 s0, 0xc2ce8ed0, v15
	v_cmp_ngt_f32_e64 s1, 0xc2ce8ed0, v17
	v_exp_f32_e32 v31, v31
	v_rndne_f32_e32 v50, v36
	s_delay_alu instid0(VALU_DEP_1)
	v_dual_fmac_f32 v49, 0x32a5705f, v19 :: v_dual_sub_f32 v36, v36, v50
	s_waitcnt_depctr 0xfff
	v_ldexp_f32 v34, v34, v46
	v_cvt_i32_f32_e32 v50, v50
	v_ldexp_f32 v31, v31, v40
	v_add_f32_e32 v36, v36, v49
	v_cmp_ngt_f32_e64 s2, 0xc2ce8ed0, v19
	s_delay_alu instid0(VALU_DEP_3) | instskip(SKIP_1) | instid1(VALU_DEP_4)
	v_cndmask_b32_e64 v31, 0, v31, s5
	v_cmp_ngt_f32_e64 s5, 0xc2ce8ed0, v11
	v_exp_f32_e32 v36, v36
	s_delay_alu instid0(VALU_DEP_1) | instskip(SKIP_1) | instid1(VALU_DEP_1)
	v_cndmask_b32_e64 v32, 0, v32, s5
	v_cmp_nlt_f32_e64 s5, 0x42b17218, v9
	v_cndmask_b32_e64 v9, 0x7f800000, v31, s5
	v_cndmask_b32_e32 v31, 0, v33, vcc_lo
	v_cmp_nlt_f32_e32 vcc_lo, 0x42b17218, v11
	s_waitcnt_depctr 0xfff
	v_ldexp_f32 v36, v36, v50
	v_dual_fmac_f32 v8, v9, v10 :: v_dual_cndmask_b32 v11, 0x7f800000, v32
	v_cmp_nlt_f32_e32 vcc_lo, 0x42b17218, v13
	s_delay_alu instid0(VALU_DEP_2)
	v_fmac_f32_e32 v8, v11, v12
	v_cndmask_b32_e32 v10, 0x7f800000, v31, vcc_lo
	v_cmp_nlt_f32_e32 vcc_lo, 0x42b17218, v15
	v_fma_f32 v53, 0x3fb8aa3b, v23, -v38
	v_sub_f32_e32 v38, v38, v54
	v_cvt_i32_f32_e32 v54, v54
	v_fmac_f32_e32 v8, v10, v14
	v_cmp_ngt_f32_e64 s4, 0xc2ce8ed0, v23
	v_fmac_f32_e32 v53, 0x32a5705f, v23
	s_delay_alu instid0(VALU_DEP_1) | instskip(NEXT) | instid1(VALU_DEP_1)
	v_dual_sub_f32 v21, v21, v6 :: v_dual_add_f32 v38, v38, v53
	v_cmp_ngt_f32_e64 s3, 0xc2ce8ed0, v21
	s_delay_alu instid0(VALU_DEP_2)
	v_exp_f32_e32 v38, v38
	s_waitcnt_depctr 0xfff
	v_ldexp_f32 v38, v38, v54
	s_waitcnt vmcnt(7)
	v_fmac_f32_e32 v7, v25, v9
	v_cndmask_b32_e64 v9, 0, v34, s0
	s_delay_alu instid0(VALU_DEP_1)
	v_cndmask_b32_e32 v9, 0x7f800000, v9, vcc_lo
	v_mul_f32_e32 v35, 0x3fb8aa3b, v17
	s_waitcnt vmcnt(6)
	v_fmac_f32_e32 v7, v26, v11
	v_cmp_nlt_f32_e32 vcc_lo, 0x42b17218, v17
	v_fmac_f32_e32 v8, v9, v16
	v_fma_f32 v47, 0x3fb8aa3b, v17, -v35
	v_rndne_f32_e32 v48, v35
	s_delay_alu instid0(VALU_DEP_2) | instskip(NEXT) | instid1(VALU_DEP_2)
	v_fmac_f32_e32 v47, 0x32a5705f, v17
	v_sub_f32_e32 v35, v35, v48
	v_cvt_i32_f32_e32 v48, v48
	s_waitcnt vmcnt(5)
	v_fmac_f32_e32 v7, v27, v10
	v_cndmask_b32_e64 v10, 0, v36, s2
	v_add_f32_e32 v35, v35, v47
	s_waitcnt vmcnt(4)
	s_delay_alu instid0(VALU_DEP_3) | instskip(NEXT) | instid1(VALU_DEP_2)
	v_fmac_f32_e32 v7, v28, v9
	v_exp_f32_e32 v35, v35
	s_waitcnt_depctr 0xfff
	v_ldexp_f32 v35, v35, v48
	s_delay_alu instid0(VALU_DEP_1) | instskip(NEXT) | instid1(VALU_DEP_1)
	v_cndmask_b32_e64 v11, 0, v35, s1
	v_cndmask_b32_e32 v11, 0x7f800000, v11, vcc_lo
	v_mul_f32_e32 v37, 0x3fb8aa3b, v21
	v_cmp_nlt_f32_e32 vcc_lo, 0x42b17218, v19
	s_delay_alu instid0(VALU_DEP_3) | instskip(NEXT) | instid1(VALU_DEP_3)
	v_fmac_f32_e32 v8, v11, v18
	v_fma_f32 v51, 0x3fb8aa3b, v21, -v37
	v_rndne_f32_e32 v52, v37
	s_waitcnt vmcnt(3)
	v_dual_cndmask_b32 v10, 0x7f800000, v10 :: v_dual_fmac_f32 v7, v29, v11
	v_cmp_nlt_f32_e32 vcc_lo, 0x42b17218, v21
	v_fmac_f32_e32 v51, 0x32a5705f, v21
	v_sub_f32_e32 v37, v37, v52
	v_cvt_i32_f32_e32 v52, v52
	v_cndmask_b32_e64 v11, 0, v38, s4
	v_fmac_f32_e32 v8, v10, v20
	s_waitcnt vmcnt(2)
	v_fmac_f32_e32 v7, v30, v10
	v_add_f32_e32 v37, v37, v51
	s_delay_alu instid0(VALU_DEP_1) | instskip(SKIP_2) | instid1(VALU_DEP_1)
	v_exp_f32_e32 v37, v37
	s_waitcnt_depctr 0xfff
	v_ldexp_f32 v37, v37, v52
	v_cndmask_b32_e64 v9, 0, v37, s3
	s_delay_alu instid0(VALU_DEP_1) | instskip(SKIP_1) | instid1(VALU_DEP_2)
	v_cndmask_b32_e32 v9, 0x7f800000, v9, vcc_lo
	v_cmp_nlt_f32_e32 vcc_lo, 0x42b17218, v23
	v_fmac_f32_e32 v8, v9, v22
	s_waitcnt vmcnt(1)
	v_dual_cndmask_b32 v10, 0x7f800000, v11 :: v_dual_fmac_f32 v7, v2, v9
	s_waitcnt vmcnt(0)
	s_delay_alu instid0(VALU_DEP_1)
	v_dual_fmac_f32 v8, v10, v24 :: v_dual_fmac_f32 v7, v3, v10
	s_cbranch_scc0 .LBB4_14
; %bb.15:
	s_and_b32 s0, s11, 7
	s_delay_alu instid0(SALU_CYCLE_1)
	s_cmp_eq_u32 s0, 0
	s_cbranch_scc0 .LBB4_18
	s_branch .LBB4_20
.LBB4_16:
	v_mov_b32_e32 v0, 0x7fc00000
	s_branch .LBB4_21
.LBB4_17:
	v_mov_b32_e32 v8, 0
	s_mov_b32 s12, 0
	s_and_b32 s0, s11, 7
	s_delay_alu instid0(SALU_CYCLE_1)
	s_cmp_eq_u32 s0, 0
	s_cbranch_scc1 .LBB4_20
.LBB4_18:
	v_lshl_or_b32 v0, s12, 6, v0
	v_mov_b32_e32 v1, 0
	s_lshl_b32 s1, s12, 3
	s_delay_alu instid0(SALU_CYCLE_1)
	s_add_i32 s1, s1, 0
	s_set_inst_prefetch_distance 0x1
	.p2align	6
.LBB4_19:                               ; =>This Inner Loop Header: Depth=1
	s_delay_alu instid0(VALU_DEP_1) | instskip(SKIP_2) | instid1(VALU_DEP_2)
	v_lshlrev_b64 v[2:3], 2, v[0:1]
	s_add_i32 s0, s0, -1
	v_add_nc_u32_e32 v0, 64, v0
	v_add_co_u32 v2, vcc_lo, s6, v2
	s_delay_alu instid0(VALU_DEP_3)
	v_add_co_ci_u32_e32 v3, vcc_lo, s7, v3, vcc_lo
	global_load_b32 v4, v[2:3], off
	v_mov_b32_e32 v2, s1
	s_add_i32 s1, s1, 8
	s_cmp_lg_u32 s0, 0
	ds_load_b64 v[2:3], v2
	s_waitcnt lgkmcnt(0)
	v_sub_f32_e32 v2, v2, v6
	s_delay_alu instid0(VALU_DEP_1) | instskip(SKIP_1) | instid1(VALU_DEP_2)
	v_mul_f32_e32 v9, 0x3fb8aa3b, v2
	v_cmp_ngt_f32_e32 vcc_lo, 0xc2ce8ed0, v2
	v_fma_f32 v10, 0x3fb8aa3b, v2, -v9
	v_rndne_f32_e32 v11, v9
	s_delay_alu instid0(VALU_DEP_1) | instskip(NEXT) | instid1(VALU_DEP_1)
	v_dual_fmac_f32 v10, 0x32a5705f, v2 :: v_dual_sub_f32 v9, v9, v11
	v_add_f32_e32 v9, v9, v10
	v_cvt_i32_f32_e32 v10, v11
	s_delay_alu instid0(VALU_DEP_2) | instskip(SKIP_2) | instid1(VALU_DEP_1)
	v_exp_f32_e32 v9, v9
	s_waitcnt_depctr 0xfff
	v_ldexp_f32 v9, v9, v10
	v_cndmask_b32_e32 v9, 0, v9, vcc_lo
	v_cmp_nlt_f32_e32 vcc_lo, 0x42b17218, v2
	s_delay_alu instid0(VALU_DEP_2) | instskip(SKIP_1) | instid1(VALU_DEP_1)
	v_cndmask_b32_e32 v2, 0x7f800000, v9, vcc_lo
	s_waitcnt vmcnt(0)
	v_dual_fmac_f32 v8, v2, v3 :: v_dual_fmac_f32 v7, v4, v2
	s_cbranch_scc1 .LBB4_19
.LBB4_20:
	s_set_inst_prefetch_distance 0x2
	s_delay_alu instid0(VALU_DEP_1) | instskip(NEXT) | instid1(VALU_DEP_1)
	v_div_scale_f32 v0, null, v8, v8, v7
	v_rcp_f32_e32 v1, v0
	s_waitcnt_depctr 0xfff
	v_fma_f32 v2, -v0, v1, 1.0
	s_delay_alu instid0(VALU_DEP_1) | instskip(SKIP_1) | instid1(VALU_DEP_1)
	v_fmac_f32_e32 v1, v2, v1
	v_div_scale_f32 v2, vcc_lo, v7, v8, v7
	v_mul_f32_e32 v3, v2, v1
	s_delay_alu instid0(VALU_DEP_1) | instskip(NEXT) | instid1(VALU_DEP_1)
	v_fma_f32 v4, -v0, v3, v2
	v_fmac_f32_e32 v3, v4, v1
	s_delay_alu instid0(VALU_DEP_1) | instskip(NEXT) | instid1(VALU_DEP_1)
	v_fma_f32 v0, -v0, v3, v2
	v_div_fmas_f32 v0, v0, v1, v3
	s_delay_alu instid0(VALU_DEP_1)
	v_div_fixup_f32 v0, v0, v8, v7
.LBB4_21:
	s_lshl_b32 s0, s10, 6
	s_delay_alu instid0(SALU_CYCLE_1) | instskip(NEXT) | instid1(SALU_CYCLE_1)
	s_ashr_i32 s1, s0, 31
	s_lshl_b64 s[0:1], s[0:1], 2
	s_delay_alu instid0(SALU_CYCLE_1)
	s_add_u32 s0, s8, s0
	s_addc_u32 s1, s9, s1
	global_store_b32 v5, v0, s[0:1]
	s_nop 0
	s_sendmsg sendmsg(MSG_DEALLOC_VGPRS)
	s_endpgm
	.section	.rodata,"a",@progbits
	.p2align	6, 0x0
	.amdhsa_kernel _ZL26flash_attn_combine_resultsILi64EEvPKfPK15HIP_vector_typeIfLj2EEPfi
		.amdhsa_group_segment_fixed_size 0
		.amdhsa_private_segment_fixed_size 0
		.amdhsa_kernarg_size 288
		.amdhsa_user_sgpr_count 13
		.amdhsa_user_sgpr_dispatch_ptr 0
		.amdhsa_user_sgpr_queue_ptr 0
		.amdhsa_user_sgpr_kernarg_segment_ptr 1
		.amdhsa_user_sgpr_dispatch_id 0
		.amdhsa_user_sgpr_private_segment_size 0
		.amdhsa_wavefront_size32 1
		.amdhsa_uses_dynamic_stack 0
		.amdhsa_enable_private_segment 0
		.amdhsa_system_sgpr_workgroup_id_x 1
		.amdhsa_system_sgpr_workgroup_id_y 1
		.amdhsa_system_sgpr_workgroup_id_z 1
		.amdhsa_system_sgpr_workgroup_info 0
		.amdhsa_system_vgpr_workitem_id 0
		.amdhsa_next_free_vgpr 55
		.amdhsa_next_free_sgpr 16
		.amdhsa_reserve_vcc 1
		.amdhsa_float_round_mode_32 0
		.amdhsa_float_round_mode_16_64 0
		.amdhsa_float_denorm_mode_32 3
		.amdhsa_float_denorm_mode_16_64 3
		.amdhsa_dx10_clamp 1
		.amdhsa_ieee_mode 1
		.amdhsa_fp16_overflow 0
		.amdhsa_workgroup_processor_mode 1
		.amdhsa_memory_ordered 1
		.amdhsa_forward_progress 0
		.amdhsa_shared_vgpr_count 0
		.amdhsa_exception_fp_ieee_invalid_op 0
		.amdhsa_exception_fp_denorm_src 0
		.amdhsa_exception_fp_ieee_div_zero 0
		.amdhsa_exception_fp_ieee_overflow 0
		.amdhsa_exception_fp_ieee_underflow 0
		.amdhsa_exception_fp_ieee_inexact 0
		.amdhsa_exception_int_div_zero 0
	.end_amdhsa_kernel
	.section	.text._ZL26flash_attn_combine_resultsILi64EEvPKfPK15HIP_vector_typeIfLj2EEPfi,"axG",@progbits,_ZL26flash_attn_combine_resultsILi64EEvPKfPK15HIP_vector_typeIfLj2EEPfi,comdat
.Lfunc_end4:
	.size	_ZL26flash_attn_combine_resultsILi64EEvPKfPK15HIP_vector_typeIfLj2EEPfi, .Lfunc_end4-_ZL26flash_attn_combine_resultsILi64EEvPKfPK15HIP_vector_typeIfLj2EEPfi
                                        ; -- End function
	.section	.AMDGPU.csdata,"",@progbits
; Kernel info:
; codeLenInByte = 2344
; NumSgprs: 18
; NumVgprs: 55
; ScratchSize: 0
; MemoryBound: 0
; FloatMode: 240
; IeeeMode: 1
; LDSByteSize: 0 bytes/workgroup (compile time only)
; SGPRBlocks: 2
; VGPRBlocks: 6
; NumSGPRsForWavesPerEU: 18
; NumVGPRsForWavesPerEU: 55
; Occupancy: 16
; WaveLimiterHint : 0
; COMPUTE_PGM_RSRC2:SCRATCH_EN: 0
; COMPUTE_PGM_RSRC2:USER_SGPR: 13
; COMPUTE_PGM_RSRC2:TRAP_HANDLER: 0
; COMPUTE_PGM_RSRC2:TGID_X_EN: 1
; COMPUTE_PGM_RSRC2:TGID_Y_EN: 1
; COMPUTE_PGM_RSRC2:TGID_Z_EN: 1
; COMPUTE_PGM_RSRC2:TIDIG_COMP_CNT: 0
	.section	.text._ZL15flash_attn_tileILi64ELi64ELi4ELi8ELb0EEvPKcS1_S1_S1_S1_PKiPfP15HIP_vector_typeIfLj2EEffffjfiS5_IjLj3EEiiiiiiiiiiiliiliiiiil,"axG",@progbits,_ZL15flash_attn_tileILi64ELi64ELi4ELi8ELb0EEvPKcS1_S1_S1_S1_PKiPfP15HIP_vector_typeIfLj2EEffffjfiS5_IjLj3EEiiiiiiiiiiiliiliiiiil,comdat
	.globl	_ZL15flash_attn_tileILi64ELi64ELi4ELi8ELb0EEvPKcS1_S1_S1_S1_PKiPfP15HIP_vector_typeIfLj2EEffffjfiS5_IjLj3EEiiiiiiiiiiiliiliiiiil ; -- Begin function _ZL15flash_attn_tileILi64ELi64ELi4ELi8ELb0EEvPKcS1_S1_S1_S1_PKiPfP15HIP_vector_typeIfLj2EEffffjfiS5_IjLj3EEiiiiiiiiiiiliiliiiiil
	.p2align	8
	.type	_ZL15flash_attn_tileILi64ELi64ELi4ELi8ELb0EEvPKcS1_S1_S1_S1_PKiPfP15HIP_vector_typeIfLj2EEffffjfiS5_IjLj3EEiiiiiiiiiiiliiliiiiil,@function
_ZL15flash_attn_tileILi64ELi64ELi4ELi8ELb0EEvPKcS1_S1_S1_S1_PKiPfP15HIP_vector_typeIfLj2EEffffjfiS5_IjLj3EEiiiiiiiiiiiliiliiiiil: ; @_ZL15flash_attn_tileILi64ELi64ELi4ELi8ELb0EEvPKcS1_S1_S1_S1_PKiPfP15HIP_vector_typeIfLj2EEffffjfiS5_IjLj3EEiiiiiiiiiiiliiliiiiil
; %bb.0:
	s_clause 0x1
	s_load_b128 s[60:63], s[0:1], 0x5c
	s_load_b64 s[66:67], s[0:1], 0x80
	s_mov_b64 s[68:69], 0
	s_waitcnt lgkmcnt(0)
	s_ashr_i32 s2, s63, 31
	s_delay_alu instid0(SALU_CYCLE_1) | instskip(NEXT) | instid1(SALU_CYCLE_1)
	s_lshr_b32 s2, s2, 29
	s_add_i32 s2, s63, s2
	s_delay_alu instid0(SALU_CYCLE_1) | instskip(NEXT) | instid1(SALU_CYCLE_1)
	s_ashr_i32 s2, s2, 3
	v_cvt_f32_u32_e32 v1, s2
	s_sub_i32 s4, 0, s2
	s_delay_alu instid0(VALU_DEP_1) | instskip(SKIP_2) | instid1(VALU_DEP_1)
	v_rcp_iflag_f32_e32 v1, v1
	s_waitcnt_depctr 0xfff
	v_mul_f32_e32 v1, 0x4f7ffffe, v1
	v_cvt_u32_f32_e32 v1, v1
	s_delay_alu instid0(VALU_DEP_1) | instskip(NEXT) | instid1(VALU_DEP_1)
	v_readfirstlane_b32 s3, v1
	s_mul_i32 s4, s4, s3
	s_delay_alu instid0(SALU_CYCLE_1) | instskip(NEXT) | instid1(SALU_CYCLE_1)
	s_mul_hi_u32 s4, s3, s4
	s_add_i32 s3, s3, s4
	s_delay_alu instid0(SALU_CYCLE_1) | instskip(NEXT) | instid1(SALU_CYCLE_1)
	s_mul_hi_u32 s3, s15, s3
	s_mul_i32 s4, s3, s2
	s_add_i32 s5, s3, 1
	s_sub_i32 s4, s15, s4
	s_delay_alu instid0(SALU_CYCLE_1)
	s_sub_i32 s6, s4, s2
	s_cmp_ge_u32 s4, s2
	s_cselect_b32 s3, s5, s3
	s_cselect_b32 s4, s6, s4
	s_add_i32 s5, s3, 1
	s_cmp_ge_u32 s4, s2
	s_cselect_b32 s70, s5, s3
	s_abs_i32 s2, s67
	s_abs_i32 s7, s63
	v_cvt_f32_u32_e32 v1, s2
	s_sub_i32 s4, 0, s2
	s_lshl_b32 s5, s15, 3
	s_mul_i32 s6, s70, s63
	s_delay_alu instid0(VALU_DEP_1) | instskip(SKIP_3) | instid1(VALU_DEP_1)
	v_rcp_iflag_f32_e32 v1, v1
	s_sub_i32 s64, s5, s6
	s_waitcnt_depctr 0xfff
	v_mul_f32_e32 v1, 0x4f7ffffe, v1
	v_cvt_u32_f32_e32 v1, v1
	s_delay_alu instid0(VALU_DEP_1) | instskip(NEXT) | instid1(VALU_DEP_1)
	v_readfirstlane_b32 s3, v1
	s_mul_i32 s4, s4, s3
	s_delay_alu instid0(SALU_CYCLE_1) | instskip(NEXT) | instid1(SALU_CYCLE_1)
	s_mul_hi_u32 s4, s3, s4
	s_add_i32 s3, s3, s4
	s_xor_b32 s4, s63, s67
	s_mul_hi_u32 s3, s7, s3
	s_ashr_i32 s4, s4, 31
	s_mul_i32 s5, s3, s2
	s_add_i32 s6, s3, 1
	s_sub_i32 s5, s7, s5
	s_delay_alu instid0(SALU_CYCLE_1)
	s_sub_i32 s7, s5, s2
	s_cmp_ge_u32 s5, s2
	s_cselect_b32 s3, s6, s3
	s_cselect_b32 s5, s7, s5
	s_add_i32 s6, s3, 1
	s_cmp_ge_u32 s5, s2
	s_cselect_b32 s2, s6, s3
	s_delay_alu instid0(SALU_CYCLE_1) | instskip(NEXT) | instid1(SALU_CYCLE_1)
	s_xor_b32 s2, s2, s4
	s_sub_i32 s9, s2, s4
	s_clause 0x1
	s_load_b512 s[44:59], s[0:1], 0x0
	s_load_b64 s[2:3], s[0:1], 0xb8
	s_abs_i32 s8, s9
	s_delay_alu instid0(SALU_CYCLE_1) | instskip(NEXT) | instid1(VALU_DEP_1)
	v_cvt_f32_u32_e32 v1, s8
	v_rcp_iflag_f32_e32 v1, v1
	s_waitcnt_depctr 0xfff
	v_mul_f32_e32 v1, 0x4f7ffffe, v1
	s_waitcnt lgkmcnt(0)
	s_cmp_eq_u64 s[50:51], 0
	s_delay_alu instid0(VALU_DEP_1) | instskip(NEXT) | instid1(VALU_DEP_1)
	v_cvt_u32_f32_e32 v1, v1
	v_readfirstlane_b32 s10, v1
	s_cbranch_scc1 .LBB5_2
; %bb.1:
	s_abs_i32 s2, s2
	s_abs_i32 s6, s70
	v_cvt_f32_u32_e32 v1, s2
	s_sub_i32 s5, 0, s2
	s_delay_alu instid0(VALU_DEP_1) | instskip(SKIP_2) | instid1(VALU_DEP_1)
	v_rcp_iflag_f32_e32 v1, v1
	s_waitcnt_depctr 0xfff
	v_mul_f32_e32 v1, 0x4f7ffffe, v1
	v_cvt_u32_f32_e32 v1, v1
	s_delay_alu instid0(VALU_DEP_1) | instskip(NEXT) | instid1(VALU_DEP_1)
	v_readfirstlane_b32 s4, v1
	s_mul_i32 s5, s5, s4
	s_delay_alu instid0(SALU_CYCLE_1) | instskip(NEXT) | instid1(SALU_CYCLE_1)
	s_mul_hi_u32 s5, s4, s5
	s_add_i32 s7, s4, s5
	s_load_b64 s[4:5], s[0:1], 0xc8
	s_mul_hi_u32 s7, s6, s7
	s_delay_alu instid0(SALU_CYCLE_1) | instskip(NEXT) | instid1(SALU_CYCLE_1)
	s_mul_i32 s7, s7, s2
	s_sub_i32 s6, s6, s7
	s_ashr_i32 s7, s70, 31
	s_sub_i32 s11, s6, s2
	s_cmp_ge_u32 s6, s2
	s_cselect_b32 s6, s11, s6
	s_delay_alu instid0(SALU_CYCLE_1) | instskip(SKIP_2) | instid1(SALU_CYCLE_1)
	s_sub_i32 s11, s6, s2
	s_cmp_ge_u32 s6, s2
	s_cselect_b32 s2, s11, s6
	s_xor_b32 s2, s2, s7
	s_delay_alu instid0(SALU_CYCLE_1)
	s_sub_i32 s2, s2, s7
	s_waitcnt lgkmcnt(0)
	s_mul_i32 s5, s2, s5
	s_mul_hi_u32 s6, s2, s4
	s_ashr_i32 s7, s2, 31
	s_add_i32 s5, s6, s5
	s_mul_i32 s7, s7, s4
	s_mul_i32 s2, s2, s4
	s_add_i32 s5, s5, s7
	s_add_u32 s68, s50, s2
	s_addc_u32 s69, s51, s5
.LBB5_2:
	v_bfe_u32 v8, v0, 10, 10
	s_load_b128 s[4:7], s[0:1], 0x70
	v_and_b32_e32 v24, 0x3ff, v0
	s_delay_alu instid0(VALU_DEP_2) | instskip(NEXT) | instid1(VALU_DEP_1)
	v_lshl_add_u32 v25, s13, 2, v8
	v_mul_hi_u32 v1, s60, v25
	s_delay_alu instid0(VALU_DEP_1) | instskip(SKIP_3) | instid1(VALU_DEP_1)
	v_add_nc_u32_e32 v1, v25, v1
	s_waitcnt lgkmcnt(0)
	s_mul_i32 s2, s70, s6
	s_mul_i32 s6, s64, s5
	v_lshrrev_b32_e32 v1, s61, v1
	s_ashr_i32 s7, s2, 31
	s_add_u32 s2, s44, s2
	s_addc_u32 s7, s45, s7
	s_ashr_i32 s11, s6, 31
	v_mul_lo_u32 v1, v1, s62
	s_add_u32 s2, s2, s6
	s_addc_u32 s11, s7, s11
	s_ashr_i32 s6, s4, 31
	s_ashr_i32 s7, s5, 31
	v_alignbit_b32 v3, s6, s4, 2
	s_lshr_b32 s4, s6, 2
	v_alignbit_b32 v16, s7, s5, 2
	v_sub_nc_u32_e32 v9, v25, v1
	s_mov_b32 s6, s5
	s_delay_alu instid0(SALU_CYCLE_1) | instskip(SKIP_1) | instid1(VALU_DEP_1)
	s_lshr_b64 s[16:17], s[6:7], 2
	s_lshr_b32 s6, s7, 2
	v_mad_u64_u32 v[1:2], null, v3, v9, 0
	s_lshl_b64 s[16:17], s[16:17], 3
	s_delay_alu instid0(VALU_DEP_1) | instskip(SKIP_2) | instid1(SALU_CYCLE_1)
	v_mad_u64_u32 v[3:4], null, s4, v9, v[2:3]
	s_and_b32 s4, s5, -4
	s_and_b32 s5, s7, 0x3fffffff
	s_lshl_b64 s[18:19], s[4:5], 2
	s_cmp_eq_u64 s[54:55], 0
	s_delay_alu instid0(VALU_DEP_1) | instskip(NEXT) | instid1(VALU_DEP_1)
	v_dual_mov_b32 v2, v3 :: v_dual_lshlrev_b32 v3, 3, v24
	v_lshlrev_b64 v[0:1], 2, v[1:2]
	s_delay_alu instid0(VALU_DEP_1) | instskip(NEXT) | instid1(VALU_DEP_2)
	v_add_co_u32 v0, vcc_lo, s2, v0
	v_add_co_ci_u32_e32 v1, vcc_lo, s11, v1, vcc_lo
	s_load_b32 s2, s[0:1], 0x40
	s_delay_alu instid0(VALU_DEP_2) | instskip(NEXT) | instid1(VALU_DEP_2)
	v_add_co_u32 v0, vcc_lo, v0, v3
	v_add_co_ci_u32_e32 v1, vcc_lo, 0, v1, vcc_lo
	s_delay_alu instid0(VALU_DEP_2) | instskip(NEXT) | instid1(VALU_DEP_2)
	v_add_co_u32 v2, vcc_lo, v0, s4
	v_mad_u64_u32 v[6:7], null, v16, 12, v[0:1]
	v_mad_u64_u32 v[10:11], null, v16, 20, v[0:1]
	v_mad_u64_u32 v[12:13], null, v16, 24, v[0:1]
	v_add_co_ci_u32_e32 v3, vcc_lo, s7, v1, vcc_lo
	v_mad_u64_u32 v[14:15], null, v16, 28, v[0:1]
	v_add_co_u32 v4, vcc_lo, v0, s16
	v_mad_u64_u32 v[18:19], null, s6, 12, v[7:8]
	v_add_co_ci_u32_e32 v5, vcc_lo, s17, v1, vcc_lo
	v_add_co_u32 v16, vcc_lo, v0, s18
	v_mad_u64_u32 v[19:20], null, s6, 20, v[11:12]
	v_mad_u64_u32 v[20:21], null, s6, 24, v[13:14]
	s_delay_alu instid0(VALU_DEP_3)
	v_mad_u64_u32 v[21:22], null, s6, 28, v[15:16]
	v_mov_b32_e32 v7, v18
	v_lshlrev_b32_e32 v47, 2, v24
	v_add_co_ci_u32_e32 v17, vcc_lo, s19, v1, vcc_lo
	s_clause 0x3
	global_load_b64 v[0:1], v[0:1], off
	global_load_b64 v[2:3], v[2:3], off
	;; [unrolled: 1-line block ×4, first 2 shown]
	v_mov_b32_e32 v13, v20
	v_lshl_or_b32 v18, v8, 10, v47
	v_mov_b32_e32 v11, v19
	s_delay_alu instid0(VALU_DEP_2)
	v_dual_mov_b32 v15, v21 :: v_dual_add_nc_u32 v18, 0x3400, v18
	s_clause 0x3
	global_load_b64 v[6:7], v[6:7], off
	global_load_b64 v[10:11], v[10:11], off
	;; [unrolled: 1-line block ×4, first 2 shown]
	s_waitcnt vmcnt(7) lgkmcnt(0)
	v_fma_mixlo_f16 v0, v0, s2, 0
	s_waitcnt vmcnt(6)
	v_fma_mixlo_f16 v2, v2, s2, 0
	s_waitcnt vmcnt(5)
	v_fma_mixlo_f16 v4, v4, s2, 0
	v_fma_mixhi_f16 v0, v1, s2, 0
	s_delay_alu instid0(VALU_DEP_3)
	v_fma_mixhi_f16 v2, v3, s2, 0
	s_waitcnt vmcnt(4)
	v_fma_mixlo_f16 v1, v16, s2, 0
	s_waitcnt vmcnt(3)
	v_fma_mixlo_f16 v3, v6, s2, 0
	v_fma_mixhi_f16 v4, v5, s2, 0
	s_waitcnt vmcnt(2)
	v_fma_mixlo_f16 v5, v10, s2, 0
	s_waitcnt vmcnt(1)
	v_fma_mixlo_f16 v6, v12, s2, 0
	;; [unrolled: 2-line block ×3, first 2 shown]
	v_fma_mixhi_f16 v3, v7, s2, 0
	v_fma_mixhi_f16 v1, v17, s2, 0
	;; [unrolled: 1-line block ×5, first 2 shown]
	ds_store_2addr_b32 v18, v0, v2 offset1:32
	ds_store_2addr_b32 v18, v4, v3 offset0:64 offset1:96
	ds_store_2addr_b32 v18, v1, v5 offset0:128 offset1:160
	;; [unrolled: 1-line block ×3, first 2 shown]
	s_waitcnt lgkmcnt(0)
	s_barrier
	buffer_gl0_inv
	s_cbranch_scc1 .LBB5_4
; %bb.3:
	s_load_b32 s2, s[0:1], 0xd0
	s_mov_b32 s5, 0
	s_waitcnt lgkmcnt(0)
	s_mul_i32 s2, s2, s70
	s_delay_alu instid0(SALU_CYCLE_1) | instskip(NEXT) | instid1(SALU_CYCLE_1)
	s_add_i32 s4, s2, s13
	s_lshl_b64 s[4:5], s[4:5], 2
	s_delay_alu instid0(SALU_CYCLE_1)
	s_add_u32 s4, s54, s4
	s_addc_u32 s5, s55, s5
	s_load_b32 s66, s[4:5], 0x0
.LBB5_4:
	v_mbcnt_lo_u32_b32 v48, -1, 0
	s_lshl_b32 s51, s14, 6
	s_waitcnt lgkmcnt(0)
	s_cmp_lt_i32 s51, s66
	s_cbranch_scc1 .LBB5_6
; %bb.5:
	v_mbcnt_lo_u32_b32 v10, -1, 0
	v_mov_b32_e32 v49, 32
	s_mov_b32 s2, 0
	s_mov_b32 s4, 0xfeffffff
	s_delay_alu instid0(VALU_DEP_2)
	v_xor_b32_e32 v54, 16, v10
	v_xor_b32_e32 v53, 8, v10
	;; [unrolled: 1-line block ×5, first 2 shown]
	s_branch .LBB5_7
.LBB5_6:
	s_mov_b32 s2, -1
                                        ; implicit-def: $sgpr4
                                        ; implicit-def: $vgpr10
                                        ; implicit-def: $vgpr49
                                        ; implicit-def: $vgpr54
                                        ; implicit-def: $vgpr53
                                        ; implicit-def: $vgpr52
                                        ; implicit-def: $vgpr51
                                        ; implicit-def: $vgpr50
.LBB5_7:
	s_delay_alu instid0(SALU_CYCLE_1) | instskip(SKIP_2) | instid1(VALU_DEP_3)
	v_cndmask_b32_e64 v0, 0, 1, s2
	v_dual_mov_b32 v7, s4 :: v_dual_mov_b32 v86, s2
	v_dual_mov_b32 v78, s2 :: v_dual_mov_b32 v5, s4
	v_cmp_ne_u32_e32 vcc_lo, 1, v0
	v_dual_mov_b32 v6, s4 :: v_dual_mov_b32 v3, s4
	v_dual_mov_b32 v4, s4 :: v_dual_mov_b32 v1, s4
	;; [unrolled: 1-line block ×10, first 2 shown]
	s_cbranch_vccnz .LBB5_11
; %bb.8:
	s_clause 0x1
	s_load_b128 s[4:7], s[0:1], 0x98
	s_load_b64 s[12:13], s[0:1], 0x8c
	s_sub_i32 s2, 0, s8
	s_abs_i32 s11, s64
	s_mul_i32 s2, s2, s10
	s_ashr_i32 s15, s64, 31
	s_mul_hi_u32 s2, s10, s2
	s_ashr_i32 s9, s9, 31
	s_add_i32 s10, s10, s2
	s_ashr_i32 s2, s3, 1
	s_mul_hi_u32 s3, s11, s10
	s_ashr_i32 s10, s70, 31
	s_load_b64 s[16:17], s[0:1], 0xa8
	s_mul_i32 s18, s3, s8
	v_lshrrev_b32_e32 v0, 3, v24
	v_dual_mov_b32 v43, 0 :: v_dual_and_b32 v18, 28, v47
	v_mad_u64_u32 v[26:27], null, v9, s2, v[24:25]
	s_delay_alu instid0(VALU_DEP_3)
	v_lshl_add_u32 v0, v8, 2, v0
	s_waitcnt lgkmcnt(0)
	s_ashr_i32 s60, s6, 2
	s_mul_i32 s5, s70, s5
	s_mul_hi_u32 s6, s70, s4
	s_ashr_i32 s61, s12, 2
	s_mul_i32 s12, s10, s4
	s_add_i32 s5, s6, s5
	s_mul_i32 s4, s70, s4
	s_add_i32 s5, s5, s12
	s_add_u32 s4, s46, s4
	s_addc_u32 s5, s47, s5
	s_xor_b32 s6, s15, s9
	s_sub_i32 s9, s11, s18
	s_add_i32 s11, s3, 1
	s_sub_i32 s12, s9, s8
	s_cmp_ge_u32 s9, s8
	s_mul_i32 s10, s10, s16
	s_cselect_b32 s3, s11, s3
	s_cselect_b32 s9, s12, s9
	s_add_i32 s11, s3, 1
	s_cmp_ge_u32 s9, s8
	s_mul_i32 s8, s70, s17
	s_cselect_b32 s3, s11, s3
	s_mul_hi_u32 s9, s70, s16
	s_xor_b32 s3, s3, s6
	v_mul_lo_u32 v1, s61, v0
	s_sub_i32 s3, s3, s6
	s_mul_i32 s11, s70, s16
	s_mul_i32 s6, s3, s13
	;; [unrolled: 1-line block ×3, first 2 shown]
	s_ashr_i32 s12, s6, 31
	s_add_u32 s65, s4, s6
	s_addc_u32 s67, s5, s12
	s_add_i32 s4, s9, s8
	v_mul_lo_u32 v10, s60, v0
	s_add_i32 s4, s4, s10
	s_add_u32 s5, s48, s11
	s_addc_u32 s4, s49, s4
	s_ashr_i32 s6, s3, 31
	s_add_u32 s71, s5, s3
	s_addc_u32 s72, s4, s6
	s_lshl_b32 s3, s61, 4
	s_delay_alu instid0(SALU_CYCLE_1)
	v_dual_mov_b32 v44, 0 :: v_dual_add_nc_u32 v3, s3, v1
	v_mov_b32_e32 v46, 0
	v_ashrrev_i32_e32 v2, 31, v1
	v_lshlrev_b32_e32 v11, 2, v18
	v_mov_b32_e32 v75, 0
	v_add_nc_u32_e32 v5, s3, v3
	v_ashrrev_i32_e32 v4, 31, v3
	v_lshlrev_b32_e32 v13, 10, v8
	v_lshlrev_b64 v[27:28], 2, v[1:2]
	s_delay_alu instid0(VALU_DEP_4) | instskip(SKIP_2) | instid1(SALU_CYCLE_1)
	v_dual_mov_b32 v2, 0xfeffffff :: v_dual_add_nc_u32 v7, s3, v5
	v_mov_b32_e32 v76, 0
	s_lshl_b32 s3, s60, 4
	v_dual_mov_b32 v1, 0xfeffffff :: v_dual_add_nc_u32 v12, s3, v10
	v_mad_u32_u24 v55, 0x90, v0, v11
	v_ashrrev_i32_e32 v6, 31, v5
	v_ashrrev_i32_e32 v8, 31, v7
	v_dual_mov_b32 v77, 0 :: v_dual_add_nc_u32 v60, 0x3400, v13
	v_add_nc_u32_e32 v14, s3, v12
	v_lshl_or_b32 v61, v0, 7, v11
	v_dual_mov_b32 v87, 0 :: v_dual_add_nc_u32 v62, 0x2400, v13
	v_ashrrev_i32_e32 v11, 31, v10
	s_delay_alu instid0(VALU_DEP_4)
	v_add_nc_u32_e32 v16, s3, v14
	v_ashrrev_i32_e32 v13, 31, v12
	v_ashrrev_i32_e32 v15, 31, v14
	v_lshlrev_b64 v[29:30], 2, v[3:4]
	v_mov_b32_e32 v3, 0xfeffffff
	v_ashrrev_i32_e32 v17, 31, v16
	v_dual_mov_b32 v4, 0xfeffffff :: v_dual_lshlrev_b32 v9, 4, v24
	v_lshlrev_b64 v[31:32], 2, v[5:6]
	v_lshlrev_b64 v[33:34], 2, v[7:8]
	;; [unrolled: 1-line block ×6, first 2 shown]
	v_dual_mov_b32 v49, 32 :: v_dual_add_nc_u32 v56, 0x900, v55
	v_dual_mov_b32 v78, 0 :: v_dual_add_nc_u32 v57, 0x1200, v55
	;; [unrolled: 1-line block ×3, first 2 shown]
	v_mul_u32_u24_e32 v59, 0x90, v24
	v_dual_mov_b32 v88, 0 :: v_dual_add_nc_u32 v63, 0x800, v61
	v_dual_mov_b32 v89, 0 :: v_dual_add_nc_u32 v64, 0x1000, v61
	;; [unrolled: 1-line block ×3, first 2 shown]
	v_mov_b32_e32 v0, 0xfeffffff
	v_dual_mov_b32 v5, 0xfeffffff :: v_dual_lshlrev_b32 v66, 2, v18
	v_xor_b32_e32 v54, 16, v48
	v_xor_b32_e32 v53, 8, v48
	;; [unrolled: 1-line block ×5, first 2 shown]
	v_dual_mov_b32 v6, 0xfeffffff :: v_dual_add_nc_u32 v67, v62, v9
	v_dual_mov_b32 v91, 0 :: v_dual_add_nc_u32 v68, 0x400, v47
	;; [unrolled: 1-line block ×5, first 2 shown]
	v_add_nc_u32_e32 v72, 0x1400, v47
	v_add_nc_u32_e32 v73, 0x1800, v47
	;; [unrolled: 1-line block ×3, first 2 shown]
	v_mov_b32_e32 v7, 0xfeffffff
	s_add_u32 s54, s0, 0xd0
	s_addc_u32 s55, s1, 0
.LBB5_9:                                ; =>This Inner Loop Header: Depth=1
	s_mul_hi_i32 s7, s51, s61
	s_mul_i32 s6, s51, s61
	v_cmp_gt_i32_e64 s5, 32, v50
	v_dual_mov_b32 v81, v91 :: v_dual_mov_b32 v82, v90
	v_dual_mov_b32 v91, v3 :: v_dual_mov_b32 v94, v0
	v_dual_mov_b32 v109, 0 :: v_dual_add_nc_u32 v0, s51, v26
	v_cmp_gt_i32_e64 s4, 32, v51
	v_cmp_gt_i32_e32 vcc_lo, 32, v54
	v_cmp_gt_i32_e64 s2, 32, v53
	v_cmp_gt_i32_e64 s3, 32, v52
	s_lshl_b64 s[6:7], s[6:7], 2
	s_mul_hi_i32 s9, s51, s60
	s_mul_i32 s8, s51, s60
	s_add_u32 s10, s65, s6
	v_dual_mov_b32 v83, v89 :: v_dual_mov_b32 v84, v88
	v_dual_mov_b32 v85, v87 :: v_dual_mov_b32 v88, v6
	v_cndmask_b32_e64 v6, v48, v50, s5
	s_addc_u32 s5, s67, s7
	s_lshl_b64 s[6:7], s[8:9], 2
	v_dual_mov_b32 v79, v93 :: v_dual_mov_b32 v80, v92
	v_dual_mov_b32 v89, v5 :: v_dual_mov_b32 v92, v2
	;; [unrolled: 1-line block ×3, first 2 shown]
	v_cndmask_b32_e64 v5, v48, v51, s4
	v_ashrrev_i32_e32 v1, 31, v0
	v_add_co_u32 v12, s4, s10, v27
	v_dual_mov_b32 v87, v7 :: v_dual_mov_b32 v90, v4
	v_dual_mov_b32 v111, v86 :: v_dual_cndmask_b32 v2, v48, v54
	v_cndmask_b32_e64 v3, v48, v53, s2
	v_cndmask_b32_e64 v4, v48, v52, s3
	v_add_co_u32 v7, vcc_lo, s10, v29
	v_add_co_u32 v10, s2, s10, v31
	v_add_co_u32 v11, s3, s10, v33
	s_add_u32 s6, s71, s6
	v_add_co_ci_u32_e64 v13, s4, s5, v28, s4
	v_add_co_ci_u32_e32 v15, vcc_lo, s5, v30, vcc_lo
	v_add_co_ci_u32_e64 v16, vcc_lo, s5, v32, s2
	v_add_co_ci_u32_e64 v17, vcc_lo, s5, v34, s3
	s_addc_u32 s5, s72, s7
	v_add_co_u32 v117, s4, s6, v35
	v_add_co_u32 v20, vcc_lo, s6, v37
	v_add_co_u32 v21, s2, s6, v39
	v_add_co_u32 v116, s3, s6, v41
	v_lshlrev_b64 v[8:9], 1, v[0:1]
	v_add_co_ci_u32_e64 v1, s4, s5, v36, s4
	v_lshlrev_b32_e32 v114, 2, v3
	v_lshlrev_b32_e32 v112, 2, v5
	v_add_co_ci_u32_e32 v3, vcc_lo, s5, v38, vcc_lo
	v_add_co_ci_u32_e64 v5, vcc_lo, s5, v40, s2
	v_add_co_ci_u32_e64 v118, vcc_lo, s5, v42, s3
	v_add_co_u32 v18, s2, v10, v66
	v_add_co_u32 v10, s4, v12, v66
	v_add_co_u32 v14, vcc_lo, v7, v66
	v_add_co_u32 v22, s3, v11, v66
	v_add_co_ci_u32_e64 v11, s4, 0, v13, s4
	v_add_co_ci_u32_e32 v15, vcc_lo, 0, v15, vcc_lo
	v_add_co_ci_u32_e64 v19, vcc_lo, 0, v16, s2
	v_add_co_ci_u32_e64 v23, vcc_lo, 0, v17, s3
	v_lshlrev_b32_e32 v115, 2, v2
	v_lshlrev_b32_e32 v86, 2, v6
	v_add_co_u32 v2, vcc_lo, v20, v66
	v_add_co_u32 v0, s3, v116, v66
	v_add_co_u32 v6, s4, v117, v66
	v_lshlrev_b32_e32 v113, 2, v4
	v_add_co_u32 v4, s2, v21, v66
	v_add_co_ci_u32_e64 v7, s4, 0, v1, s4
	v_add_co_ci_u32_e32 v3, vcc_lo, 0, v3, vcc_lo
	v_add_co_ci_u32_e64 v1, vcc_lo, 0, v118, s3
	s_clause 0x3
	global_load_b128 v[10:13], v[10:11], off
	global_load_b128 v[14:17], v[14:15], off
	;; [unrolled: 1-line block ×4, first 2 shown]
	v_dual_mov_b32 v95, 0 :: v_dual_mov_b32 v98, 0
	v_dual_mov_b32 v97, 0 :: v_dual_mov_b32 v100, 0
	;; [unrolled: 1-line block ×7, first 2 shown]
	v_add_co_ci_u32_e64 v5, vcc_lo, 0, v5, s2
	v_add_co_u32 v8, vcc_lo, s68, v8
	v_add_co_ci_u32_e32 v9, vcc_lo, s69, v9, vcc_lo
	s_waitcnt vmcnt(3)
	ds_store_b128 v55, v[10:13]
	s_waitcnt vmcnt(2)
	ds_store_b128 v56, v[14:17]
	;; [unrolled: 2-line block ×4, first 2 shown]
	s_waitcnt lgkmcnt(0)
	s_barrier
	buffer_gl0_inv
	ds_load_b128 v[10:13], v59
	ds_load_b128 v[14:17], v60
	ds_load_b128 v[18:21], v60 offset:128
	ds_load_b128 v[116:119], v60 offset:256
	;; [unrolled: 1-line block ×8, first 2 shown]
	s_waitcnt lgkmcnt(8)
	;;#ASMSTART
	v_dot2_f32_f16 v95, v10, v14, v95
	;;#ASMEND
	;;#ASMSTART
	v_dot2_f32_f16 v95, v11, v15, v95
	;;#ASMEND
	;;#ASMSTART
	v_dot2_f32_f16 v95, v12, v16, v95
	;;#ASMEND
	;;#ASMSTART
	v_dot2_f32_f16 v95, v13, v17, v95
	;;#ASMEND
	s_waitcnt lgkmcnt(7)
	;;#ASMSTART
	v_dot2_f32_f16 v96, v10, v18, v96
	;;#ASMEND
	;;#ASMSTART
	v_dot2_f32_f16 v96, v11, v19, v96
	;;#ASMEND
	;;#ASMSTART
	v_dot2_f32_f16 v96, v12, v20, v96
	;;#ASMEND
	;;#ASMSTART
	v_dot2_f32_f16 v96, v13, v21, v96
	;;#ASMEND
	;; [unrolled: 13-line block ×8, first 2 shown]
	;;#ASMSTART
	v_dot2_f32_f16 v103, v124, v14, v103
	;;#ASMEND
	;;#ASMSTART
	v_dot2_f32_f16 v103, v125, v15, v103
	;;#ASMEND
	;; [unrolled: 3-line block ×32, first 2 shown]
	ds_load_b128 v[10:13], v59 offset:16
	ds_load_b128 v[14:17], v60 offset:16
	;; [unrolled: 1-line block ×10, first 2 shown]
	s_waitcnt lgkmcnt(8)
	;;#ASMSTART
	v_dot2_f32_f16 v95, v10, v14, v95
	;;#ASMEND
	;;#ASMSTART
	v_dot2_f32_f16 v95, v11, v15, v95
	;;#ASMEND
	;;#ASMSTART
	v_dot2_f32_f16 v95, v12, v16, v95
	;;#ASMEND
	;;#ASMSTART
	v_dot2_f32_f16 v95, v13, v17, v95
	;;#ASMEND
	s_waitcnt lgkmcnt(7)
	;;#ASMSTART
	v_dot2_f32_f16 v96, v10, v18, v96
	;;#ASMEND
	;;#ASMSTART
	v_dot2_f32_f16 v96, v11, v19, v96
	;;#ASMEND
	;;#ASMSTART
	v_dot2_f32_f16 v96, v12, v20, v96
	;;#ASMEND
	;;#ASMSTART
	v_dot2_f32_f16 v96, v13, v21, v96
	;;#ASMEND
	;; [unrolled: 13-line block ×8, first 2 shown]
	;;#ASMSTART
	v_dot2_f32_f16 v103, v124, v14, v103
	;;#ASMEND
	;;#ASMSTART
	v_dot2_f32_f16 v103, v125, v15, v103
	;;#ASMEND
	;; [unrolled: 3-line block ×32, first 2 shown]
	ds_load_b128 v[10:13], v59 offset:32
	ds_load_b128 v[14:17], v60 offset:32
	;; [unrolled: 1-line block ×10, first 2 shown]
	s_waitcnt lgkmcnt(8)
	;;#ASMSTART
	v_dot2_f32_f16 v95, v10, v14, v95
	;;#ASMEND
	;;#ASMSTART
	v_dot2_f32_f16 v95, v11, v15, v95
	;;#ASMEND
	;;#ASMSTART
	v_dot2_f32_f16 v95, v12, v16, v95
	;;#ASMEND
	;;#ASMSTART
	v_dot2_f32_f16 v95, v13, v17, v95
	;;#ASMEND
	s_waitcnt lgkmcnt(7)
	;;#ASMSTART
	v_dot2_f32_f16 v96, v10, v18, v96
	;;#ASMEND
	;;#ASMSTART
	v_dot2_f32_f16 v96, v11, v19, v96
	;;#ASMEND
	;;#ASMSTART
	v_dot2_f32_f16 v96, v12, v20, v96
	;;#ASMEND
	;;#ASMSTART
	v_dot2_f32_f16 v96, v13, v21, v96
	;;#ASMEND
	;; [unrolled: 13-line block ×8, first 2 shown]
	;;#ASMSTART
	v_dot2_f32_f16 v103, v124, v14, v103
	;;#ASMEND
	;;#ASMSTART
	v_dot2_f32_f16 v103, v125, v15, v103
	;;#ASMEND
	;; [unrolled: 3-line block ×32, first 2 shown]
	ds_load_b128 v[10:13], v59 offset:48
	ds_load_b128 v[14:17], v60 offset:48
	;; [unrolled: 1-line block ×10, first 2 shown]
	s_waitcnt lgkmcnt(8)
	;;#ASMSTART
	v_dot2_f32_f16 v95, v10, v14, v95
	;;#ASMEND
	;;#ASMSTART
	v_dot2_f32_f16 v95, v11, v15, v95
	;;#ASMEND
	;;#ASMSTART
	v_dot2_f32_f16 v95, v12, v16, v95
	;;#ASMEND
	;;#ASMSTART
	v_dot2_f32_f16 v95, v13, v17, v95
	;;#ASMEND
	s_waitcnt lgkmcnt(7)
	;;#ASMSTART
	v_dot2_f32_f16 v96, v10, v18, v96
	;;#ASMEND
	;;#ASMSTART
	v_dot2_f32_f16 v96, v11, v19, v96
	;;#ASMEND
	;;#ASMSTART
	v_dot2_f32_f16 v96, v12, v20, v96
	;;#ASMEND
	;;#ASMSTART
	v_dot2_f32_f16 v96, v13, v21, v96
	;;#ASMEND
	;; [unrolled: 13-line block ×8, first 2 shown]
	;;#ASMSTART
	v_dot2_f32_f16 v103, v124, v14, v103
	;;#ASMEND
	;;#ASMSTART
	v_dot2_f32_f16 v103, v125, v15, v103
	;;#ASMEND
	;; [unrolled: 3-line block ×32, first 2 shown]
	ds_load_b128 v[10:13], v59 offset:64
	ds_load_b128 v[14:17], v60 offset:64
	;; [unrolled: 1-line block ×10, first 2 shown]
	s_waitcnt lgkmcnt(8)
	;;#ASMSTART
	v_dot2_f32_f16 v95, v10, v14, v95
	;;#ASMEND
	;;#ASMSTART
	v_dot2_f32_f16 v95, v11, v15, v95
	;;#ASMEND
	;;#ASMSTART
	v_dot2_f32_f16 v95, v12, v16, v95
	;;#ASMEND
	;;#ASMSTART
	v_dot2_f32_f16 v95, v13, v17, v95
	;;#ASMEND
	s_waitcnt lgkmcnt(7)
	;;#ASMSTART
	v_dot2_f32_f16 v96, v10, v18, v96
	;;#ASMEND
	;;#ASMSTART
	v_dot2_f32_f16 v96, v11, v19, v96
	;;#ASMEND
	;;#ASMSTART
	v_dot2_f32_f16 v96, v12, v20, v96
	;;#ASMEND
	;;#ASMSTART
	v_dot2_f32_f16 v96, v13, v21, v96
	;;#ASMEND
	;; [unrolled: 13-line block ×8, first 2 shown]
	;;#ASMSTART
	v_dot2_f32_f16 v103, v124, v14, v103
	;;#ASMEND
	;;#ASMSTART
	v_dot2_f32_f16 v103, v125, v15, v103
	;;#ASMEND
	;;#ASMSTART
	v_dot2_f32_f16 v103, v126, v16, v103
	;;#ASMEND
	;;#ASMSTART
	v_dot2_f32_f16 v103, v127, v17, v103
	;;#ASMEND
	;;#ASMSTART
	v_dot2_f32_f16 v104, v124, v18, v104
	;;#ASMEND
	;;#ASMSTART
	v_dot2_f32_f16 v104, v125, v19, v104
	;;#ASMEND
	;;#ASMSTART
	v_dot2_f32_f16 v104, v126, v20, v104
	;;#ASMEND
	;;#ASMSTART
	v_dot2_f32_f16 v104, v127, v21, v104
	;;#ASMEND
	;;#ASMSTART
	v_dot2_f32_f16 v105, v124, v116, v105
	;;#ASMEND
	;;#ASMSTART
	v_dot2_f32_f16 v105, v125, v117, v105
	;;#ASMEND
	;;#ASMSTART
	v_dot2_f32_f16 v105, v126, v118, v105
	;;#ASMEND
	;;#ASMSTART
	v_dot2_f32_f16 v105, v127, v119, v105
	;;#ASMEND
	;;#ASMSTART
	v_dot2_f32_f16 v106, v124, v120, v106
	;;#ASMEND
	;;#ASMSTART
	v_dot2_f32_f16 v106, v125, v121, v106
	;;#ASMEND
	;;#ASMSTART
	v_dot2_f32_f16 v106, v126, v122, v106
	;;#ASMEND
	;;#ASMSTART
	v_dot2_f32_f16 v106, v127, v123, v106
	;;#ASMEND
	;;#ASMSTART
	v_dot2_f32_f16 v107, v124, v128, v107
	;;#ASMEND
	;;#ASMSTART
	v_dot2_f32_f16 v107, v125, v129, v107
	;;#ASMEND
	;;#ASMSTART
	v_dot2_f32_f16 v107, v126, v130, v107
	;;#ASMEND
	;;#ASMSTART
	v_dot2_f32_f16 v107, v127, v131, v107
	;;#ASMEND
	;;#ASMSTART
	v_dot2_f32_f16 v108, v124, v132, v108
	;;#ASMEND
	;;#ASMSTART
	v_dot2_f32_f16 v108, v125, v133, v108
	;;#ASMEND
	;;#ASMSTART
	v_dot2_f32_f16 v108, v126, v134, v108
	;;#ASMEND
	;;#ASMSTART
	v_dot2_f32_f16 v108, v127, v135, v108
	;;#ASMEND
	;;#ASMSTART
	v_dot2_f32_f16 v109, v124, v136, v109
	;;#ASMEND
	;;#ASMSTART
	v_dot2_f32_f16 v109, v125, v137, v109
	;;#ASMEND
	;;#ASMSTART
	v_dot2_f32_f16 v109, v126, v138, v109
	;;#ASMEND
	;;#ASMSTART
	v_dot2_f32_f16 v109, v127, v139, v109
	;;#ASMEND
	;;#ASMSTART
	v_dot2_f32_f16 v110, v124, v140, v110
	;;#ASMEND
	;;#ASMSTART
	v_dot2_f32_f16 v110, v125, v141, v110
	;;#ASMEND
	;;#ASMSTART
	v_dot2_f32_f16 v110, v126, v142, v110
	;;#ASMEND
	;;#ASMSTART
	v_dot2_f32_f16 v110, v127, v143, v110
	;;#ASMEND
	ds_load_b128 v[10:13], v59 offset:80
	ds_load_b128 v[14:17], v60 offset:80
	;; [unrolled: 1-line block ×10, first 2 shown]
	s_waitcnt lgkmcnt(8)
	;;#ASMSTART
	v_dot2_f32_f16 v95, v10, v14, v95
	;;#ASMEND
	;;#ASMSTART
	v_dot2_f32_f16 v95, v11, v15, v95
	;;#ASMEND
	;;#ASMSTART
	v_dot2_f32_f16 v95, v12, v16, v95
	;;#ASMEND
	;;#ASMSTART
	v_dot2_f32_f16 v95, v13, v17, v95
	;;#ASMEND
	s_waitcnt lgkmcnt(7)
	;;#ASMSTART
	v_dot2_f32_f16 v96, v10, v18, v96
	;;#ASMEND
	;;#ASMSTART
	v_dot2_f32_f16 v96, v11, v19, v96
	;;#ASMEND
	;;#ASMSTART
	v_dot2_f32_f16 v96, v12, v20, v96
	;;#ASMEND
	;;#ASMSTART
	v_dot2_f32_f16 v96, v13, v21, v96
	;;#ASMEND
	;; [unrolled: 13-line block ×8, first 2 shown]
	;;#ASMSTART
	v_dot2_f32_f16 v103, v124, v14, v103
	;;#ASMEND
	;;#ASMSTART
	v_dot2_f32_f16 v103, v125, v15, v103
	;;#ASMEND
	;; [unrolled: 3-line block ×32, first 2 shown]
	ds_load_b128 v[10:13], v59 offset:96
	ds_load_b128 v[14:17], v60 offset:96
	;; [unrolled: 1-line block ×10, first 2 shown]
	s_waitcnt lgkmcnt(8)
	;;#ASMSTART
	v_dot2_f32_f16 v95, v10, v14, v95
	;;#ASMEND
	;;#ASMSTART
	v_dot2_f32_f16 v95, v11, v15, v95
	;;#ASMEND
	;;#ASMSTART
	v_dot2_f32_f16 v95, v12, v16, v95
	;;#ASMEND
	;;#ASMSTART
	v_dot2_f32_f16 v95, v13, v17, v95
	;;#ASMEND
	s_waitcnt lgkmcnt(7)
	;;#ASMSTART
	v_dot2_f32_f16 v96, v10, v18, v96
	;;#ASMEND
	;;#ASMSTART
	v_dot2_f32_f16 v96, v11, v19, v96
	;;#ASMEND
	;;#ASMSTART
	v_dot2_f32_f16 v96, v12, v20, v96
	;;#ASMEND
	;;#ASMSTART
	v_dot2_f32_f16 v96, v13, v21, v96
	;;#ASMEND
	;; [unrolled: 13-line block ×8, first 2 shown]
	;;#ASMSTART
	v_dot2_f32_f16 v103, v124, v14, v103
	;;#ASMEND
	;;#ASMSTART
	v_dot2_f32_f16 v103, v125, v15, v103
	;;#ASMEND
	;; [unrolled: 3-line block ×32, first 2 shown]
	ds_load_b128 v[10:13], v59 offset:112
	ds_load_b128 v[14:17], v60 offset:112
	;; [unrolled: 1-line block ×10, first 2 shown]
	s_waitcnt lgkmcnt(8)
	;;#ASMSTART
	v_dot2_f32_f16 v95, v10, v14, v95
	;;#ASMEND
	;;#ASMSTART
	v_dot2_f32_f16 v95, v11, v15, v95
	;;#ASMEND
	;;#ASMSTART
	v_dot2_f32_f16 v95, v12, v16, v95
	;;#ASMEND
	;;#ASMSTART
	v_dot2_f32_f16 v95, v13, v17, v95
	;;#ASMEND
	s_waitcnt lgkmcnt(7)
	;;#ASMSTART
	v_dot2_f32_f16 v96, v10, v18, v96
	;;#ASMEND
	;;#ASMSTART
	v_dot2_f32_f16 v96, v11, v19, v96
	;;#ASMEND
	;;#ASMSTART
	v_dot2_f32_f16 v96, v12, v20, v96
	;;#ASMEND
	;;#ASMSTART
	v_dot2_f32_f16 v96, v13, v21, v96
	;;#ASMEND
	;; [unrolled: 13-line block ×8, first 2 shown]
	;;#ASMSTART
	v_dot2_f32_f16 v103, v124, v14, v103
	;;#ASMEND
	;;#ASMSTART
	v_dot2_f32_f16 v103, v125, v15, v103
	;;#ASMEND
	;; [unrolled: 3-line block ×32, first 2 shown]
	s_clause 0x1
	flat_load_u16 v116, v[8:9]
	flat_load_u16 v117, v[8:9] offset:64
	s_waitcnt vmcnt(0) lgkmcnt(0)
	s_barrier
	buffer_gl0_inv
	s_clause 0x3
	global_load_b128 v[8:11], v[6:7], off
	global_load_b128 v[12:15], v[2:3], off
	;; [unrolled: 1-line block ×4, first 2 shown]
	v_cvt_f32_f16_e32 v0, v116
	v_cvt_f32_f16_e32 v1, v117
	s_delay_alu instid0(VALU_DEP_2) | instskip(NEXT) | instid1(VALU_DEP_2)
	v_add_f32_e32 v96, v96, v0
	v_dual_add_f32 v95, v95, v0 :: v_dual_add_f32 v104, v104, v1
	v_dual_add_f32 v98, v98, v0 :: v_dual_add_f32 v105, v105, v1
	v_add_f32_e32 v97, v97, v0
	v_add_f32_e32 v103, v103, v1
	v_dual_add_f32 v106, v106, v1 :: v_dual_add_f32 v99, v99, v0
	v_dual_add_f32 v100, v100, v0 :: v_dual_add_f32 v107, v107, v1
	;; [unrolled: 1-line block ×9, first 2 shown]
	s_delay_alu instid0(VALU_DEP_4) | instskip(NEXT) | instid1(VALU_DEP_3)
	v_max3_f32 v1, v93, v1, v3
	v_max3_f32 v3, v92, v4, v6
	v_dual_add_f32 v2, 0x40051340, v103 :: v_dual_add_f32 v5, 0x40051340, v98
	s_delay_alu instid0(VALU_DEP_4)
	v_max3_f32 v4, v89, v117, v119
	v_dual_add_f32 v118, 0x40051340, v107 :: v_dual_add_f32 v121, 0x40051340, v102
	ds_bpermute_b32 v119, v115, v3
	v_dual_add_f32 v120, 0x40051340, v101 :: v_dual_add_f32 v123, 0x40051340, v110
	v_add_f32_e32 v122, 0x40051340, v109
	v_max3_f32 v0, v94, v0, v2
	v_max3_f32 v2, v91, v5, v7
	;; [unrolled: 1-line block ×4, first 2 shown]
	ds_bpermute_b32 v116, v115, v1
	ds_bpermute_b32 v117, v115, v0
	;; [unrolled: 1-line block ×4, first 2 shown]
	s_waitcnt lgkmcnt(4)
	v_max_f32_e32 v119, v119, v119
	v_max3_f32 v7, v88, v120, v122
	ds_bpermute_b32 v120, v115, v4
	ds_bpermute_b32 v122, v115, v6
	v_max_f32_e32 v3, v3, v119
	ds_bpermute_b32 v115, v115, v7
	s_waitcnt lgkmcnt(5)
	v_dual_max_f32 v116, v116, v116 :: v_dual_max_f32 v117, v117, v117
	s_waitcnt lgkmcnt(3)
	v_dual_max_f32 v118, v118, v118 :: v_dual_max_f32 v121, v121, v121
	s_delay_alu instid0(VALU_DEP_2) | instskip(NEXT) | instid1(VALU_DEP_2)
	v_dual_max_f32 v1, v1, v116 :: v_dual_max_f32 v0, v0, v117
	v_dual_max_f32 v2, v2, v118 :: v_dual_max_f32 v5, v5, v121
	ds_bpermute_b32 v118, v114, v3
	ds_bpermute_b32 v116, v114, v0
	;; [unrolled: 1-line block ×3, first 2 shown]
	s_waitcnt lgkmcnt(5)
	v_max_f32_e32 v120, v120, v120
	s_waitcnt lgkmcnt(3)
	v_dual_max_f32 v122, v122, v122 :: v_dual_max_f32 v115, v115, v115
	s_delay_alu instid0(VALU_DEP_2)
	v_max_f32_e32 v4, v4, v120
	ds_bpermute_b32 v120, v114, v5
	v_max_f32_e32 v7, v7, v115
	ds_bpermute_b32 v115, v114, v1
	v_max_f32_e32 v6, v6, v122
	ds_bpermute_b32 v119, v114, v4
	s_waitcnt lgkmcnt(5)
	v_max_f32_e32 v118, v118, v118
	s_waitcnt lgkmcnt(3)
	v_dual_max_f32 v116, v116, v116 :: v_dual_max_f32 v117, v117, v117
	s_waitcnt lgkmcnt(1)
	v_max_f32_e32 v115, v115, v115
	ds_bpermute_b32 v121, v114, v6
	ds_bpermute_b32 v114, v114, v7
	s_waitcnt lgkmcnt(2)
	v_dual_max_f32 v119, v119, v119 :: v_dual_max_f32 v0, v0, v116
	v_max_f32_e32 v3, v3, v118
	v_dual_max_f32 v1, v1, v115 :: v_dual_max_f32 v120, v120, v120
	ds_bpermute_b32 v115, v113, v0
	s_waitcnt lgkmcnt(1)
	v_dual_max_f32 v121, v121, v121 :: v_dual_max_f32 v114, v114, v114
	v_dual_max_f32 v2, v2, v117 :: v_dual_max_f32 v5, v5, v120
	v_max_f32_e32 v4, v4, v119
	s_delay_alu instid0(VALU_DEP_3)
	v_dual_max_f32 v6, v6, v121 :: v_dual_max_f32 v7, v7, v114
	ds_bpermute_b32 v114, v113, v1
	s_waitcnt lgkmcnt(1)
	v_max_f32_e32 v115, v115, v115
	ds_bpermute_b32 v116, v113, v2
	ds_bpermute_b32 v117, v113, v3
	;; [unrolled: 1-line block ×6, first 2 shown]
	s_waitcnt lgkmcnt(6)
	v_max_f32_e32 v114, v114, v114
	s_waitcnt lgkmcnt(4)
	v_dual_max_f32 v116, v116, v116 :: v_dual_max_f32 v117, v117, v117
	s_waitcnt lgkmcnt(3)
	v_max_f32_e32 v118, v118, v118
	s_waitcnt lgkmcnt(1)
	v_dual_max_f32 v1, v1, v114 :: v_dual_max_f32 v120, v120, v120
	s_waitcnt lgkmcnt(0)
	v_max_f32_e32 v113, v113, v113
	v_dual_max_f32 v119, v119, v119 :: v_dual_max_f32 v4, v4, v118
	v_dual_max_f32 v0, v0, v115 :: v_dual_max_f32 v3, v3, v117
	s_delay_alu instid0(VALU_DEP_3)
	v_max_f32_e32 v7, v7, v113
	ds_bpermute_b32 v113, v112, v1
	v_dual_max_f32 v2, v2, v116 :: v_dual_max_f32 v5, v5, v119
	v_max_f32_e32 v6, v6, v120
	ds_bpermute_b32 v114, v112, v0
	ds_bpermute_b32 v116, v112, v3
	;; [unrolled: 1-line block ×5, first 2 shown]
	s_waitcnt lgkmcnt(5)
	v_max_f32_e32 v113, v113, v113
	ds_bpermute_b32 v119, v112, v6
	ds_bpermute_b32 v112, v112, v7
	s_waitcnt lgkmcnt(6)
	v_max_f32_e32 v114, v114, v114
	s_waitcnt lgkmcnt(4)
	v_dual_max_f32 v116, v116, v116 :: v_dual_max_f32 v115, v115, v115
	s_waitcnt lgkmcnt(2)
	v_dual_max_f32 v117, v117, v117 :: v_dual_max_f32 v118, v118, v118
	v_dual_max_f32 v1, v1, v113 :: v_dual_max_f32 v0, v0, v114
	s_delay_alu instid0(VALU_DEP_3)
	v_max_f32_e32 v113, v3, v116
	ds_bpermute_b32 v3, v86, v1
	s_waitcnt lgkmcnt(2)
	v_dual_max_f32 v4, v4, v117 :: v_dual_max_f32 v119, v119, v119
	s_waitcnt lgkmcnt(1)
	v_max_f32_e32 v112, v112, v112
	v_max_f32_e32 v114, v5, v118
	ds_bpermute_b32 v5, v86, v0
	v_max_f32_e32 v2, v2, v115
	ds_bpermute_b32 v115, v86, v113
	s_waitcnt lgkmcnt(2)
	v_max_f32_e32 v3, v3, v3
	v_max_f32_e32 v112, v7, v112
	ds_bpermute_b32 v116, v86, v4
	v_max_f32_e32 v1, v1, v3
	s_waitcnt lgkmcnt(2)
	v_max_f32_e32 v5, v5, v5
	ds_bpermute_b32 v7, v86, v2
	s_waitcnt lgkmcnt(2)
	v_max_f32_e32 v115, v115, v115
	v_sub_f32_e32 v93, v93, v1
	s_delay_alu instid0(VALU_DEP_1)
	v_cmp_ngt_f32_e64 s5, 0xc2ce8ed0, v93
	v_cmp_nlt_f32_e64 s29, 0x42b17218, v93
	s_waitcnt lgkmcnt(0)
	v_dual_max_f32 v116, v116, v116 :: v_dual_max_f32 v7, v7, v7
	ds_bpermute_b32 v117, v86, v114
	v_max_f32_e32 v6, v6, v119
	v_max_f32_e32 v0, v0, v5
	;; [unrolled: 1-line block ×3, first 2 shown]
	v_dual_max_f32 v3, v2, v7 :: v_dual_sub_f32 v96, v96, v1
	s_delay_alu instid0(VALU_DEP_3) | instskip(NEXT) | instid1(VALU_DEP_3)
	v_sub_f32_e32 v95, v95, v0
	v_sub_f32_e32 v89, v89, v5
	s_delay_alu instid0(VALU_DEP_3)
	v_sub_f32_e32 v91, v91, v3
	v_sub_f32_e32 v98, v98, v3
	v_cmp_ngt_f32_e32 vcc_lo, 0xc2ce8ed0, v96
	v_cmp_ngt_f32_e64 s2, 0xc2ce8ed0, v95
	v_cmp_nlt_f32_e64 s26, 0x42b17218, v95
	v_cmp_ngt_f32_e64 s18, 0xc2ce8ed0, v89
	v_cmp_nlt_f32_e64 s42, 0x42b17218, v89
	;; [unrolled: 2-line block ×4, first 2 shown]
	s_waitcnt lgkmcnt(0)
	v_max_f32_e32 v117, v117, v117
	ds_bpermute_b32 v118, v86, v6
	ds_bpermute_b32 v86, v86, v112
	v_cmp_nlt_f32_e64 s36, 0x42b17218, v91
	s_waitcnt lgkmcnt(1)
	v_max_f32_e32 v118, v118, v118
	s_waitcnt lgkmcnt(0)
	v_max_f32_e32 v86, v86, v86
	v_max_f32_e32 v2, v113, v115
	v_mul_f32_e32 v113, 0x3fb8aa3b, v95
	v_max_f32_e32 v7, v6, v118
	s_delay_alu instid0(VALU_DEP_3) | instskip(SKIP_3) | instid1(VALU_DEP_4)
	v_dual_max_f32 v4, v114, v117 :: v_dual_sub_f32 v97, v97, v2
	v_max_f32_e32 v6, v112, v86
	v_sub_f32_e32 v86, v94, v0
	v_dual_sub_f32 v94, v103, v0 :: v_dual_sub_f32 v103, v104, v1
	v_dual_sub_f32 v92, v92, v2 :: v_dual_sub_f32 v99, v99, v4
	;; [unrolled: 1-line block ×3, first 2 shown]
	v_sub_f32_e32 v106, v107, v4
	v_dual_sub_f32 v100, v100, v5 :: v_dual_sub_f32 v87, v87, v7
	v_sub_f32_e32 v107, v108, v5
	v_sub_f32_e32 v88, v88, v6
	v_dual_sub_f32 v108, v109, v6 :: v_dual_mul_f32 v115, 0x3fb8aa3b, v103
	v_dual_sub_f32 v109, v110, v7 :: v_dual_mul_f32 v110, 0x3fb8aa3b, v94
	v_dual_mul_f32 v119, 0x3fb8aa3b, v97 :: v_dual_mul_f32 v114, 0x3fb8aa3b, v86
	v_mul_f32_e32 v125, 0x3fb8aa3b, v99
	v_dual_sub_f32 v102, v102, v7 :: v_dual_mul_f32 v117, 0x3fb8aa3b, v104
	v_dual_mul_f32 v116, 0x3fb8aa3b, v93 :: v_dual_mul_f32 v123, 0x3fb8aa3b, v106
	v_dual_mul_f32 v118, 0x3fb8aa3b, v98 :: v_dual_mul_f32 v127, 0x3fb8aa3b, v107
	;; [unrolled: 1-line block ×3, first 2 shown]
	v_fma_f32 v135, 0x3fb8aa3b, v94, -v110
	v_rndne_f32_e32 v136, v110
	v_fma_f32 v139, 0x3fb8aa3b, v95, -v113
	v_fma_f32 v141, 0x3fb8aa3b, v86, -v114
	v_rndne_f32_e32 v142, v114
	v_cmp_ngt_f32_e64 s3, 0xc2ce8ed0, v86
	v_cmp_ngt_f32_e64 s48, 0xc2ce8ed0, v94
	v_cmp_nlt_f32_e64 s27, 0x42b17218, v86
	v_cmp_nlt_f32_e64 s50, 0x42b17218, v94
	v_fma_f32 v147, 0x3fb8aa3b, v104, -v117
	v_rndne_f32_e32 v148, v117
	v_fma_f32 v149, 0x3fb8aa3b, v98, -v118
	v_fma_f32 v159, 0x3fb8aa3b, v106, -v123
	v_rndne_f32_e32 v160, v123
	v_fma_f32 v161, 0x3fb8aa3b, v100, -v124
	v_rndne_f32_e32 v162, v124
	v_fma_f32 v167, 0x3fb8aa3b, v107, -v127
	v_rndne_f32_e32 v168, v127
	v_dual_fmac_f32 v135, 0x32a5705f, v94 :: v_dual_sub_f32 v94, v110, v136
	v_fmac_f32_e32 v139, 0x32a5705f, v95
	v_fmac_f32_e32 v141, 0x32a5705f, v86
	v_sub_f32_e32 v86, v114, v142
	v_cmp_ngt_f32_e64 s6, 0xc2ce8ed0, v104
	v_cmp_ngt_f32_e64 s12, 0xc2ce8ed0, v106
	;; [unrolled: 1-line block ×4, first 2 shown]
	v_cmp_nlt_f32_e64 s30, 0x42b17218, v104
	v_cmp_nlt_f32_e64 s37, 0x42b17218, v106
	;; [unrolled: 1-line block ×4, first 2 shown]
	v_fmac_f32_e32 v147, 0x32a5705f, v104
	v_dual_sub_f32 v104, v117, v148 :: v_dual_fmac_f32 v149, 0x32a5705f, v98
	v_dual_fmac_f32 v159, 0x32a5705f, v106 :: v_dual_add_f32 v94, v94, v135
	v_sub_f32_e32 v106, v123, v160
	v_dual_fmac_f32 v161, 0x32a5705f, v100 :: v_dual_add_f32 v86, v86, v141
	v_dual_sub_f32 v100, v124, v162 :: v_dual_fmac_f32 v167, 0x32a5705f, v107
	s_delay_alu instid0(VALU_DEP_3) | instskip(SKIP_1) | instid1(VALU_DEP_2)
	v_dual_sub_f32 v107, v127, v168 :: v_dual_add_f32 v106, v106, v159
	v_dual_sub_f32 v90, v90, v4 :: v_dual_sub_f32 v101, v101, v6
	v_dual_add_f32 v100, v100, v161 :: v_dual_add_f32 v107, v107, v167
	v_cvt_i32_f32_e32 v124, v162
	v_cvt_i32_f32_e32 v127, v168
	s_delay_alu instid0(VALU_DEP_4) | instskip(NEXT) | instid1(VALU_DEP_4)
	v_dual_mul_f32 v120, 0x3fb8aa3b, v92 :: v_dual_mul_f32 v131, 0x3fb8aa3b, v101
	v_exp_f32_e32 v100, v100
	v_exp_f32_e32 v107, v107
	v_dual_mul_f32 v122, 0x3fb8aa3b, v91 :: v_dual_mul_f32 v129, 0x3fb8aa3b, v108
	v_rndne_f32_e32 v140, v113
	v_mul_f32_e32 v126, 0x3fb8aa3b, v90
	v_fma_f32 v145, 0x3fb8aa3b, v93, -v116
	v_rndne_f32_e32 v146, v116
	v_mul_f32_e32 v132, 0x3fb8aa3b, v88
	v_fma_f32 v151, 0x3fb8aa3b, v97, -v119
	v_rndne_f32_e32 v152, v119
	v_mul_f32_e32 v130, 0x3fb8aa3b, v102
	v_ldexp_f32 v100, v100, v124
	v_ldexp_f32 v107, v107, v127
	v_dual_mul_f32 v112, 0x3fb8aa3b, v96 :: v_dual_mul_f32 v121, 0x3fb8aa3b, v105
	v_cmp_ngt_f32_e64 s8, 0xc2ce8ed0, v97
	v_cmp_nlt_f32_e64 s33, 0x42b17218, v97
	v_fma_f32 v143, 0x3fb8aa3b, v103, -v115
	v_rndne_f32_e32 v144, v115
	v_mul_f32_e32 v128, 0x3fb8aa3b, v89
	v_fma_f32 v153, 0x3fb8aa3b, v92, -v120
	v_rndne_f32_e32 v154, v120
	v_fma_f32 v157, 0x3fb8aa3b, v91, -v122
	v_sub_f32_e32 v95, v113, v140
	v_rndne_f32_e32 v166, v126
	v_fmac_f32_e32 v145, 0x32a5705f, v93
	v_sub_f32_e32 v93, v116, v146
	v_fma_f32 v177, 0x3fb8aa3b, v88, -v132
	v_rndne_f32_e32 v178, v132
	v_fmac_f32_e32 v151, 0x32a5705f, v97
	v_sub_f32_e32 v97, v119, v152
	v_fma_f32 v173, 0x3fb8aa3b, v102, -v130
	v_rndne_f32_e32 v174, v130
	v_cndmask_b32_e64 v100, 0, v100, s13
	v_cndmask_b32_e64 v107, 0, v107, s17
	v_cmp_ngt_f32_e64 s4, 0xc2ce8ed0, v103
	v_cmp_ngt_f32_e64 s9, 0xc2ce8ed0, v92
	;; [unrolled: 1-line block ×4, first 2 shown]
	v_cmp_nlt_f32_e64 s28, 0x42b17218, v103
	v_cmp_nlt_f32_e64 s34, 0x42b17218, v92
	;; [unrolled: 1-line block ×4, first 2 shown]
	v_rndne_f32_e32 v150, v118
	v_fma_f32 v155, 0x3fb8aa3b, v105, -v121
	v_fma_f32 v165, 0x3fb8aa3b, v90, -v126
	;; [unrolled: 1-line block ×3, first 2 shown]
	v_rndne_f32_e32 v172, v129
	v_dual_fmac_f32 v143, 0x32a5705f, v103 :: v_dual_sub_f32 v98, v118, v150
	v_sub_f32_e32 v103, v115, v144
	v_fma_f32 v169, 0x3fb8aa3b, v89, -v128
	v_rndne_f32_e32 v170, v128
	v_dual_fmac_f32 v153, 0x32a5705f, v92 :: v_dual_sub_f32 v92, v120, v154
	v_fmac_f32_e32 v157, 0x32a5705f, v91
	v_cndmask_b32_e64 v100, 0x7f800000, v100, s38
	v_cndmask_b32_e64 v107, 0x7f800000, v107, s41
	v_dual_fmac_f32 v177, 0x32a5705f, v88 :: v_dual_sub_f32 v88, v132, v178
	v_fmac_f32_e32 v173, 0x32a5705f, v102
	v_sub_f32_e32 v102, v130, v174
	v_cmp_ngt_f32_e64 s16, 0xc2ce8ed0, v90
	v_cmp_ngt_f32_e64 s19, 0xc2ce8ed0, v108
	v_add_f32_e32 v88, v88, v177
	v_cmp_nlt_f32_e64 s40, 0x42b17218, v90
	v_cmp_nlt_f32_e64 s43, 0x42b17218, v108
	v_fmac_f32_e32 v155, 0x32a5705f, v105
	v_dual_fmac_f32 v165, 0x32a5705f, v90 :: v_dual_add_f32 v92, v92, v153
	v_dual_sub_f32 v90, v126, v166 :: v_dual_fmac_f32 v171, 0x32a5705f, v108
	v_add_f32_e32 v102, v102, v173
	v_dual_sub_f32 v108, v129, v172 :: v_dual_fmac_f32 v169, 0x32a5705f, v89
	s_delay_alu instid0(VALU_DEP_3) | instskip(SKIP_1) | instid1(VALU_DEP_3)
	v_dual_sub_f32 v89, v128, v170 :: v_dual_add_f32 v90, v90, v165
	v_rndne_f32_e32 v156, v121
	v_add_f32_e32 v108, v108, v171
	s_delay_alu instid0(VALU_DEP_3)
	v_dual_mul_f32 v134, 0x3fb8aa3b, v87 :: v_dual_add_f32 v89, v89, v169
	v_cmp_ngt_f32_e64 s10, 0xc2ce8ed0, v105
	v_cmp_nlt_f32_e64 s35, 0x42b17218, v105
	v_sub_f32_e32 v105, v121, v156
	v_fma_f32 v137, 0x3fb8aa3b, v96, -v112
	v_rndne_f32_e32 v138, v112
	v_rndne_f32_e32 v158, v122
	v_fma_f32 v163, 0x3fb8aa3b, v99, -v125
	v_rndne_f32_e32 v164, v125
	v_exp_f32_e32 v89, v89
	v_cmp_ngt_f32_e64 s15, 0xc2ce8ed0, v99
	v_cmp_nlt_f32_e64 s39, 0x42b17218, v99
	v_dual_fmac_f32 v137, 0x32a5705f, v96 :: v_dual_sub_f32 v96, v112, v138
	v_sub_f32_e32 v91, v122, v158
	v_dual_fmac_f32 v163, 0x32a5705f, v99 :: v_dual_add_f32 v98, v98, v149
	v_dual_sub_f32 v99, v125, v164 :: v_dual_add_f32 v104, v104, v147
	v_cvt_i32_f32_e32 v128, v170
	v_add_f32_e32 v93, v93, v145
	v_dual_add_f32 v105, v105, v155 :: v_dual_add_f32 v96, v96, v137
	v_add_f32_e32 v91, v91, v157
	v_exp_f32_e32 v86, v86
	s_delay_alu instid0(VALU_DEP_3)
	v_exp_f32_e32 v93, v93
	v_exp_f32_e32 v104, v104
	;; [unrolled: 1-line block ×5, first 2 shown]
	v_ldexp_f32 v89, v89, v128
	v_cvt_i32_f32_e32 v114, v142
	v_cvt_i32_f32_e32 v116, v146
	;; [unrolled: 1-line block ×6, first 2 shown]
	v_exp_f32_e32 v91, v91
	v_exp_f32_e32 v90, v90
	v_cndmask_b32_e64 v89, 0, v89, s18
	v_cvt_i32_f32_e32 v122, v158
	v_cvt_i32_f32_e32 v126, v166
	v_exp_f32_e32 v96, v96
	v_ldexp_f32 v86, v86, v114
	v_ldexp_f32 v93, v93, v116
	;; [unrolled: 1-line block ×6, first 2 shown]
	v_cndmask_b32_e64 v114, 0x7f800000, v89, s42
	v_add_f32_e32 v95, v95, v139
	v_cvt_i32_f32_e32 v112, v138
	v_ldexp_f32 v91, v91, v122
	v_ldexp_f32 v90, v90, v126
	v_cndmask_b32_e64 v93, 0, v93, s5
	v_exp_f32_e32 v95, v95
	v_cndmask_b32_e64 v104, 0, v104, s6
	v_cndmask_b32_e64 v98, 0, v98, s7
	;; [unrolled: 1-line block ×4, first 2 shown]
	v_fma_f32 v179, 0x3fb8aa3b, v109, -v133
	v_rndne_f32_e32 v180, v133
	v_cvt_i32_f32_e32 v113, v140
	v_ldexp_f32 v96, v96, v112
	v_cndmask_b32_e64 v91, 0, v91, s11
	v_cndmask_b32_e64 v90, 0, v90, s16
	;; [unrolled: 1-line block ×7, first 2 shown]
	v_cmp_ngt_f32_e64 s23, 0xc2ce8ed0, v109
	v_cmp_nlt_f32_e64 s47, 0x42b17218, v109
	v_fmac_f32_e32 v179, 0x32a5705f, v109
	v_ldexp_f32 v95, v95, v113
	v_cndmask_b32_e64 v105, 0x7f800000, v91, s36
	v_cndmask_b32_e64 v113, 0x7f800000, v90, s40
	v_add_f32_e32 v90, v98, v92
	v_sub_f32_e32 v109, v133, v180
	v_exp_f32_e32 v102, v102
	v_cvt_i32_f32_e32 v130, v174
	v_cvt_i32_f32_e32 v133, v180
	s_delay_alu instid0(VALU_DEP_3)
	v_dual_fmac_f32 v90, v82, v105 :: v_dual_add_f32 v109, v109, v179
	v_add_f32_e32 v99, v99, v163
	v_fma_f32 v181, 0x3fb8aa3b, v87, -v134
	v_cvt_i32_f32_e32 v125, v164
	v_cvt_i32_f32_e32 v115, v144
	v_exp_f32_e32 v109, v109
	s_delay_alu instid0(TRANS32_DEP_2)
	v_ldexp_f32 v102, v102, v130
	v_exp_f32_e32 v99, v99
	v_exp_f32_e32 v88, v88
	v_fma_f32 v175, 0x3fb8aa3b, v101, -v131
	v_cvt_i32_f32_e32 v132, v178
	v_cndmask_b32_e64 v102, 0, v102, s20
	v_cndmask_b32_e32 v96, 0, v96, vcc_lo
	v_rndne_f32_e32 v176, v131
	v_fmac_f32_e32 v175, 0x32a5705f, v101
	v_ldexp_f32 v109, v109, v133
	v_cndmask_b32_e64 v102, 0x7f800000, v102, s44
	v_ldexp_f32 v99, v99, v125
	v_ldexp_f32 v88, v88, v132
	v_rndne_f32_e32 v182, v134
	v_cndmask_b32_e64 v109, 0, v109, s23
	v_cvt_f16_f32_e32 v125, v102
	v_cndmask_b32_e64 v96, 0x7f800000, v96, s25
	v_cndmask_b32_e64 v88, 0, v88, s22
	v_cmp_ngt_f32_e64 s21, 0xc2ce8ed0, v101
	v_cndmask_b32_e64 v109, 0x7f800000, v109, s47
	v_fmac_f32_e32 v181, 0x32a5705f, v87
	v_cmp_nlt_f32_e64 s45, 0x42b17218, v101
	v_cmp_ngt_f32_e64 s24, 0xc2ce8ed0, v87
	v_cmp_nlt_f32_e64 s49, 0x42b17218, v87
	v_dual_add_f32 v102, v102, v109 :: v_dual_add_f32 v103, v103, v143
	v_add_f32_e32 v97, v97, v151
	v_exp_f32_e32 v94, v94
	v_exp_f32_e32 v106, v106
	;; [unrolled: 1-line block ×5, first 2 shown]
	v_cvt_i32_f32_e32 v110, v136
	v_cvt_i32_f32_e32 v119, v152
	;; [unrolled: 1-line block ×4, first 2 shown]
	v_cndmask_b32_e64 v95, 0, v95, s2
	v_ldexp_f32 v94, v94, v110
	v_cndmask_b32_e64 v86, 0, v86, s3
	v_ldexp_f32 v106, v106, v123
	v_ldexp_f32 v103, v103, v115
	v_cndmask_b32_e64 v115, 0x7f800000, v88, s46
	v_ldexp_f32 v97, v97, v119
	v_ldexp_f32 v108, v108, v129
	v_cndmask_b32_e64 v94, 0, v94, s48
	v_cndmask_b32_e64 v103, 0, v103, s4
	;; [unrolled: 1-line block ×7, first 2 shown]
	v_sub_f32_e32 v101, v131, v176
	v_cvt_i32_f32_e32 v131, v176
	v_cndmask_b32_e64 v110, 0x7f800000, v94, s50
	v_cndmask_b32_e64 v95, 0x7f800000, v95, s26
	v_dual_add_f32 v88, v96, v103 :: v_dual_sub_f32 v87, v134, v182
	v_add_f32_e32 v101, v101, v175
	v_cvt_i32_f32_e32 v134, v182
	v_cndmask_b32_e64 v86, 0x7f800000, v86, s27
	s_delay_alu instid0(VALU_DEP_4) | instskip(NEXT) | instid1(VALU_DEP_4)
	v_dual_fmac_f32 v88, v84, v112 :: v_dual_add_f32 v87, v87, v181
	v_exp_f32_e32 v101, v101
	v_cndmask_b32_e64 v97, 0x7f800000, v97, s33
	v_cndmask_b32_e64 v106, 0x7f800000, v106, s37
	;; [unrolled: 1-line block ×3, first 2 shown]
	v_exp_f32_e32 v87, v87
	v_cndmask_b32_e64 v108, 0x7f800000, v108, s43
	v_cvt_f16_f32_e32 v116, v86
	v_cvt_f16_f32_e32 v117, v96
	;; [unrolled: 1-line block ×4, first 2 shown]
	v_ldexp_f32 v101, v101, v131
	v_add_f32_e32 v89, v97, v93
	v_cvt_f16_f32_e32 v118, v93
	v_cvt_f16_f32_e32 v119, v104
	v_ldexp_f32 v87, v87, v134
	v_cndmask_b32_e64 v101, 0, v101, s21
	v_cvt_f16_f32_e32 v120, v98
	v_cvt_f16_f32_e32 v97, v97
	;; [unrolled: 1-line block ×3, first 2 shown]
	v_cndmask_b32_e64 v87, 0, v87, s24
	v_cndmask_b32_e64 v101, 0x7f800000, v101, s45
	v_add_f32_e32 v91, v99, v106
	v_cvt_f16_f32_e32 v123, v100
	v_cvt_f16_f32_e32 v99, v99
	v_cndmask_b32_e64 v94, 0x7f800000, v87, s49
	v_add_f32_e32 v87, v95, v110
	v_cvt_f16_f32_e32 v95, v95
	v_add_f32_e32 v93, v101, v108
	v_cvt_f16_f32_e32 v101, v101
	v_cvt_f16_f32_e32 v110, v110
	;; [unrolled: 1-line block ×5, first 2 shown]
	v_add_f32_e32 v92, v100, v107
	v_cvt_f16_f32_e32 v100, v107
	v_cvt_f16_f32_e32 v107, v114
	;; [unrolled: 1-line block ×6, first 2 shown]
	v_fmac_f32_e32 v87, v85, v86
	v_pk_mul_f16 v85, v116, v78 op_sel_hi:[0,1]
	v_pk_mul_f16 v180, v103, v77 op_sel_hi:[0,1]
	;; [unrolled: 1-line block ×4, first 2 shown]
	v_pack_b32_f16 v78, v101, v125
	v_pack_b32_f16 v77, v99, v123
	;; [unrolled: 1-line block ×4, first 2 shown]
	v_fmac_f32_e32 v91, v81, v113
	v_pk_mul_f16 v183, v122, v46 op_sel_hi:[0,1]
	v_fmac_f32_e32 v92, v80, v114
	v_pk_mul_f16 v184, v107, v45 op_sel_hi:[0,1]
	v_fmac_f32_e32 v93, v79, v115
	v_pack_b32_f16 v82, v108, v109
	v_pack_b32_f16 v81, v106, v100
	;; [unrolled: 1-line block ×4, first 2 shown]
	v_pk_mul_f16 v185, v124, v44 op_sel_hi:[0,1]
	v_pk_mul_f16 v186, v126, v43 op_sel_hi:[0,1]
	v_dual_fmac_f32 v89, v83, v104 :: v_dual_mov_b32 v86, v102
	ds_store_b128 v67, v[75:78]
	ds_store_b128 v67, v[79:82] offset:512
	s_waitcnt vmcnt(3)
	ds_store_b128 v61, v[8:11]
	s_waitcnt vmcnt(2)
	ds_store_b128 v63, v[12:15]
	;; [unrolled: 2-line block ×4, first 2 shown]
	s_waitcnt lgkmcnt(0)
	s_barrier
	buffer_gl0_inv
	ds_load_2addr_b32 v[12:13], v47 offset1:32
	ds_load_b128 v[8:11], v62
	ds_load_b128 v[16:19], v62 offset:16
	ds_load_b128 v[20:23], v62 offset:32
	;; [unrolled: 1-line block ×3, first 2 shown]
	ds_load_2addr_b32 v[43:44], v47 offset0:64 offset1:96
	ds_load_2addr_b32 v[83:84], v47 offset0:128 offset1:160
	ds_load_b128 v[79:82], v62 offset:64
	ds_load_b128 v[95:98], v62 offset:80
	ds_load_2addr_b32 v[192:193], v47 offset0:192 offset1:224
	ds_load_b128 v[99:102], v62 offset:96
	ds_load_b128 v[103:106], v62 offset:112
	ds_load_2addr_b32 v[194:195], v68 offset1:32
	ds_load_b128 v[107:110], v62 offset:128
	ds_load_b128 v[112:115], v62 offset:144
	ds_load_2addr_b32 v[196:197], v68 offset0:64 offset1:96
	ds_load_b128 v[116:119], v62 offset:160
	ds_load_b128 v[120:123], v62 offset:176
	ds_load_2addr_b32 v[198:199], v68 offset0:128 offset1:160
	;; [unrolled: 3-line block ×3, first 2 shown]
	ds_load_b128 v[132:135], v62 offset:224
	ds_load_b128 v[136:139], v62 offset:240
	ds_load_2addr_b32 v[202:203], v69 offset1:32
	ds_load_b128 v[140:143], v62 offset:256
	ds_load_b128 v[144:147], v62 offset:272
	ds_load_2addr_b32 v[204:205], v69 offset0:64 offset1:96
	ds_load_b128 v[148:151], v62 offset:288
	ds_load_b128 v[152:155], v62 offset:304
	ds_load_2addr_b32 v[206:207], v69 offset0:128 offset1:160
	;; [unrolled: 3-line block ×3, first 2 shown]
	ds_load_b128 v[164:167], v62 offset:352
	ds_load_b128 v[168:171], v62 offset:368
	ds_load_2addr_b32 v[45:46], v70 offset1:32
	ds_load_b128 v[172:175], v62 offset:384
	ds_load_b128 v[176:179], v62 offset:400
	ds_load_2addr_b32 v[14:15], v70 offset0:64 offset1:96
	s_waitcnt lgkmcnt(38)
	v_pk_fma_f16 v85, v12, v8, v85 op_sel_hi:[1,0,1]
	v_pk_fma_f16 v8, v12, v8, v180 op_sel:[0,1,0]
	v_pk_fma_f16 v187, v12, v9, v181 op_sel_hi:[1,0,1]
	v_pk_fma_f16 v9, v12, v9, v182 op_sel:[0,1,0]
	v_pk_fma_f16 v188, v12, v10, v183 op_sel_hi:[1,0,1]
	v_pk_fma_f16 v10, v12, v10, v184 op_sel:[0,1,0]
	v_pk_fma_f16 v184, v12, v11, v185 op_sel_hi:[1,0,1]
	v_pk_fma_f16 v11, v12, v11, v186 op_sel:[0,1,0]
	s_waitcnt lgkmcnt(37)
	v_pk_fma_f16 v12, v13, v16, v85 op_sel_hi:[1,0,1]
	v_pk_fma_f16 v8, v13, v16, v8 op_sel:[0,1,0]
	v_pk_fma_f16 v85, v13, v17, v187 op_sel_hi:[1,0,1]
	v_pk_fma_f16 v9, v13, v17, v9 op_sel:[0,1,0]
	v_pk_fma_f16 v188, v13, v18, v188 op_sel_hi:[1,0,1]
	v_pk_fma_f16 v10, v13, v18, v10 op_sel:[0,1,0]
	v_pk_fma_f16 v18, v13, v19, v184 op_sel_hi:[1,0,1]
	v_pk_fma_f16 v11, v13, v19, v11 op_sel:[0,1,0]
	;; [unrolled: 9-line block ×3, first 2 shown]
	v_pk_fma_f16 v12, v44, v75, v12 op_sel_hi:[1,0,1]
	v_pk_fma_f16 v8, v44, v75, v8 op_sel:[0,1,0]
	v_pk_fma_f16 v13, v44, v76, v13 op_sel_hi:[1,0,1]
	v_pk_fma_f16 v9, v44, v76, v9 op_sel:[0,1,0]
	v_pk_fma_f16 v20, v44, v77, v19 op_sel_hi:[1,0,1]
	v_pk_fma_f16 v10, v44, v77, v10 op_sel:[0,1,0]
	v_pk_fma_f16 v21, v44, v78, v18 op_sel_hi:[1,0,1]
	v_pk_fma_f16 v11, v44, v78, v11 op_sel:[0,1,0]
	s_waitcnt lgkmcnt(32)
	v_pk_fma_f16 v12, v83, v79, v12 op_sel_hi:[1,0,1]
	v_pk_fma_f16 v8, v83, v79, v8 op_sel:[0,1,0]
	v_pk_fma_f16 v13, v83, v80, v13 op_sel_hi:[1,0,1]
	v_pk_fma_f16 v9, v83, v80, v9 op_sel:[0,1,0]
	v_pk_fma_f16 v20, v83, v81, v20 op_sel_hi:[1,0,1]
	v_pk_fma_f16 v10, v83, v81, v10 op_sel:[0,1,0]
	v_pk_fma_f16 v21, v83, v82, v21 op_sel_hi:[1,0,1]
	v_pk_fma_f16 v11, v83, v82, v11 op_sel:[0,1,0]
	s_waitcnt lgkmcnt(31)
	;; [unrolled: 9-line block ×18, first 2 shown]
	v_pk_fma_f16 v201, v207, v160, v199 op_sel_hi:[1,0,1]
	v_pk_fma_f16 v85, v207, v160, v85 op_sel:[0,1,0]
	v_pk_fma_f16 v160, v207, v161, v156 op_sel_hi:[1,0,1]
	v_pk_fma_f16 v161, v207, v161, v157 op_sel:[0,1,0]
	;; [unrolled: 2-line block ×4, first 2 shown]
	ds_load_b128 v[180:183], v62 offset:416
	s_waitcnt lgkmcnt(6)
	v_pk_fma_f16 v201, v208, v164, v201 op_sel_hi:[1,0,1]
	v_pk_fma_f16 v85, v208, v164, v85 op_sel:[0,1,0]
	v_pk_fma_f16 v164, v208, v165, v160 op_sel_hi:[1,0,1]
	v_pk_fma_f16 v165, v208, v165, v161 op_sel:[0,1,0]
	;; [unrolled: 2-line block ×4, first 2 shown]
	s_waitcnt lgkmcnt(5)
	v_pk_fma_f16 v203, v209, v168, v201 op_sel_hi:[1,0,1]
	v_pk_fma_f16 v85, v209, v168, v85 op_sel:[0,1,0]
	v_pk_fma_f16 v168, v209, v169, v164 op_sel_hi:[1,0,1]
	v_pk_fma_f16 v169, v209, v169, v165 op_sel:[0,1,0]
	;; [unrolled: 2-line block ×4, first 2 shown]
	ds_load_b128 v[184:187], v62 offset:432
	ds_load_2addr_b32 v[16:17], v70 offset0:128 offset1:160
	ds_load_b128 v[188:191], v62 offset:448
	s_waitcnt lgkmcnt(6)
	v_pk_fma_f16 v203, v45, v172, v203 op_sel_hi:[1,0,1]
	v_pk_fma_f16 v85, v45, v172, v85 op_sel:[0,1,0]
	v_pk_fma_f16 v172, v45, v173, v168 op_sel_hi:[1,0,1]
	v_pk_fma_f16 v173, v45, v173, v169 op_sel:[0,1,0]
	;; [unrolled: 2-line block ×4, first 2 shown]
	s_waitcnt lgkmcnt(5)
	v_pk_fma_f16 v203, v46, v176, v203 op_sel_hi:[1,0,1]
	v_pk_fma_f16 v85, v46, v176, v85 op_sel:[0,1,0]
	v_pk_fma_f16 v176, v46, v177, v172 op_sel_hi:[1,0,1]
	v_pk_fma_f16 v177, v46, v177, v173 op_sel:[0,1,0]
	;; [unrolled: 2-line block ×4, first 2 shown]
	ds_load_b128 v[75:78], v62 offset:464
	ds_load_2addr_b32 v[18:19], v70 offset0:192 offset1:224
	ds_load_b128 v[79:82], v62 offset:480
	s_waitcnt lgkmcnt(6)
	v_pk_fma_f16 v203, v14, v180, v203 op_sel_hi:[1,0,1]
	v_pk_fma_f16 v85, v14, v180, v85 op_sel:[0,1,0]
	v_pk_fma_f16 v180, v14, v181, v176 op_sel_hi:[1,0,1]
	v_pk_fma_f16 v181, v14, v181, v177 op_sel:[0,1,0]
	;; [unrolled: 2-line block ×4, first 2 shown]
	s_waitcnt lgkmcnt(5)
	v_pk_fma_f16 v205, v15, v184, v203 op_sel_hi:[1,0,1]
	v_pk_fma_f16 v85, v15, v184, v85 op_sel:[0,1,0]
	v_pk_fma_f16 v184, v15, v185, v180 op_sel_hi:[1,0,1]
	v_pk_fma_f16 v185, v15, v185, v181 op_sel:[0,1,0]
	;; [unrolled: 2-line block ×4, first 2 shown]
	ds_load_b128 v[95:98], v62 offset:496
	ds_load_2addr_b32 v[20:21], v71 offset1:32
	ds_load_b128 v[99:102], v62 offset:512
	s_waitcnt lgkmcnt(6)
	v_pk_fma_f16 v15, v16, v188, v205 op_sel_hi:[1,0,1]
	v_pk_fma_f16 v85, v16, v188, v85 op_sel:[0,1,0]
	v_pk_fma_f16 v188, v16, v189, v184 op_sel_hi:[1,0,1]
	v_pk_fma_f16 v189, v16, v189, v185 op_sel:[0,1,0]
	v_pk_fma_f16 v205, v16, v190, v206 op_sel_hi:[1,0,1]
	v_pk_fma_f16 v190, v16, v190, v186 op_sel:[0,1,0]
	v_pk_fma_f16 v204, v16, v191, v204 op_sel_hi:[1,0,1]
	v_pk_fma_f16 v14, v16, v191, v14 op_sel:[0,1,0]
	s_waitcnt lgkmcnt(5)
	v_pk_fma_f16 v191, v17, v75, v15 op_sel_hi:[1,0,1]
	v_pk_fma_f16 v75, v17, v75, v85 op_sel:[0,1,0]
	v_pk_fma_f16 v85, v17, v76, v188 op_sel_hi:[1,0,1]
	v_pk_fma_f16 v76, v17, v76, v189 op_sel:[0,1,0]
	v_pk_fma_f16 v205, v17, v77, v205 op_sel_hi:[1,0,1]
	v_pk_fma_f16 v77, v17, v77, v190 op_sel:[0,1,0]
	v_pk_fma_f16 v190, v17, v78, v204 op_sel_hi:[1,0,1]
	v_pk_fma_f16 v78, v17, v78, v14 op_sel:[0,1,0]
	ds_load_b128 v[103:106], v62 offset:528
	ds_load_2addr_b32 v[22:23], v71 offset0:64 offset1:96
	ds_load_b128 v[107:110], v62 offset:544
	s_waitcnt lgkmcnt(6)
	v_pk_fma_f16 v191, v18, v79, v191 op_sel_hi:[1,0,1]
	v_pk_fma_f16 v79, v18, v79, v75 op_sel:[0,1,0]
	v_pk_fma_f16 v85, v18, v80, v85 op_sel_hi:[1,0,1]
	v_pk_fma_f16 v80, v18, v80, v76 op_sel:[0,1,0]
	v_pk_fma_f16 v204, v18, v81, v205 op_sel_hi:[1,0,1]
	v_pk_fma_f16 v81, v18, v81, v77 op_sel:[0,1,0]
	v_pk_fma_f16 v190, v18, v82, v190 op_sel_hi:[1,0,1]
	v_pk_fma_f16 v18, v18, v82, v78 op_sel:[0,1,0]
	s_waitcnt lgkmcnt(5)
	v_pk_fma_f16 v205, v19, v95, v191 op_sel_hi:[1,0,1]
	v_pk_fma_f16 v95, v19, v95, v79 op_sel:[0,1,0]
	v_pk_fma_f16 v85, v19, v96, v85 op_sel_hi:[1,0,1]
	v_pk_fma_f16 v96, v19, v96, v80 op_sel:[0,1,0]
	v_pk_fma_f16 v204, v19, v97, v204 op_sel_hi:[1,0,1]
	v_pk_fma_f16 v97, v19, v97, v81 op_sel:[0,1,0]
	v_pk_fma_f16 v206, v19, v98, v190 op_sel_hi:[1,0,1]
	v_pk_fma_f16 v18, v19, v98, v18 op_sel:[0,1,0]
	ds_load_b128 v[112:115], v62 offset:560
	ds_load_2addr_b32 v[12:13], v71 offset0:128 offset1:160
	;; [unrolled: 21-line block ×3, first 2 shown]
	ds_load_b128 v[120:123], v62 offset:608
	s_waitcnt lgkmcnt(6)
	v_pk_fma_f16 v106, v22, v107, v102 op_sel_hi:[1,0,1]
	v_pk_fma_f16 v107, v22, v107, v99 op_sel:[0,1,0]
	v_pk_fma_f16 v85, v22, v108, v85 op_sel_hi:[1,0,1]
	v_pk_fma_f16 v108, v22, v108, v100 op_sel:[0,1,0]
	;; [unrolled: 2-line block ×4, first 2 shown]
	s_waitcnt lgkmcnt(5)
	v_pk_fma_f16 v206, v23, v112, v106 op_sel_hi:[1,0,1]
	v_pk_fma_f16 v112, v23, v112, v107 op_sel:[0,1,0]
	v_pk_fma_f16 v85, v23, v113, v85 op_sel_hi:[1,0,1]
	v_pk_fma_f16 v113, v23, v113, v108 op_sel:[0,1,0]
	v_pk_fma_f16 v207, v23, v114, v103 op_sel_hi:[1,0,1]
	v_pk_fma_f16 v114, v23, v114, v109 op_sel:[0,1,0]
	v_pk_fma_f16 v208, v23, v115, v104 op_sel_hi:[1,0,1]
	v_pk_fma_f16 v115, v23, v115, v22 op_sel:[0,1,0]
	ds_load_b128 v[124:127], v62 offset:624
	ds_load_2addr_b32 v[83:84], v72 offset1:32
	ds_load_b128 v[128:131], v62 offset:640
	v_fmac_f32_e32 v86, v111, v94
	s_waitcnt lgkmcnt(6)
	v_pk_fma_f16 v94, v12, v8, v206 op_sel_hi:[1,0,1]
	v_pk_fma_f16 v111, v12, v8, v112 op_sel:[0,1,0]
	v_pk_fma_f16 v85, v12, v9, v85 op_sel_hi:[1,0,1]
	v_pk_fma_f16 v112, v12, v9, v113 op_sel:[0,1,0]
	v_pk_fma_f16 v113, v12, v10, v207 op_sel_hi:[1,0,1]
	v_pk_fma_f16 v114, v12, v10, v114 op_sel:[0,1,0]
	v_pk_fma_f16 v206, v12, v11, v208 op_sel_hi:[1,0,1]
	v_pk_fma_f16 v12, v12, v11, v115 op_sel:[0,1,0]
	s_waitcnt lgkmcnt(5)
	v_pk_fma_f16 v94, v13, v116, v94 op_sel_hi:[1,0,1]
	v_pk_fma_f16 v111, v13, v116, v111 op_sel:[0,1,0]
	v_pk_fma_f16 v85, v13, v117, v85 op_sel_hi:[1,0,1]
	v_pk_fma_f16 v112, v13, v117, v112 op_sel:[0,1,0]
	v_pk_fma_f16 v113, v13, v118, v113 op_sel_hi:[1,0,1]
	v_pk_fma_f16 v114, v13, v118, v114 op_sel:[0,1,0]
	v_pk_fma_f16 v115, v13, v119, v206 op_sel_hi:[1,0,1]
	v_pk_fma_f16 v12, v13, v119, v12 op_sel:[0,1,0]
	ds_load_b128 v[132:135], v62 offset:656
	ds_load_2addr_b32 v[192:193], v72 offset0:64 offset1:96
	ds_load_b128 v[136:139], v62 offset:672
	s_waitcnt lgkmcnt(6)
	v_pk_fma_f16 v13, v43, v120, v94 op_sel_hi:[1,0,1]
	v_pk_fma_f16 v94, v43, v120, v111 op_sel:[0,1,0]
	v_pk_fma_f16 v85, v43, v121, v85 op_sel_hi:[1,0,1]
	v_pk_fma_f16 v111, v43, v121, v112 op_sel:[0,1,0]
	v_pk_fma_f16 v112, v43, v122, v113 op_sel_hi:[1,0,1]
	v_pk_fma_f16 v113, v43, v122, v114 op_sel:[0,1,0]
	v_pk_fma_f16 v114, v43, v123, v115 op_sel_hi:[1,0,1]
	v_pk_fma_f16 v12, v43, v123, v12 op_sel:[0,1,0]
	s_waitcnt lgkmcnt(5)
	v_pk_fma_f16 v13, v44, v124, v13 op_sel_hi:[1,0,1]
	v_pk_fma_f16 v43, v44, v124, v94 op_sel:[0,1,0]
	v_pk_fma_f16 v85, v44, v125, v85 op_sel_hi:[1,0,1]
	v_pk_fma_f16 v94, v44, v125, v111 op_sel:[0,1,0]
	v_pk_fma_f16 v111, v44, v126, v112 op_sel_hi:[1,0,1]
	v_pk_fma_f16 v112, v44, v126, v113 op_sel:[0,1,0]
	v_pk_fma_f16 v113, v44, v127, v114 op_sel_hi:[1,0,1]
	v_pk_fma_f16 v12, v44, v127, v12 op_sel:[0,1,0]
	ds_load_b128 v[140:143], v62 offset:688
	ds_load_2addr_b32 v[194:195], v72 offset0:128 offset1:160
	ds_load_b128 v[144:147], v62 offset:704
	;; [unrolled: 21-line block ×3, first 2 shown]
	s_waitcnt lgkmcnt(6)
	v_pk_fma_f16 v13, v192, v136, v13 op_sel_hi:[1,0,1]
	v_pk_fma_f16 v43, v192, v136, v43 op_sel:[0,1,0]
	v_pk_fma_f16 v44, v192, v137, v44 op_sel_hi:[1,0,1]
	v_pk_fma_f16 v83, v192, v137, v83 op_sel:[0,1,0]
	;; [unrolled: 2-line block ×4, first 2 shown]
	s_waitcnt lgkmcnt(5)
	v_pk_fma_f16 v13, v193, v140, v13 op_sel_hi:[1,0,1]
	v_pk_fma_f16 v43, v193, v140, v43 op_sel:[0,1,0]
	v_pk_fma_f16 v44, v193, v141, v44 op_sel_hi:[1,0,1]
	v_pk_fma_f16 v83, v193, v141, v83 op_sel:[0,1,0]
	v_pk_fma_f16 v84, v193, v142, v84 op_sel_hi:[1,0,1]
	v_pk_fma_f16 v85, v193, v142, v85 op_sel:[0,1,0]
	v_pk_fma_f16 v94, v193, v143, v94 op_sel_hi:[1,0,1]
	v_pk_fma_f16 v12, v193, v143, v12 op_sel:[0,1,0]
	ds_load_b128 v[156:159], v62 offset:752
	ds_load_2addr_b32 v[198:199], v73 offset1:32
	ds_load_b128 v[160:163], v62 offset:768
	s_waitcnt lgkmcnt(6)
	v_pk_fma_f16 v13, v194, v144, v13 op_sel_hi:[1,0,1]
	v_pk_fma_f16 v43, v194, v144, v43 op_sel:[0,1,0]
	v_pk_fma_f16 v44, v194, v145, v44 op_sel_hi:[1,0,1]
	v_pk_fma_f16 v83, v194, v145, v83 op_sel:[0,1,0]
	v_pk_fma_f16 v84, v194, v146, v84 op_sel_hi:[1,0,1]
	v_pk_fma_f16 v85, v194, v146, v85 op_sel:[0,1,0]
	v_pk_fma_f16 v94, v194, v147, v94 op_sel_hi:[1,0,1]
	v_pk_fma_f16 v12, v194, v147, v12 op_sel:[0,1,0]
	s_waitcnt lgkmcnt(5)
	v_pk_fma_f16 v13, v195, v148, v13 op_sel_hi:[1,0,1]
	v_pk_fma_f16 v43, v195, v148, v43 op_sel:[0,1,0]
	v_pk_fma_f16 v44, v195, v149, v44 op_sel_hi:[1,0,1]
	v_pk_fma_f16 v83, v195, v149, v83 op_sel:[0,1,0]
	v_pk_fma_f16 v84, v195, v150, v84 op_sel_hi:[1,0,1]
	v_pk_fma_f16 v85, v195, v150, v85 op_sel:[0,1,0]
	v_pk_fma_f16 v94, v195, v151, v94 op_sel_hi:[1,0,1]
	v_pk_fma_f16 v12, v195, v151, v12 op_sel:[0,1,0]
	ds_load_b128 v[164:167], v62 offset:784
	ds_load_2addr_b32 v[200:201], v73 offset0:64 offset1:96
	ds_load_b128 v[168:171], v62 offset:800
	s_waitcnt lgkmcnt(6)
	v_pk_fma_f16 v13, v196, v152, v13 op_sel_hi:[1,0,1]
	v_pk_fma_f16 v43, v196, v152, v43 op_sel:[0,1,0]
	v_pk_fma_f16 v44, v196, v153, v44 op_sel_hi:[1,0,1]
	v_pk_fma_f16 v83, v196, v153, v83 op_sel:[0,1,0]
	v_pk_fma_f16 v84, v196, v154, v84 op_sel_hi:[1,0,1]
	v_pk_fma_f16 v85, v196, v154, v85 op_sel:[0,1,0]
	v_pk_fma_f16 v94, v196, v155, v94 op_sel_hi:[1,0,1]
	v_pk_fma_f16 v12, v196, v155, v12 op_sel:[0,1,0]
	s_waitcnt lgkmcnt(5)
	v_pk_fma_f16 v13, v197, v156, v13 op_sel_hi:[1,0,1]
	v_pk_fma_f16 v43, v197, v156, v43 op_sel:[0,1,0]
	v_pk_fma_f16 v44, v197, v157, v44 op_sel_hi:[1,0,1]
	v_pk_fma_f16 v83, v197, v157, v83 op_sel:[0,1,0]
	v_pk_fma_f16 v84, v197, v158, v84 op_sel_hi:[1,0,1]
	v_pk_fma_f16 v85, v197, v158, v85 op_sel:[0,1,0]
	v_pk_fma_f16 v94, v197, v159, v94 op_sel_hi:[1,0,1]
	v_pk_fma_f16 v12, v197, v159, v12 op_sel:[0,1,0]
	ds_load_b128 v[172:175], v62 offset:816
	ds_load_2addr_b32 v[45:46], v73 offset0:128 offset1:160
	;; [unrolled: 21-line block ×3, first 2 shown]
	ds_load_b128 v[184:187], v62 offset:864
	s_waitcnt lgkmcnt(6)
	v_pk_fma_f16 v13, v200, v168, v13 op_sel_hi:[1,0,1]
	v_pk_fma_f16 v43, v200, v168, v43 op_sel:[0,1,0]
	v_pk_fma_f16 v44, v200, v169, v44 op_sel_hi:[1,0,1]
	v_pk_fma_f16 v83, v200, v169, v83 op_sel:[0,1,0]
	;; [unrolled: 2-line block ×4, first 2 shown]
	s_waitcnt lgkmcnt(5)
	v_pk_fma_f16 v13, v201, v172, v13 op_sel_hi:[1,0,1]
	v_pk_fma_f16 v43, v201, v172, v43 op_sel:[0,1,0]
	v_pk_fma_f16 v44, v201, v173, v44 op_sel_hi:[1,0,1]
	v_pk_fma_f16 v83, v201, v173, v83 op_sel:[0,1,0]
	;; [unrolled: 2-line block ×4, first 2 shown]
	ds_load_b128 v[14:17], v62 offset:880
	ds_load_2addr_b32 v[188:189], v74 offset1:32
	ds_load_b128 v[75:78], v62 offset:896
	s_waitcnt lgkmcnt(6)
	v_pk_fma_f16 v13, v45, v176, v13 op_sel_hi:[1,0,1]
	v_pk_fma_f16 v43, v45, v176, v43 op_sel:[0,1,0]
	v_pk_fma_f16 v44, v45, v177, v44 op_sel_hi:[1,0,1]
	v_pk_fma_f16 v83, v45, v177, v83 op_sel:[0,1,0]
	v_pk_fma_f16 v84, v45, v178, v84 op_sel_hi:[1,0,1]
	v_pk_fma_f16 v85, v45, v178, v85 op_sel:[0,1,0]
	v_pk_fma_f16 v94, v45, v179, v94 op_sel_hi:[1,0,1]
	v_pk_fma_f16 v12, v45, v179, v12 op_sel:[0,1,0]
	s_waitcnt lgkmcnt(5)
	v_pk_fma_f16 v13, v46, v180, v13 op_sel_hi:[1,0,1]
	v_pk_fma_f16 v43, v46, v180, v43 op_sel:[0,1,0]
	v_pk_fma_f16 v44, v46, v181, v44 op_sel_hi:[1,0,1]
	v_pk_fma_f16 v45, v46, v181, v83 op_sel:[0,1,0]
	v_pk_fma_f16 v83, v46, v182, v84 op_sel_hi:[1,0,1]
	v_pk_fma_f16 v84, v46, v182, v85 op_sel:[0,1,0]
	v_pk_fma_f16 v85, v46, v183, v94 op_sel_hi:[1,0,1]
	v_pk_fma_f16 v12, v46, v183, v12 op_sel:[0,1,0]
	ds_load_b128 v[79:82], v62 offset:912
	ds_load_2addr_b32 v[190:191], v74 offset0:64 offset1:96
	ds_load_b128 v[95:98], v62 offset:928
	s_waitcnt lgkmcnt(6)
	v_pk_fma_f16 v13, v202, v184, v13 op_sel_hi:[1,0,1]
	v_pk_fma_f16 v43, v202, v184, v43 op_sel:[0,1,0]
	v_pk_fma_f16 v44, v202, v185, v44 op_sel_hi:[1,0,1]
	v_pk_fma_f16 v45, v202, v185, v45 op_sel:[0,1,0]
	v_pk_fma_f16 v46, v202, v186, v83 op_sel_hi:[1,0,1]
	v_pk_fma_f16 v83, v202, v186, v84 op_sel:[0,1,0]
	v_pk_fma_f16 v84, v202, v187, v85 op_sel_hi:[1,0,1]
	v_pk_fma_f16 v12, v202, v187, v12 op_sel:[0,1,0]
	s_waitcnt lgkmcnt(5)
	v_pk_fma_f16 v13, v203, v14, v13 op_sel_hi:[1,0,1]
	v_pk_fma_f16 v14, v203, v14, v43 op_sel:[0,1,0]
	v_pk_fma_f16 v43, v203, v15, v44 op_sel_hi:[1,0,1]
	v_pk_fma_f16 v15, v203, v15, v45 op_sel:[0,1,0]
	v_pk_fma_f16 v44, v203, v16, v46 op_sel_hi:[1,0,1]
	v_pk_fma_f16 v16, v203, v16, v83 op_sel:[0,1,0]
	v_pk_fma_f16 v45, v203, v17, v84 op_sel_hi:[1,0,1]
	v_pk_fma_f16 v12, v203, v17, v12 op_sel:[0,1,0]
	ds_load_b128 v[18:21], v62 offset:944
	ds_load_2addr_b32 v[204:205], v74 offset0:128 offset1:160
	;; [unrolled: 21-line block ×3, first 2 shown]
	ds_load_b128 v[107:110], v62 offset:992
	ds_load_b128 v[8:11], v62 offset:1008
	s_waitcnt lgkmcnt(7)
	v_pk_fma_f16 v13, v190, v95, v13 op_sel_hi:[1,0,1]
	v_pk_fma_f16 v14, v190, v95, v14 op_sel:[0,1,0]
	v_pk_fma_f16 v17, v190, v96, v17 op_sel_hi:[1,0,1]
	v_pk_fma_f16 v15, v190, v96, v15 op_sel:[0,1,0]
	;; [unrolled: 2-line block ×4, first 2 shown]
	s_waitcnt lgkmcnt(0)
	s_barrier
	buffer_gl0_inv
	s_load_b32 s2, s[54:55], 0x4
	v_pk_fma_f16 v13, v191, v18, v13 op_sel_hi:[1,0,1]
	v_pk_fma_f16 v14, v191, v18, v14 op_sel:[0,1,0]
	v_pk_fma_f16 v17, v191, v19, v17 op_sel_hi:[1,0,1]
	v_pk_fma_f16 v15, v191, v19, v15 op_sel:[0,1,0]
	;; [unrolled: 2-line block ×16, first 2 shown]
	s_waitcnt lgkmcnt(0)
	s_lshl_b32 s2, s2, 6
	v_pk_fma_f16 v78, v23, v8, v13 op_sel_hi:[1,0,1]
	v_pk_fma_f16 v77, v23, v8, v14 op_sel:[0,1,0]
	v_pk_fma_f16 v76, v23, v9, v17 op_sel_hi:[1,0,1]
	v_pk_fma_f16 v75, v23, v9, v15 op_sel:[0,1,0]
	;; [unrolled: 2-line block ×4, first 2 shown]
	s_add_i32 s51, s2, s51
	s_delay_alu instid0(SALU_CYCLE_1)
	s_cmp_ge_i32 s51, s66
	s_cbranch_scc0 .LBB5_9
; %bb.10:
	v_mov_b32_e32 v10, v48
.LBB5_11:
	v_cmp_lt_i32_e32 vcc_lo, v54, v49
	v_lshlrev_b32_e32 v27, 1, v24
	s_cmp_lg_u64 s[52:53], 0
	s_cselect_b32 s2, -1, 0
	v_cndmask_b32_e32 v8, v10, v54, vcc_lo
	v_cmp_lt_i32_e32 vcc_lo, v53, v49
	s_cmp_eq_u32 s14, 0
	s_cselect_b32 s3, -1, 0
	s_delay_alu instid0(VALU_DEP_2)
	v_dual_cndmask_b32 v17, v10, v53 :: v_dual_lshlrev_b32 v8, 2, v8
	v_cmp_lt_i32_e32 vcc_lo, v52, v49
	s_and_b32 s2, s3, s2
	ds_bpermute_b32 v9, v8, v87
	ds_bpermute_b32 v12, v8, v89
	ds_bpermute_b32 v16, v8, v93
	ds_bpermute_b32 v11, v8, v88
	v_lshlrev_b32_e32 v17, 2, v17
	ds_bpermute_b32 v13, v8, v90
	ds_bpermute_b32 v14, v8, v91
	;; [unrolled: 1-line block ×4, first 2 shown]
	s_waitcnt lgkmcnt(6)
	v_dual_add_f32 v9, v87, v9 :: v_dual_add_f32 v12, v89, v12
	s_waitcnt lgkmcnt(4)
	v_dual_add_f32 v16, v93, v16 :: v_dual_add_f32 v11, v88, v11
	ds_bpermute_b32 v18, v17, v9
	s_waitcnt lgkmcnt(3)
	v_add_f32_e32 v14, v91, v14
	v_cndmask_b32_e32 v28, v10, v52, vcc_lo
	ds_bpermute_b32 v19, v17, v11
	s_waitcnt lgkmcnt(2)
	v_dual_add_f32 v15, v92, v15 :: v_dual_add_f32 v8, v86, v8
	ds_bpermute_b32 v20, v17, v12
	ds_bpermute_b32 v22, v17, v14
	;; [unrolled: 1-line block ×4, first 2 shown]
	v_cmp_lt_i32_e32 vcc_lo, v51, v49
	s_waitcnt lgkmcnt(5)
	v_add_f32_e32 v9, v9, v18
	v_dual_add_f32 v13, v90, v13 :: v_dual_lshlrev_b32 v28, 2, v28
	s_waitcnt lgkmcnt(3)
	v_dual_add_f32 v11, v11, v19 :: v_dual_add_f32 v12, v12, v20
	ds_bpermute_b32 v21, v17, v13
	ds_bpermute_b32 v17, v17, v8
	;; [unrolled: 1-line block ×3, first 2 shown]
	s_waitcnt lgkmcnt(3)
	v_dual_add_f32 v15, v15, v23 :: v_dual_add_f32 v16, v16, v26
	ds_bpermute_b32 v19, v28, v12
	v_add_f32_e32 v14, v14, v22
	ds_bpermute_b32 v22, v28, v15
	ds_bpermute_b32 v23, v28, v16
	s_waitcnt lgkmcnt(5)
	v_add_f32_e32 v13, v13, v21
	s_waitcnt lgkmcnt(3)
	v_dual_add_f32 v8, v8, v17 :: v_dual_add_f32 v11, v11, v18
	ds_bpermute_b32 v17, v28, v9
	ds_bpermute_b32 v21, v28, v14
	ds_bpermute_b32 v20, v28, v13
	ds_bpermute_b32 v26, v28, v8
	v_cndmask_b32_e32 v28, v10, v51, vcc_lo
	s_waitcnt lgkmcnt(6)
	v_add_f32_e32 v12, v12, v19
	v_cmp_lt_i32_e32 vcc_lo, v50, v49
	s_waitcnt lgkmcnt(5)
	v_add_f32_e32 v15, v15, v22
	s_waitcnt lgkmcnt(3)
	v_dual_add_f32 v9, v9, v17 :: v_dual_lshlrev_b32 v28, 2, v28
	s_waitcnt lgkmcnt(1)
	v_add_f32_e32 v13, v13, v20
	ds_bpermute_b32 v18, v28, v11
	ds_bpermute_b32 v20, v28, v13
	v_add_f32_e32 v14, v14, v21
	s_waitcnt lgkmcnt(2)
	v_add_f32_e32 v8, v8, v26
	ds_bpermute_b32 v17, v28, v9
	v_add_f32_e32 v16, v16, v23
	ds_bpermute_b32 v19, v28, v12
	ds_bpermute_b32 v22, v28, v15
	s_waitcnt lgkmcnt(4)
	v_add_f32_e32 v11, v11, v18
	ds_bpermute_b32 v21, v28, v14
	s_waitcnt lgkmcnt(4)
	v_add_f32_e32 v13, v13, v20
	ds_bpermute_b32 v26, v28, v8
	s_waitcnt lgkmcnt(4)
	v_dual_add_f32 v9, v9, v17 :: v_dual_cndmask_b32 v10, v10, v50
	ds_bpermute_b32 v23, v28, v16
	s_waitcnt lgkmcnt(3)
	v_dual_add_f32 v12, v12, v19 :: v_dual_add_f32 v15, v15, v22
	s_and_b32 vcc_lo, exec_lo, s2
	v_lshlrev_b32_e32 v10, 2, v10
	ds_bpermute_b32 v18, v10, v11
	ds_bpermute_b32 v19, v10, v12
	;; [unrolled: 1-line block ×4, first 2 shown]
	s_waitcnt lgkmcnt(5)
	v_dual_add_f32 v14, v14, v21 :: v_dual_add_f32 v17, v8, v26
	ds_bpermute_b32 v8, v10, v9
	s_waitcnt lgkmcnt(5)
	v_add_f32_e32 v16, v16, v23
	ds_bpermute_b32 v21, v10, v14
	ds_bpermute_b32 v26, v10, v17
	s_waitcnt lgkmcnt(2)
	v_dual_add_f32 v8, v9, v8 :: v_dual_add_f32 v9, v11, v18
	ds_bpermute_b32 v23, v10, v16
	v_dual_add_f32 v10, v12, v19 :: v_dual_add_f32 v11, v13, v20
	s_waitcnt lgkmcnt(2)
	v_dual_add_f32 v12, v14, v21 :: v_dual_add_f32 v13, v15, v22
	s_waitcnt lgkmcnt(0)
	v_dual_add_f32 v15, v17, v26 :: v_dual_add_f32 v14, v16, v23
	s_cbranch_vccz .LBB5_14
; %bb.12:
	s_ashr_i32 s65, s64, 31
	v_dual_mov_b32 v16, 0 :: v_dual_max_f32 v17, v1, v1
	s_lshl_b64 s[2:3], s[64:65], 2
	v_dual_max_f32 v18, v2, v2 :: v_dual_max_f32 v21, v5, v5
	s_add_u32 s2, s52, s2
	s_addc_u32 s3, s53, s3
	s_clause 0x1
	global_load_b128 v[28:31], v16, s[2:3]
	global_load_b128 v[32:35], v16, s[2:3] offset:16
	v_dual_max_f32 v16, v0, v0 :: v_dual_max_f32 v19, v3, v3
	v_dual_max_f32 v20, v4, v4 :: v_dual_max_f32 v23, v7, v7
	v_max_f32_e32 v22, v6, v6
	s_waitcnt vmcnt(0)
	v_dual_max_f32 v36, v29, v29 :: v_dual_max_f32 v41, v34, v34
	v_max_f32_e32 v38, v31, v31
	v_dual_max_f32 v26, v28, v28 :: v_dual_max_f32 v37, v30, v30
	v_max_f32_e32 v39, v32, v32
	s_delay_alu instid0(VALU_DEP_4) | instskip(NEXT) | instid1(VALU_DEP_4)
	v_max_f32_e32 v17, v17, v36
	v_dual_max_f32 v40, v33, v33 :: v_dual_max_f32 v19, v19, v38
	v_max_f32_e32 v42, v35, v35
	s_delay_alu instid0(VALU_DEP_3) | instskip(NEXT) | instid1(VALU_DEP_3)
	v_dual_max_f32 v16, v16, v26 :: v_dual_sub_f32 v29, v29, v17
	v_dual_max_f32 v21, v21, v40 :: v_dual_max_f32 v18, v18, v37
	s_delay_alu instid0(VALU_DEP_3) | instskip(SKIP_1) | instid1(VALU_DEP_3)
	v_dual_max_f32 v23, v23, v42 :: v_dual_max_f32 v20, v20, v39
	v_dual_max_f32 v22, v22, v41 :: v_dual_sub_f32 v31, v31, v19
	v_dual_sub_f32 v37, v2, v18 :: v_dual_sub_f32 v36, v1, v17
	s_delay_alu instid0(VALU_DEP_3) | instskip(SKIP_1) | instid1(VALU_DEP_4)
	v_sub_f32_e32 v39, v4, v20
	v_dual_sub_f32 v26, v0, v16 :: v_dual_sub_f32 v33, v33, v21
	v_dual_sub_f32 v28, v28, v16 :: v_dual_sub_f32 v41, v6, v22
	v_sub_f32_e32 v38, v3, v19
	v_sub_f32_e32 v40, v5, v21
	;; [unrolled: 1-line block ×3, first 2 shown]
	v_mov_b32_e32 v0, v16
	v_dual_sub_f32 v30, v30, v18 :: v_dual_sub_f32 v35, v35, v23
	v_dual_mov_b32 v6, v22 :: v_dual_mul_f32 v47, 0x3fb8aa3b, v39
	v_dual_sub_f32 v32, v32, v20 :: v_dual_mov_b32 v3, v19
	v_dual_sub_f32 v34, v34, v22 :: v_dual_mov_b32 v5, v21
	v_dual_mov_b32 v1, v17 :: v_dual_mov_b32 v2, v18
	v_dual_mov_b32 v4, v20 :: v_dual_mov_b32 v7, v23
	v_dual_mul_f32 v23, 0x3fb8aa3b, v31 :: v_dual_mul_f32 v16, 0x3fb8aa3b, v26
	v_mul_f32_e32 v49, 0x3fb8aa3b, v40
	v_mul_f32_e32 v21, 0x3fb8aa3b, v30
	v_rndne_f32_e32 v72, v47
	v_dual_mul_f32 v22, 0x3fb8aa3b, v38 :: v_dual_mul_f32 v17, 0x3fb8aa3b, v28
	v_fma_f32 v55, 0x3fb8aa3b, v26, -v16
	v_rndne_f32_e32 v56, v16
	v_fma_f32 v65, 0x3fb8aa3b, v30, -v21
	v_fma_f32 v71, 0x3fb8aa3b, v39, -v47
	v_sub_f32_e32 v47, v47, v72
	v_fma_f32 v67, 0x3fb8aa3b, v38, -v22
	v_rndne_f32_e32 v68, v22
	v_dual_mul_f32 v20, 0x3fb8aa3b, v37 :: v_dual_mul_f32 v53, 0x3fb8aa3b, v42
	v_rndne_f32_e32 v58, v17
	v_mul_f32_e32 v48, 0x3fb8aa3b, v32
	v_fma_f32 v79, 0x3fb8aa3b, v40, -v49
	v_dual_fmac_f32 v55, 0x32a5705f, v26 :: v_dual_sub_f32 v16, v16, v56
	v_dual_fmac_f32 v65, 0x32a5705f, v30 :: v_dual_sub_f32 v22, v22, v68
	v_fmac_f32_e32 v67, 0x32a5705f, v38
	v_dual_mul_f32 v18, 0x3fb8aa3b, v36 :: v_dual_mul_f32 v51, 0x3fb8aa3b, v41
	v_fma_f32 v57, 0x3fb8aa3b, v28, -v17
	v_fma_f32 v63, 0x3fb8aa3b, v37, -v20
	v_rndne_f32_e32 v64, v20
	v_sub_f32_e32 v17, v17, v58
	v_fma_f32 v73, 0x3fb8aa3b, v32, -v48
	v_rndne_f32_e32 v74, v48
	v_dual_add_f32 v16, v16, v55 :: v_dual_fmac_f32 v79, 0x32a5705f, v40
	v_dual_add_f32 v22, v22, v67 :: v_dual_mul_f32 v19, 0x3fb8aa3b, v29
	v_rndne_f32_e32 v84, v51
	s_delay_alu instid0(VALU_DEP_4)
	v_dual_fmac_f32 v57, 0x32a5705f, v28 :: v_dual_sub_f32 v48, v48, v74
	v_dual_fmac_f32 v63, 0x32a5705f, v37 :: v_dual_sub_f32 v20, v20, v64
	v_fmac_f32_e32 v73, 0x32a5705f, v32
	v_exp_f32_e32 v22, v22
	v_fma_f32 v59, 0x3fb8aa3b, v36, -v18
	v_rndne_f32_e32 v60, v18
	v_add_f32_e32 v20, v20, v63
	v_rndne_f32_e32 v62, v19
	v_mul_f32_e32 v50, 0x3fb8aa3b, v33
	v_fma_f32 v83, 0x3fb8aa3b, v41, -v51
	v_cvt_i32_f32_e32 v68, v68
	v_dual_sub_f32 v51, v51, v84 :: v_dual_add_f32 v48, v48, v73
	v_fma_f32 v61, 0x3fb8aa3b, v29, -v19
	v_rndne_f32_e32 v70, v23
	v_dual_sub_f32 v18, v18, v60 :: v_dual_sub_f32 v19, v19, v62
	v_rndne_f32_e32 v82, v50
	s_delay_alu instid0(VALU_DEP_4)
	v_fmac_f32_e32 v61, 0x32a5705f, v29
	v_fmac_f32_e32 v59, 0x32a5705f, v36
	v_exp_f32_e32 v16, v16
	v_exp_f32_e32 v48, v48
	v_ldexp_f32 v22, v22, v68
	v_add_f32_e32 v17, v17, v57
	v_fma_f32 v69, 0x3fb8aa3b, v31, -v23
	v_fma_f32 v81, 0x3fb8aa3b, v33, -v50
	v_cvt_i32_f32_e32 v56, v56
	v_cvt_i32_f32_e32 v74, v74
	v_sub_f32_e32 v50, v50, v82
	v_dual_sub_f32 v23, v23, v70 :: v_dual_add_f32 v18, v18, v59
	v_exp_f32_e32 v17, v17
	v_rndne_f32_e32 v80, v49
	v_mul_f32_e32 v52, 0x3fb8aa3b, v34
	v_cvt_i32_f32_e32 v58, v58
	v_exp_f32_e32 v18, v18
	v_ldexp_f32 v16, v16, v56
	v_sub_f32_e32 v49, v49, v80
	v_ldexp_f32 v48, v48, v74
	v_add_f32_e32 v19, v19, v61
	v_cmp_ngt_f32_e32 vcc_lo, 0xc2ce8ed0, v26
	v_fma_f32 v85, 0x3fb8aa3b, v34, -v52
	v_cvt_i32_f32_e32 v60, v60
	v_fmac_f32_e32 v81, 0x32a5705f, v33
	v_exp_f32_e32 v19, v19
	v_cndmask_b32_e32 v16, 0, v16, vcc_lo
	v_ldexp_f32 v17, v17, v58
	v_cmp_ngt_f32_e32 vcc_lo, 0xc2ce8ed0, v28
	v_rndne_f32_e32 v66, v21
	v_mul_f32_e32 v54, 0x3fb8aa3b, v35
	v_rndne_f32_e32 v86, v52
	v_cvt_i32_f32_e32 v62, v62
	v_dual_fmac_f32 v85, 0x32a5705f, v34 :: v_dual_add_f32 v50, v50, v81
	v_exp_f32_e32 v20, v20
	v_ldexp_f32 v18, v18, v60
	v_cndmask_b32_e32 v17, 0, v17, vcc_lo
	v_cmp_ngt_f32_e32 vcc_lo, 0xc2ce8ed0, v36
	v_fma_f32 v87, 0x3fb8aa3b, v42, -v53
	v_cvt_i32_f32_e32 v64, v64
	v_sub_f32_e32 v21, v21, v66
	v_fma_f32 v89, 0x3fb8aa3b, v35, -v54
	v_rndne_f32_e32 v90, v54
	v_dual_fmac_f32 v69, 0x32a5705f, v31 :: v_dual_sub_f32 v52, v52, v86
	v_dual_fmac_f32 v83, 0x32a5705f, v41 :: v_dual_cndmask_b32 v18, 0, v18
	v_exp_f32_e32 v50, v50
	v_ldexp_f32 v19, v19, v62
	v_cmp_ngt_f32_e32 vcc_lo, 0xc2ce8ed0, v29
	v_rndne_f32_e32 v88, v53
	v_dual_fmac_f32 v71, 0x32a5705f, v39 :: v_dual_sub_f32 v54, v54, v90
	v_cvt_i32_f32_e32 v82, v82
	v_dual_fmac_f32 v87, 0x32a5705f, v42 :: v_dual_add_f32 v52, v52, v85
	v_ldexp_f32 v20, v20, v64
	v_cndmask_b32_e32 v19, 0, v19, vcc_lo
	v_cmp_ngt_f32_e32 vcc_lo, 0xc2ce8ed0, v37
	v_fmac_f32_e32 v89, 0x32a5705f, v35
	v_exp_f32_e32 v52, v52
	v_ldexp_f32 v50, v50, v82
	v_dual_add_f32 v21, v21, v65 :: v_dual_cndmask_b32 v20, 0, v20
	s_delay_alu instid0(VALU_DEP_3) | instskip(SKIP_1) | instid1(VALU_DEP_3)
	v_dual_sub_f32 v53, v53, v88 :: v_dual_add_f32 v54, v54, v89
	v_cvt_i32_f32_e32 v86, v86
	v_exp_f32_e32 v21, v21
	v_cvt_i32_f32_e32 v66, v66
	v_cvt_i32_f32_e32 v90, v90
	v_exp_f32_e32 v54, v54
	s_delay_alu instid0(TRANS32_DEP_3)
	v_ldexp_f32 v52, v52, v86
	v_add_f32_e32 v23, v23, v69
	v_cmp_ngt_f32_e32 vcc_lo, 0xc2ce8ed0, v30
	v_cvt_i32_f32_e32 v70, v70
	v_cvt_i32_f32_e32 v72, v72
	v_add_f32_e32 v49, v49, v79
	v_exp_f32_e32 v23, v23
	v_ldexp_f32 v21, v21, v66
	v_cvt_i32_f32_e32 v80, v80
	v_ldexp_f32 v54, v54, v90
	v_add_f32_e32 v47, v47, v71
	v_exp_f32_e32 v49, v49
	v_cndmask_b32_e32 v21, 0, v21, vcc_lo
	v_cmp_ngt_f32_e32 vcc_lo, 0xc2ce8ed0, v38
	v_add_f32_e32 v51, v51, v83
	v_exp_f32_e32 v47, v47
	v_ldexp_f32 v23, v23, v70
	v_cvt_i32_f32_e32 v84, v84
	v_cndmask_b32_e32 v22, 0, v22, vcc_lo
	v_cmp_ngt_f32_e32 vcc_lo, 0xc2ce8ed0, v31
	v_exp_f32_e32 v51, v51
	v_ldexp_f32 v49, v49, v80
	v_add_f32_e32 v53, v53, v87
	v_cvt_i32_f32_e32 v88, v88
	v_cndmask_b32_e32 v23, 0, v23, vcc_lo
	v_ldexp_f32 v47, v47, v72
	v_cmp_ngt_f32_e32 vcc_lo, 0xc2ce8ed0, v39
	v_exp_f32_e32 v53, v53
	s_delay_alu instid0(TRANS32_DEP_2) | instskip(NEXT) | instid1(VALU_DEP_3)
	v_ldexp_f32 v51, v51, v84
	v_cndmask_b32_e32 v47, 0, v47, vcc_lo
	v_cmp_ngt_f32_e32 vcc_lo, 0xc2ce8ed0, v32
	v_cndmask_b32_e32 v48, 0, v48, vcc_lo
	v_cmp_ngt_f32_e32 vcc_lo, 0xc2ce8ed0, v40
	s_waitcnt_depctr 0xfff
	v_ldexp_f32 v53, v53, v88
	v_cndmask_b32_e32 v49, 0, v49, vcc_lo
	v_cmp_ngt_f32_e32 vcc_lo, 0xc2ce8ed0, v33
	v_cndmask_b32_e32 v50, 0, v50, vcc_lo
	v_cmp_ngt_f32_e32 vcc_lo, 0xc2ce8ed0, v41
	;; [unrolled: 2-line block ×5, first 2 shown]
	v_cndmask_b32_e32 v54, 0, v54, vcc_lo
	v_cmp_nlt_f32_e32 vcc_lo, 0x42b17218, v26
	v_cndmask_b32_e32 v26, 0x7f800000, v16, vcc_lo
	v_cmp_nlt_f32_e32 vcc_lo, 0x42b17218, v28
	;; [unrolled: 2-line block ×3, first 2 shown]
	s_delay_alu instid0(VALU_DEP_2)
	v_fmac_f32_e32 v16, v8, v26
	v_cndmask_b32_e32 v28, 0x7f800000, v18, vcc_lo
	v_cmp_nlt_f32_e32 vcc_lo, 0x42b17218, v29
	v_cvt_f16_f32_e32 v8, v26
	v_cndmask_b32_e32 v17, 0x7f800000, v19, vcc_lo
	v_cmp_nlt_f32_e32 vcc_lo, 0x42b17218, v37
	s_delay_alu instid0(VALU_DEP_3) | instskip(NEXT) | instid1(VALU_DEP_3)
	v_pk_mul_f16 v78, v78, v8 op_sel_hi:[1,0]
	v_dual_mov_b32 v8, v16 :: v_dual_fmac_f32 v17, v9, v28
	v_cndmask_b32_e32 v29, 0x7f800000, v20, vcc_lo
	v_cmp_nlt_f32_e32 vcc_lo, 0x42b17218, v30
	v_cvt_f16_f32_e32 v9, v28
	v_cndmask_b32_e32 v18, 0x7f800000, v21, vcc_lo
	v_cmp_nlt_f32_e32 vcc_lo, 0x42b17218, v38
	s_delay_alu instid0(VALU_DEP_3) | instskip(NEXT) | instid1(VALU_DEP_3)
	v_pk_mul_f16 v77, v77, v9 op_sel_hi:[1,0]
	v_dual_mov_b32 v9, v17 :: v_dual_fmac_f32 v18, v10, v29
	v_cndmask_b32_e32 v30, 0x7f800000, v22, vcc_lo
	v_cmp_nlt_f32_e32 vcc_lo, 0x42b17218, v31
	v_cvt_f16_f32_e32 v10, v29
	v_cndmask_b32_e32 v19, 0x7f800000, v23, vcc_lo
	v_cmp_nlt_f32_e32 vcc_lo, 0x42b17218, v39
	s_delay_alu instid0(VALU_DEP_3)
	v_pk_mul_f16 v76, v76, v10 op_sel_hi:[1,0]
	v_dual_mov_b32 v10, v18 :: v_dual_cndmask_b32 v31, 0x7f800000, v47
	v_cmp_nlt_f32_e32 vcc_lo, 0x42b17218, v32
	v_cndmask_b32_e32 v20, 0x7f800000, v48, vcc_lo
	v_cmp_nlt_f32_e32 vcc_lo, 0x42b17218, v40
	v_cndmask_b32_e32 v32, 0x7f800000, v49, vcc_lo
	;; [unrolled: 2-line block ×3, first 2 shown]
	v_cmp_nlt_f32_e32 vcc_lo, 0x42b17218, v41
	s_delay_alu instid0(VALU_DEP_2) | instskip(SKIP_3) | instid1(VALU_DEP_2)
	v_fmac_f32_e32 v21, v13, v32
	v_dual_fmac_f32 v19, v11, v30 :: v_dual_fmac_f32 v20, v12, v31
	v_cvt_f16_f32_e32 v12, v31
	v_cvt_f16_f32_e32 v11, v30
	v_pk_mul_f16 v46, v46, v12 op_sel_hi:[1,0]
	s_delay_alu instid0(VALU_DEP_4) | instskip(SKIP_1) | instid1(VALU_DEP_4)
	v_dual_mov_b32 v12, v20 :: v_dual_cndmask_b32 v33, 0x7f800000, v51
	v_cmp_nlt_f32_e32 vcc_lo, 0x42b17218, v34
	v_pk_mul_f16 v75, v75, v11 op_sel_hi:[1,0]
	v_dual_mov_b32 v11, v19 :: v_dual_cndmask_b32 v22, 0x7f800000, v52
	v_cmp_nlt_f32_e32 vcc_lo, 0x42b17218, v42
	s_delay_alu instid0(VALU_DEP_2) | instskip(SKIP_1) | instid1(VALU_DEP_1)
	v_fmac_f32_e32 v22, v14, v33
	v_cvt_f16_f32_e32 v14, v33
	v_pk_mul_f16 v44, v44, v14 op_sel_hi:[1,0]
	s_delay_alu instid0(VALU_DEP_3) | instskip(SKIP_3) | instid1(VALU_DEP_1)
	v_mov_b32_e32 v14, v22
	v_cndmask_b32_e32 v34, 0x7f800000, v53, vcc_lo
	v_cmp_nlt_f32_e32 vcc_lo, 0x42b17218, v35
	v_cndmask_b32_e32 v23, 0x7f800000, v54, vcc_lo
	v_fmac_f32_e32 v23, v15, v34
	v_cvt_f16_f32_e32 v13, v32
	v_cvt_f16_f32_e32 v15, v34
	s_delay_alu instid0(VALU_DEP_2) | instskip(NEXT) | instid1(VALU_DEP_2)
	v_pk_mul_f16 v45, v45, v13 op_sel_hi:[1,0]
	v_pk_mul_f16 v43, v43, v15 op_sel_hi:[1,0]
	v_mov_b32_e32 v13, v21
	v_mov_b32_e32 v15, v23
	s_mov_b32 s2, exec_lo
	v_cmpx_gt_i32_e64 s62, v25
	s_cbranch_execnz .LBB5_15
.LBB5_13:
	s_nop 0
	s_sendmsg sendmsg(MSG_DEALLOC_VGPRS)
	s_endpgm
.LBB5_14:
	s_delay_alu instid0(VALU_DEP_1)
	v_dual_mov_b32 v23, v15 :: v_dual_mov_b32 v22, v14
	v_dual_mov_b32 v21, v13 :: v_dual_mov_b32 v20, v12
	;; [unrolled: 1-line block ×4, first 2 shown]
	s_mov_b32 s2, exec_lo
	v_cmpx_gt_i32_e64 s62, v25
	s_cbranch_execz .LBB5_13
.LBB5_15:
	s_load_b32 s1, s[0:1], 0xd4
	v_mov_b32_e32 v28, 1.0
	s_waitcnt lgkmcnt(0)
	s_cmp_lg_u32 s1, 1
	s_cselect_b32 s3, -1, 0
	s_cmp_eq_u32 s1, 1
	s_cselect_b32 s2, -1, 0
	s_and_b32 vcc_lo, exec_lo, s3
	s_cbranch_vccnz .LBB5_17
; %bb.16:
	v_div_scale_f32 v26, null, v8, v8, 1.0
	s_delay_alu instid0(VALU_DEP_1) | instskip(SKIP_2) | instid1(VALU_DEP_1)
	v_rcp_f32_e32 v28, v26
	s_waitcnt_depctr 0xfff
	v_fma_f32 v29, -v26, v28, 1.0
	v_fmac_f32_e32 v28, v29, v28
	v_div_scale_f32 v29, vcc_lo, 1.0, v8, 1.0
	s_delay_alu instid0(VALU_DEP_1) | instskip(NEXT) | instid1(VALU_DEP_1)
	v_mul_f32_e32 v30, v29, v28
	v_fma_f32 v31, -v26, v30, v29
	s_delay_alu instid0(VALU_DEP_1) | instskip(NEXT) | instid1(VALU_DEP_1)
	v_fmac_f32_e32 v30, v31, v28
	v_fma_f32 v26, -v26, v30, v29
	s_delay_alu instid0(VALU_DEP_1) | instskip(NEXT) | instid1(VALU_DEP_1)
	v_div_fmas_f32 v26, v26, v28, v30
	v_div_fixup_f32 v28, v26, v8, 1.0
.LBB5_17:
	v_mad_u64_u32 v[29:30], null, s70, s62, v[25:26]
	v_lshrrev_b32_e32 v8, 16, v78
	v_cmp_eq_u32_e32 vcc_lo, 0, v24
	s_delay_alu instid0(VALU_DEP_2) | instskip(NEXT) | instid1(VALU_DEP_4)
	v_cvt_f32_f16_e32 v8, v8
	v_mad_u64_u32 v[30:31], null, v29, s63, s[64:65]
	s_delay_alu instid0(VALU_DEP_2) | instskip(NEXT) | instid1(VALU_DEP_2)
	v_mul_f32_e32 v32, v28, v8
	v_mad_u64_u32 v[25:26], null, s1, v30, s[14:15]
	v_cvt_f32_f16_e32 v26, v78
	s_delay_alu instid0(VALU_DEP_1) | instskip(NEXT) | instid1(VALU_DEP_3)
	v_dual_mov_b32 v30, 0 :: v_dual_mul_f32 v31, v28, v26
	v_lshl_add_u32 v29, v25, 6, v27
	s_delay_alu instid0(VALU_DEP_1) | instskip(NEXT) | instid1(VALU_DEP_1)
	v_lshlrev_b64 v[29:30], 2, v[29:30]
	v_add_co_u32 v28, s0, s56, v29
	s_delay_alu instid0(VALU_DEP_1)
	v_add_co_ci_u32_e64 v29, s0, s57, v30, s0
	s_and_b32 s0, vcc_lo, s3
	global_store_b64 v[28:29], v[31:32], off
	s_and_saveexec_b32 s3, s0
	s_cbranch_execz .LBB5_19
; %bb.18:
	v_ashrrev_i32_e32 v26, 31, v25
	v_mov_b32_e32 v30, v0
	v_mov_b32_e32 v31, v16
	s_delay_alu instid0(VALU_DEP_3) | instskip(NEXT) | instid1(VALU_DEP_1)
	v_lshlrev_b64 v[28:29], 3, v[25:26]
	v_add_co_u32 v28, vcc_lo, s58, v28
	s_delay_alu instid0(VALU_DEP_2)
	v_add_co_ci_u32_e32 v29, vcc_lo, s59, v29, vcc_lo
	global_store_b64 v[28:29], v[30:31], off
.LBB5_19:
	s_or_b32 exec_lo, exec_lo, s3
	v_cndmask_b32_e64 v24, 0, 1, s2
	v_mov_b32_e32 v0, 1.0
	s_and_not1_b32 vcc_lo, exec_lo, s2
	s_cbranch_vccnz .LBB5_21
; %bb.20:
	v_div_scale_f32 v0, null, v9, v9, 1.0
	s_delay_alu instid0(VALU_DEP_1) | instskip(SKIP_2) | instid1(VALU_DEP_1)
	v_rcp_f32_e32 v8, v0
	s_waitcnt_depctr 0xfff
	v_fma_f32 v16, -v0, v8, 1.0
	v_fmac_f32_e32 v8, v16, v8
	v_div_scale_f32 v16, vcc_lo, 1.0, v9, 1.0
	s_delay_alu instid0(VALU_DEP_1) | instskip(NEXT) | instid1(VALU_DEP_1)
	v_mul_f32_e32 v26, v16, v8
	v_fma_f32 v28, -v0, v26, v16
	s_delay_alu instid0(VALU_DEP_1) | instskip(NEXT) | instid1(VALU_DEP_1)
	v_fmac_f32_e32 v26, v28, v8
	v_fma_f32 v0, -v0, v26, v16
	s_delay_alu instid0(VALU_DEP_1) | instskip(NEXT) | instid1(VALU_DEP_1)
	v_div_fmas_f32 v0, v0, v8, v26
	v_div_fixup_f32 v0, v0, v9, 1.0
.LBB5_21:
	v_add_nc_u32_e32 v8, s1, v25
	v_lshrrev_b32_e32 v9, 16, v77
	v_cvt_f32_f16_e32 v16, v77
	s_delay_alu instid0(VALU_DEP_3) | instskip(NEXT) | instid1(VALU_DEP_3)
	v_lshl_add_u32 v25, v8, 6, v27
	v_cvt_f32_f16_e32 v9, v9
	v_mov_b32_e32 v26, 0
	s_delay_alu instid0(VALU_DEP_4) | instskip(NEXT) | instid1(VALU_DEP_3)
	v_mul_f32_e32 v28, v0, v16
	v_mul_f32_e32 v29, v0, v9
	s_delay_alu instid0(VALU_DEP_3) | instskip(NEXT) | instid1(VALU_DEP_1)
	v_lshlrev_b64 v[25:26], 2, v[25:26]
	v_add_co_u32 v25, vcc_lo, s56, v25
	s_delay_alu instid0(VALU_DEP_2)
	v_add_co_ci_u32_e32 v26, vcc_lo, s57, v26, vcc_lo
	global_store_b64 v[25:26], v[28:29], off
	s_and_saveexec_b32 s2, s0
	s_cbranch_execz .LBB5_23
; %bb.22:
	v_ashrrev_i32_e32 v9, 31, v8
	v_mov_b32_e32 v16, v1
	s_delay_alu instid0(VALU_DEP_2) | instskip(NEXT) | instid1(VALU_DEP_1)
	v_lshlrev_b64 v[25:26], 3, v[8:9]
	v_add_co_u32 v25, vcc_lo, s58, v25
	s_delay_alu instid0(VALU_DEP_2)
	v_add_co_ci_u32_e32 v26, vcc_lo, s59, v26, vcc_lo
	global_store_b64 v[25:26], v[16:17], off
.LBB5_23:
	s_or_b32 exec_lo, exec_lo, s2
	v_cmp_ne_u32_e32 vcc_lo, 1, v24
	v_mov_b32_e32 v1, 1.0
	s_cbranch_vccnz .LBB5_25
; %bb.24:
	v_div_scale_f32 v0, null, v10, v10, 1.0
	s_delay_alu instid0(VALU_DEP_1) | instskip(SKIP_2) | instid1(VALU_DEP_1)
	v_rcp_f32_e32 v1, v0
	s_waitcnt_depctr 0xfff
	v_fma_f32 v9, -v0, v1, 1.0
	v_fmac_f32_e32 v1, v9, v1
	v_div_scale_f32 v9, vcc_lo, 1.0, v10, 1.0
	s_delay_alu instid0(VALU_DEP_1) | instskip(NEXT) | instid1(VALU_DEP_1)
	v_mul_f32_e32 v16, v9, v1
	v_fma_f32 v17, -v0, v16, v9
	s_delay_alu instid0(VALU_DEP_1) | instskip(NEXT) | instid1(VALU_DEP_1)
	v_fmac_f32_e32 v16, v17, v1
	v_fma_f32 v0, -v0, v16, v9
	s_delay_alu instid0(VALU_DEP_1) | instskip(NEXT) | instid1(VALU_DEP_1)
	v_div_fmas_f32 v0, v0, v1, v16
	v_div_fixup_f32 v1, v0, v10, 1.0
.LBB5_25:
	v_dual_mov_b32 v9, 0 :: v_dual_add_nc_u32 v0, s1, v8
	v_lshrrev_b32_e32 v10, 16, v76
	v_cvt_f32_f16_e32 v16, v76
	s_delay_alu instid0(VALU_DEP_3) | instskip(NEXT) | instid1(VALU_DEP_3)
	v_lshl_add_u32 v8, v0, 6, v27
	v_cvt_f32_f16_e32 v10, v10
	s_delay_alu instid0(VALU_DEP_3) | instskip(NEXT) | instid1(VALU_DEP_3)
	v_mul_f32_e32 v16, v1, v16
	v_lshlrev_b64 v[8:9], 2, v[8:9]
	s_delay_alu instid0(VALU_DEP_3) | instskip(NEXT) | instid1(VALU_DEP_2)
	v_mul_f32_e32 v17, v1, v10
	v_add_co_u32 v8, vcc_lo, s56, v8
	s_delay_alu instid0(VALU_DEP_3)
	v_add_co_ci_u32_e32 v9, vcc_lo, s57, v9, vcc_lo
	global_store_b64 v[8:9], v[16:17], off
	s_and_saveexec_b32 s2, s0
	s_cbranch_execz .LBB5_27
; %bb.26:
	v_ashrrev_i32_e32 v1, 31, v0
	v_mov_b32_e32 v17, v2
	s_delay_alu instid0(VALU_DEP_2) | instskip(NEXT) | instid1(VALU_DEP_1)
	v_lshlrev_b64 v[8:9], 3, v[0:1]
	v_add_co_u32 v8, vcc_lo, s58, v8
	s_delay_alu instid0(VALU_DEP_2)
	v_add_co_ci_u32_e32 v9, vcc_lo, s59, v9, vcc_lo
	global_store_b64 v[8:9], v[17:18], off
.LBB5_27:
	s_or_b32 exec_lo, exec_lo, s2
	v_cmp_ne_u32_e32 vcc_lo, 1, v24
	v_mov_b32_e32 v1, 1.0
	s_cbranch_vccnz .LBB5_29
; %bb.28:
	v_div_scale_f32 v1, null, v11, v11, 1.0
	s_delay_alu instid0(VALU_DEP_1) | instskip(SKIP_2) | instid1(VALU_DEP_1)
	v_rcp_f32_e32 v2, v1
	s_waitcnt_depctr 0xfff
	v_fma_f32 v8, -v1, v2, 1.0
	v_fmac_f32_e32 v2, v8, v2
	v_div_scale_f32 v8, vcc_lo, 1.0, v11, 1.0
	s_delay_alu instid0(VALU_DEP_1) | instskip(NEXT) | instid1(VALU_DEP_1)
	v_mul_f32_e32 v9, v8, v2
	v_fma_f32 v10, -v1, v9, v8
	s_delay_alu instid0(VALU_DEP_1) | instskip(NEXT) | instid1(VALU_DEP_1)
	v_fmac_f32_e32 v9, v10, v2
	v_fma_f32 v1, -v1, v9, v8
	s_delay_alu instid0(VALU_DEP_1) | instskip(NEXT) | instid1(VALU_DEP_1)
	v_div_fmas_f32 v1, v1, v2, v9
	v_div_fixup_f32 v1, v1, v11, 1.0
.LBB5_29:
	v_dual_mov_b32 v9, 0 :: v_dual_add_nc_u32 v0, s1, v0
	v_lshrrev_b32_e32 v2, 16, v75
	v_cvt_f32_f16_e32 v10, v75
	s_delay_alu instid0(VALU_DEP_3) | instskip(NEXT) | instid1(VALU_DEP_3)
	v_lshl_add_u32 v8, v0, 6, v27
	v_cvt_f32_f16_e32 v2, v2
	s_delay_alu instid0(VALU_DEP_3) | instskip(NEXT) | instid1(VALU_DEP_3)
	v_mul_f32_e32 v10, v1, v10
	v_lshlrev_b64 v[8:9], 2, v[8:9]
	s_delay_alu instid0(VALU_DEP_3) | instskip(NEXT) | instid1(VALU_DEP_2)
	v_mul_f32_e32 v11, v1, v2
	v_add_co_u32 v1, vcc_lo, s56, v8
	s_delay_alu instid0(VALU_DEP_3)
	;; [unrolled: 49-line block ×6, first 2 shown]
	v_add_co_ci_u32_e32 v2, vcc_lo, s57, v3, vcc_lo
	global_store_b64 v[1:2], v[4:5], off
	s_and_b32 exec_lo, exec_lo, s0
	s_cbranch_execz .LBB5_13
; %bb.46:
	v_ashrrev_i32_e32 v1, 31, v0
	v_mov_b32_e32 v22, v7
	s_delay_alu instid0(VALU_DEP_2) | instskip(NEXT) | instid1(VALU_DEP_1)
	v_lshlrev_b64 v[0:1], 3, v[0:1]
	v_add_co_u32 v0, vcc_lo, s58, v0
	s_delay_alu instid0(VALU_DEP_2)
	v_add_co_ci_u32_e32 v1, vcc_lo, s59, v1, vcc_lo
	global_store_b64 v[0:1], v[22:23], off
	s_nop 0
	s_sendmsg sendmsg(MSG_DEALLOC_VGPRS)
	s_endpgm
	.section	.rodata,"a",@progbits
	.p2align	6, 0x0
	.amdhsa_kernel _ZL15flash_attn_tileILi64ELi64ELi4ELi8ELb0EEvPKcS1_S1_S1_S1_PKiPfP15HIP_vector_typeIfLj2EEffffjfiS5_IjLj3EEiiiiiiiiiiiliiliiiiil
		.amdhsa_group_segment_fixed_size 17408
		.amdhsa_private_segment_fixed_size 0
		.amdhsa_kernarg_size 464
		.amdhsa_user_sgpr_count 13
		.amdhsa_user_sgpr_dispatch_ptr 0
		.amdhsa_user_sgpr_queue_ptr 0
		.amdhsa_user_sgpr_kernarg_segment_ptr 1
		.amdhsa_user_sgpr_dispatch_id 0
		.amdhsa_user_sgpr_private_segment_size 0
		.amdhsa_wavefront_size32 1
		.amdhsa_uses_dynamic_stack 0
		.amdhsa_enable_private_segment 0
		.amdhsa_system_sgpr_workgroup_id_x 1
		.amdhsa_system_sgpr_workgroup_id_y 1
		.amdhsa_system_sgpr_workgroup_id_z 1
		.amdhsa_system_sgpr_workgroup_info 0
		.amdhsa_system_vgpr_workitem_id 1
		.amdhsa_next_free_vgpr 210
		.amdhsa_next_free_sgpr 73
		.amdhsa_reserve_vcc 1
		.amdhsa_float_round_mode_32 0
		.amdhsa_float_round_mode_16_64 0
		.amdhsa_float_denorm_mode_32 3
		.amdhsa_float_denorm_mode_16_64 3
		.amdhsa_dx10_clamp 1
		.amdhsa_ieee_mode 1
		.amdhsa_fp16_overflow 0
		.amdhsa_workgroup_processor_mode 1
		.amdhsa_memory_ordered 1
		.amdhsa_forward_progress 0
		.amdhsa_shared_vgpr_count 0
		.amdhsa_exception_fp_ieee_invalid_op 0
		.amdhsa_exception_fp_denorm_src 0
		.amdhsa_exception_fp_ieee_div_zero 0
		.amdhsa_exception_fp_ieee_overflow 0
		.amdhsa_exception_fp_ieee_underflow 0
		.amdhsa_exception_fp_ieee_inexact 0
		.amdhsa_exception_int_div_zero 0
	.end_amdhsa_kernel
	.section	.text._ZL15flash_attn_tileILi64ELi64ELi4ELi8ELb0EEvPKcS1_S1_S1_S1_PKiPfP15HIP_vector_typeIfLj2EEffffjfiS5_IjLj3EEiiiiiiiiiiiliiliiiiil,"axG",@progbits,_ZL15flash_attn_tileILi64ELi64ELi4ELi8ELb0EEvPKcS1_S1_S1_S1_PKiPfP15HIP_vector_typeIfLj2EEffffjfiS5_IjLj3EEiiiiiiiiiiiliiliiiiil,comdat
.Lfunc_end5:
	.size	_ZL15flash_attn_tileILi64ELi64ELi4ELi8ELb0EEvPKcS1_S1_S1_S1_PKiPfP15HIP_vector_typeIfLj2EEffffjfiS5_IjLj3EEiiiiiiiiiiiliiliiiiil, .Lfunc_end5-_ZL15flash_attn_tileILi64ELi64ELi4ELi8ELb0EEvPKcS1_S1_S1_S1_PKiPfP15HIP_vector_typeIfLj2EEffffjfiS5_IjLj3EEiiiiiiiiiiiliiliiiiil
                                        ; -- End function
	.section	.AMDGPU.csdata,"",@progbits
; Kernel info:
; codeLenInByte = 27668
; NumSgprs: 75
; NumVgprs: 210
; ScratchSize: 0
; MemoryBound: 0
; FloatMode: 240
; IeeeMode: 1
; LDSByteSize: 17408 bytes/workgroup (compile time only)
; SGPRBlocks: 9
; VGPRBlocks: 26
; NumSGPRsForWavesPerEU: 75
; NumVGPRsForWavesPerEU: 210
; Occupancy: 7
; WaveLimiterHint : 1
; COMPUTE_PGM_RSRC2:SCRATCH_EN: 0
; COMPUTE_PGM_RSRC2:USER_SGPR: 13
; COMPUTE_PGM_RSRC2:TRAP_HANDLER: 0
; COMPUTE_PGM_RSRC2:TGID_X_EN: 1
; COMPUTE_PGM_RSRC2:TGID_Y_EN: 1
; COMPUTE_PGM_RSRC2:TGID_Z_EN: 1
; COMPUTE_PGM_RSRC2:TIDIG_COMP_CNT: 1
	.section	.text._ZL25flash_attn_mask_to_KV_maxILi4EEvPK7__half2Piiii,"axG",@progbits,_ZL25flash_attn_mask_to_KV_maxILi4EEvPK7__half2Piiii,comdat
	.globl	_ZL25flash_attn_mask_to_KV_maxILi4EEvPK7__half2Piiii ; -- Begin function _ZL25flash_attn_mask_to_KV_maxILi4EEvPK7__half2Piiii
	.p2align	8
	.type	_ZL25flash_attn_mask_to_KV_maxILi4EEvPK7__half2Piiii,@function
_ZL25flash_attn_mask_to_KV_maxILi4EEvPK7__half2Piiii: ; @_ZL25flash_attn_mask_to_KV_maxILi4EEvPK7__half2Piiii
; %bb.0:
	s_load_b128 s[4:7], s[0:1], 0x0
	s_mov_b32 s2, exec_lo
	v_cmpx_gt_u32_e32 32, v0
	s_cbranch_execz .LBB6_2
; %bb.1:
	v_dual_mov_b32 v2, 1 :: v_dual_lshlrev_b32 v1, 2, v0
	ds_store_b32 v1, v2
.LBB6_2:
	s_or_b32 exec_lo, exec_lo, s2
	s_clause 0x1
	s_load_b128 s[8:11], s[0:1], 0x10
	s_load_b32 s1, s[0:1], 0x20
	v_dual_mov_b32 v2, 0 :: v_dual_and_b32 v1, 31, v0
	v_lshrrev_b32_e32 v5, 3, v0
	s_waitcnt lgkmcnt(0)
	s_barrier
	s_delay_alu instid0(VALU_DEP_2) | instskip(SKIP_4) | instid1(SALU_CYCLE_1)
	v_lshlrev_b32_e32 v6, 2, v1
	buffer_gl0_inv
	s_mul_i32 s0, s14, s9
	s_mul_i32 s2, s15, s10
	s_lshl_b32 s0, s0, 2
	s_add_i32 s2, s2, s0
	v_cmp_eq_u32_e64 s0, 0, v1
	s_ashr_i32 s3, s2, 31
	s_delay_alu instid0(SALU_CYCLE_1) | instskip(NEXT) | instid1(SALU_CYCLE_1)
	s_lshl_b64 s[10:11], s[2:3], 2
	s_add_u32 s3, s4, s10
	s_addc_u32 s4, s5, s11
	s_lshl_b32 s5, s8, 8
	s_branch .LBB6_4
.LBB6_3:                                ;   in Loop: Header=BB6_4 Depth=1
	s_or_b32 exec_lo, exec_lo, s10
	s_waitcnt lgkmcnt(0)
	s_barrier
	buffer_gl0_inv
	ds_load_b32 v1, v6
	s_waitcnt lgkmcnt(0)
	s_barrier
	buffer_gl0_inv
	;;#ASMSTART
	;;#ASMEND
	v_cmp_ne_u32_e32 vcc_lo, 0, v1
	s_cmp_lg_u32 vcc_lo, exec_lo
	s_cselect_b32 s8, -1, 0
	s_delay_alu instid0(SALU_CYCLE_1)
	s_and_b32 vcc_lo, exec_lo, s8
	s_cbranch_vccnz .LBB6_20
.LBB6_4:                                ; =>This Inner Loop Header: Depth=1
	s_mov_b32 s2, s5
	s_addk_i32 s5, 0xff00
	s_delay_alu instid0(SALU_CYCLE_1)
	s_cmp_lt_i32 s5, 0
	s_cbranch_scc1 .LBB6_19
; %bb.5:                                ;   in Loop: Header=BB6_4 Depth=1
	s_lshr_b32 s8, s5, 1
	s_mov_b32 s10, 0
	v_add_nc_u32_e32 v1, s8, v0
	s_delay_alu instid0(VALU_DEP_1) | instskip(NEXT) | instid1(VALU_DEP_1)
	v_lshlrev_b64 v[3:4], 2, v[1:2]
	v_add_co_u32 v3, vcc_lo, s3, v3
	s_delay_alu instid0(VALU_DEP_2) | instskip(SKIP_4) | instid1(VALU_DEP_2)
	v_add_co_ci_u32_e32 v4, vcc_lo, s4, v4, vcc_lo
	global_load_b32 v3, v[3:4], off
	s_waitcnt vmcnt(0)
	v_lshrrev_b32_e32 v4, 16, v3
	v_cmp_class_f16_e64 s8, v3, 0x204
	v_and_b32_e32 v4, 0x7fff, v4
	s_delay_alu instid0(VALU_DEP_1) | instskip(NEXT) | instid1(VALU_DEP_3)
	v_cmp_eq_f16_e32 vcc_lo, 0x7c00, v4
	s_and_b32 s11, s8, vcc_lo
	s_delay_alu instid0(SALU_CYCLE_1)
	s_and_saveexec_b32 s8, s11
	s_cbranch_execz .LBB6_17
; %bb.6:                                ;   in Loop: Header=BB6_4 Depth=1
	v_add_nc_u32_e32 v3, s9, v1
	s_mov_b32 s11, 0
	s_delay_alu instid0(VALU_DEP_1) | instskip(NEXT) | instid1(VALU_DEP_1)
	v_ashrrev_i32_e32 v4, 31, v3
	v_lshlrev_b64 v[7:8], 2, v[3:4]
	s_delay_alu instid0(VALU_DEP_1) | instskip(NEXT) | instid1(VALU_DEP_2)
	v_add_co_u32 v7, vcc_lo, s3, v7
	v_add_co_ci_u32_e32 v8, vcc_lo, s4, v8, vcc_lo
	global_load_b32 v1, v[7:8], off
	s_waitcnt vmcnt(0)
	v_cmp_class_f16_e64 s12, v1, 0x204
	s_delay_alu instid0(VALU_DEP_1)
	s_and_saveexec_b32 s10, s12
	s_cbranch_execz .LBB6_16
; %bb.7:                                ;   in Loop: Header=BB6_4 Depth=1
	v_lshrrev_b32_e32 v1, 16, v1
	s_mov_b32 s12, 0
	s_delay_alu instid0(VALU_DEP_1) | instskip(NEXT) | instid1(VALU_DEP_1)
	v_cmp_class_f16_e64 s13, v1, 0x204
	s_and_saveexec_b32 s11, s13
	s_cbranch_execz .LBB6_15
; %bb.8:                                ;   in Loop: Header=BB6_4 Depth=1
	v_add_nc_u32_e32 v3, s9, v3
	s_mov_b32 s13, 0
	s_delay_alu instid0(VALU_DEP_1) | instskip(NEXT) | instid1(VALU_DEP_1)
	v_ashrrev_i32_e32 v4, 31, v3
	v_lshlrev_b64 v[7:8], 2, v[3:4]
	s_delay_alu instid0(VALU_DEP_1) | instskip(NEXT) | instid1(VALU_DEP_2)
	v_add_co_u32 v7, vcc_lo, s3, v7
	v_add_co_ci_u32_e32 v8, vcc_lo, s4, v8, vcc_lo
	global_load_b32 v1, v[7:8], off
	s_waitcnt vmcnt(0)
	v_cmp_class_f16_e64 s16, v1, 0x204
	s_delay_alu instid0(VALU_DEP_1)
	s_and_saveexec_b32 s12, s16
	s_cbranch_execz .LBB6_14
; %bb.9:                                ;   in Loop: Header=BB6_4 Depth=1
	v_lshrrev_b32_e32 v1, 16, v1
	s_mov_b32 s16, 0
	s_delay_alu instid0(VALU_DEP_1) | instskip(NEXT) | instid1(VALU_DEP_1)
	v_cmp_class_f16_e64 s17, v1, 0x204
	s_and_saveexec_b32 s13, s17
	s_cbranch_execz .LBB6_13
; %bb.10:                               ;   in Loop: Header=BB6_4 Depth=1
	v_add_nc_u32_e32 v3, s9, v3
	s_delay_alu instid0(VALU_DEP_1) | instskip(NEXT) | instid1(VALU_DEP_1)
	v_ashrrev_i32_e32 v4, 31, v3
	v_lshlrev_b64 v[3:4], 2, v[3:4]
	s_delay_alu instid0(VALU_DEP_1) | instskip(NEXT) | instid1(VALU_DEP_2)
	v_add_co_u32 v3, vcc_lo, s3, v3
	v_add_co_ci_u32_e32 v4, vcc_lo, s4, v4, vcc_lo
	global_load_b32 v1, v[3:4], off
	s_waitcnt vmcnt(0)
	v_cmp_class_f16_e64 s18, v1, 0x204
	s_delay_alu instid0(VALU_DEP_1)
	s_and_saveexec_b32 s17, s18
; %bb.11:                               ;   in Loop: Header=BB6_4 Depth=1
	v_lshrrev_b32_e32 v1, 16, v1
	s_delay_alu instid0(VALU_DEP_1) | instskip(NEXT) | instid1(VALU_DEP_1)
	v_cmp_class_f16_e64 s16, v1, 0x204
	s_and_b32 s16, s16, exec_lo
; %bb.12:                               ;   in Loop: Header=BB6_4 Depth=1
	s_or_b32 exec_lo, exec_lo, s17
	s_delay_alu instid0(SALU_CYCLE_1)
	s_and_b32 s16, s16, exec_lo
.LBB6_13:                               ;   in Loop: Header=BB6_4 Depth=1
	s_or_b32 exec_lo, exec_lo, s13
	s_delay_alu instid0(SALU_CYCLE_1)
	s_and_b32 s13, s16, exec_lo
.LBB6_14:                               ;   in Loop: Header=BB6_4 Depth=1
	s_or_b32 exec_lo, exec_lo, s12
	s_delay_alu instid0(SALU_CYCLE_1)
	s_and_b32 s12, s13, exec_lo
.LBB6_15:                               ;   in Loop: Header=BB6_4 Depth=1
	s_or_b32 exec_lo, exec_lo, s11
	s_delay_alu instid0(SALU_CYCLE_1)
	s_and_b32 s11, s12, exec_lo
.LBB6_16:                               ;   in Loop: Header=BB6_4 Depth=1
	s_or_b32 exec_lo, exec_lo, s10
	s_delay_alu instid0(SALU_CYCLE_1)
	s_and_b32 s10, s11, exec_lo
.LBB6_17:                               ;   in Loop: Header=BB6_4 Depth=1
	s_or_b32 exec_lo, exec_lo, s8
	v_cndmask_b32_e64 v1, 0, 1, s10
	;;#ASMSTART
	;;#ASMEND
	s_delay_alu instid0(VALU_DEP_1)
	v_cmp_ne_u32_e32 vcc_lo, 0, v1
	s_mov_b32 s8, exec_lo
	s_and_saveexec_b32 s10, s0
	s_cbranch_execz .LBB6_3
; %bb.18:                               ;   in Loop: Header=BB6_4 Depth=1
	s_cmp_eq_u32 vcc_lo, s8
	s_cselect_b32 s8, -1, 0
	s_delay_alu instid0(SALU_CYCLE_1)
	v_cndmask_b32_e64 v1, 0, 1, s8
	ds_store_b32 v5, v1
	s_branch .LBB6_3
.LBB6_19:                               ;   in Loop: Header=BB6_4 Depth=1
                                        ; implicit-def: $sgpr5
	s_cbranch_execz .LBB6_4
.LBB6_20:
	s_mov_b32 s0, exec_lo
	v_cmpx_eq_u32_e32 0, v0
	s_cbranch_execz .LBB6_22
; %bb.21:
	s_mul_i32 s0, s1, s15
	v_dual_mov_b32 v0, 0 :: v_dual_mov_b32 v1, s2
	s_add_i32 s0, s0, s14
	s_delay_alu instid0(SALU_CYCLE_1) | instskip(NEXT) | instid1(SALU_CYCLE_1)
	s_ashr_i32 s1, s0, 31
	s_lshl_b64 s[0:1], s[0:1], 2
	s_delay_alu instid0(SALU_CYCLE_1)
	s_add_u32 s0, s6, s0
	s_addc_u32 s1, s7, s1
	global_store_b32 v0, v1, s[0:1]
.LBB6_22:
	s_nop 0
	s_sendmsg sendmsg(MSG_DEALLOC_VGPRS)
	s_endpgm
	.section	.rodata,"a",@progbits
	.p2align	6, 0x0
	.amdhsa_kernel _ZL25flash_attn_mask_to_KV_maxILi4EEvPK7__half2Piiii
		.amdhsa_group_segment_fixed_size 128
		.amdhsa_private_segment_fixed_size 0
		.amdhsa_kernarg_size 288
		.amdhsa_user_sgpr_count 14
		.amdhsa_user_sgpr_dispatch_ptr 0
		.amdhsa_user_sgpr_queue_ptr 0
		.amdhsa_user_sgpr_kernarg_segment_ptr 1
		.amdhsa_user_sgpr_dispatch_id 0
		.amdhsa_user_sgpr_private_segment_size 0
		.amdhsa_wavefront_size32 1
		.amdhsa_uses_dynamic_stack 0
		.amdhsa_enable_private_segment 0
		.amdhsa_system_sgpr_workgroup_id_x 1
		.amdhsa_system_sgpr_workgroup_id_y 1
		.amdhsa_system_sgpr_workgroup_id_z 0
		.amdhsa_system_sgpr_workgroup_info 0
		.amdhsa_system_vgpr_workitem_id 0
		.amdhsa_next_free_vgpr 9
		.amdhsa_next_free_sgpr 19
		.amdhsa_reserve_vcc 1
		.amdhsa_float_round_mode_32 0
		.amdhsa_float_round_mode_16_64 0
		.amdhsa_float_denorm_mode_32 3
		.amdhsa_float_denorm_mode_16_64 3
		.amdhsa_dx10_clamp 1
		.amdhsa_ieee_mode 1
		.amdhsa_fp16_overflow 0
		.amdhsa_workgroup_processor_mode 1
		.amdhsa_memory_ordered 1
		.amdhsa_forward_progress 0
		.amdhsa_shared_vgpr_count 0
		.amdhsa_exception_fp_ieee_invalid_op 0
		.amdhsa_exception_fp_denorm_src 0
		.amdhsa_exception_fp_ieee_div_zero 0
		.amdhsa_exception_fp_ieee_overflow 0
		.amdhsa_exception_fp_ieee_underflow 0
		.amdhsa_exception_fp_ieee_inexact 0
		.amdhsa_exception_int_div_zero 0
	.end_amdhsa_kernel
	.section	.text._ZL25flash_attn_mask_to_KV_maxILi4EEvPK7__half2Piiii,"axG",@progbits,_ZL25flash_attn_mask_to_KV_maxILi4EEvPK7__half2Piiii,comdat
.Lfunc_end6:
	.size	_ZL25flash_attn_mask_to_KV_maxILi4EEvPK7__half2Piiii, .Lfunc_end6-_ZL25flash_attn_mask_to_KV_maxILi4EEvPK7__half2Piiii
                                        ; -- End function
	.section	.AMDGPU.csdata,"",@progbits
; Kernel info:
; codeLenInByte = 848
; NumSgprs: 21
; NumVgprs: 9
; ScratchSize: 0
; MemoryBound: 0
; FloatMode: 240
; IeeeMode: 1
; LDSByteSize: 128 bytes/workgroup (compile time only)
; SGPRBlocks: 2
; VGPRBlocks: 1
; NumSGPRsForWavesPerEU: 21
; NumVGPRsForWavesPerEU: 9
; Occupancy: 16
; WaveLimiterHint : 0
; COMPUTE_PGM_RSRC2:SCRATCH_EN: 0
; COMPUTE_PGM_RSRC2:USER_SGPR: 14
; COMPUTE_PGM_RSRC2:TRAP_HANDLER: 0
; COMPUTE_PGM_RSRC2:TGID_X_EN: 1
; COMPUTE_PGM_RSRC2:TGID_Y_EN: 1
; COMPUTE_PGM_RSRC2:TGID_Z_EN: 0
; COMPUTE_PGM_RSRC2:TIDIG_COMP_CNT: 0
	.section	.text._ZL33flash_attn_stream_k_fixup_uniformILi64ELi4ELi8EEvPfPK15HIP_vector_typeIfLj2EEiiiiiiS1_IjLj3EES5_S5_,"axG",@progbits,_ZL33flash_attn_stream_k_fixup_uniformILi64ELi4ELi8EEvPfPK15HIP_vector_typeIfLj2EEiiiiiiS1_IjLj3EES5_S5_,comdat
	.globl	_ZL33flash_attn_stream_k_fixup_uniformILi64ELi4ELi8EEvPfPK15HIP_vector_typeIfLj2EEiiiiiiS1_IjLj3EES5_S5_ ; -- Begin function _ZL33flash_attn_stream_k_fixup_uniformILi64ELi4ELi8EEvPfPK15HIP_vector_typeIfLj2EEiiiiiiS1_IjLj3EES5_S5_
	.p2align	8
	.type	_ZL33flash_attn_stream_k_fixup_uniformILi64ELi4ELi8EEvPfPK15HIP_vector_typeIfLj2EEiiiiiiS1_IjLj3EES5_S5_,@function
_ZL33flash_attn_stream_k_fixup_uniformILi64ELi4ELi8EEvPfPK15HIP_vector_typeIfLj2EEiiiiiiS1_IjLj3EES5_S5_: ; @_ZL33flash_attn_stream_k_fixup_uniformILi64ELi4ELi8EEvPfPK15HIP_vector_typeIfLj2EEiiiiiiS1_IjLj3EES5_S5_
; %bb.0:
	s_clause 0x1
	s_load_b256 s[4:11], s[0:1], 0x1c
	s_load_b128 s[16:19], s[0:1], 0x3c
	s_waitcnt lgkmcnt(0)
	s_mul_hi_u32 s2, s7, s13
	s_delay_alu instid0(SALU_CYCLE_1) | instskip(NEXT) | instid1(SALU_CYCLE_1)
	s_add_i32 s2, s13, s2
	s_lshr_b32 s2, s2, s8
	s_delay_alu instid0(SALU_CYCLE_1) | instskip(SKIP_2) | instid1(SALU_CYCLE_1)
	s_mul_i32 s3, s2, s9
	s_load_b64 s[8:9], s[0:1], 0x10
	s_sub_i32 s7, s13, s3
	s_mul_hi_u32 s3, s7, s10
	s_delay_alu instid0(SALU_CYCLE_1) | instskip(NEXT) | instid1(SALU_CYCLE_1)
	s_add_i32 s3, s7, s3
	s_lshr_b32 s3, s3, s11
	s_delay_alu instid0(SALU_CYCLE_1) | instskip(NEXT) | instid1(SALU_CYCLE_1)
	s_mul_i32 s10, s3, s16
	s_sub_i32 s7, s7, s10
	s_delay_alu instid0(SALU_CYCLE_1) | instskip(NEXT) | instid1(SALU_CYCLE_1)
	s_mul_hi_u32 s10, s7, s17
	s_add_i32 s10, s7, s10
	s_delay_alu instid0(SALU_CYCLE_1) | instskip(NEXT) | instid1(SALU_CYCLE_1)
	s_lshr_b32 s10, s10, s18
	s_mul_i32 s11, s10, s19
	s_lshl_b32 s10, s10, 3
	s_sub_i32 s7, s7, s11
	s_delay_alu instid0(SALU_CYCLE_1) | instskip(NEXT) | instid1(SALU_CYCLE_1)
	s_lshl_b32 s11, s7, 2
	s_add_i32 s11, s11, s14
	s_waitcnt lgkmcnt(0)
	s_cmp_lt_i32 s11, s8
	s_cselect_b32 s11, -1, 0
	s_add_i32 s12, s10, s15
	s_delay_alu instid0(SALU_CYCLE_1) | instskip(SKIP_1) | instid1(SALU_CYCLE_1)
	s_cmp_lt_i32 s12, s5
	s_cselect_b32 s12, -1, 0
	s_and_b32 s11, s11, s12
	s_delay_alu instid0(SALU_CYCLE_1)
	s_and_not1_b32 vcc_lo, exec_lo, s11
	s_cbranch_vccnz .LBB7_6
; %bb.1:
	s_mul_i32 s2, s2, s8
	s_mul_i32 s5, s3, s5
	s_add_i32 s2, s2, s14
	s_mul_i32 s7, s9, s7
	s_mul_i32 s2, s2, s9
	s_lshl_b32 s7, s7, 8
	s_add_i32 s8, s2, s15
	s_load_b128 s[0:3], s[0:1], 0x0
	s_add_i32 s5, s8, s5
	s_lshl_b32 s9, s14, 3
	s_add_i32 s5, s5, s10
	s_delay_alu instid0(SALU_CYCLE_1) | instskip(NEXT) | instid1(SALU_CYCLE_1)
	s_lshl_b32 s5, s5, 6
	s_add_i32 s7, s7, s5
	s_mul_i32 s5, s13, s6
	v_or_b32_e32 v1, s7, v0
	s_add_i32 s10, s5, s6
	s_delay_alu instid0(VALU_DEP_1) | instskip(NEXT) | instid1(VALU_DEP_1)
	v_ashrrev_i32_e32 v2, 31, v1
	v_lshlrev_b64 v[1:2], 2, v[1:2]
	s_waitcnt lgkmcnt(0)
	s_delay_alu instid0(VALU_DEP_1) | instskip(NEXT) | instid1(VALU_DEP_2)
	v_add_co_u32 v1, vcc_lo, s0, v1
	v_add_co_ci_u32_e32 v2, vcc_lo, s1, v2, vcc_lo
	s_add_i32 s0, s9, s15
	s_lshl_b32 s1, s10, 5
	s_delay_alu instid0(SALU_CYCLE_1) | instskip(SKIP_2) | instid1(SALU_CYCLE_1)
	s_add_i32 s0, s0, s1
	global_load_b32 v5, v[1:2], off
	s_sub_i32 s0, s0, 32
	s_ashr_i32 s1, s0, 31
	s_delay_alu instid0(SALU_CYCLE_1) | instskip(NEXT) | instid1(SALU_CYCLE_1)
	s_lshl_b64 s[0:1], s[0:1], 3
	s_add_u32 s0, s2, s0
	s_addc_u32 s1, s3, s1
	s_add_i32 s7, s10, -2
	s_load_b32 s11, s[0:1], 0x4
	s_cmp_lt_i32 s7, s5
	s_cbranch_scc1 .LBB7_4
; %bb.2:
	s_lshl_b32 s16, s4, 7
	s_load_b32 s12, s[0:1], 0x0
	s_ashr_i32 s17, s16, 31
	s_delay_alu instid0(SALU_CYCLE_1) | instskip(NEXT) | instid1(SALU_CYCLE_1)
	s_lshl_b64 s[0:1], s[16:17], 2
	s_add_u32 s7, s2, s0
	s_addc_u32 s8, s3, s1
	s_add_i32 s13, s13, 1
	s_lshl_b32 s0, s14, 9
	s_lshl_b32 s1, s15, 6
	s_mul_i32 s6, s6, s13
	s_add_i32 s0, s1, s0
	s_lshl_b32 s1, s6, 11
	s_delay_alu instid0(SALU_CYCLE_1)
	s_add_i32 s0, s0, s1
	s_lshl_b32 s1, s6, 5
	v_or_b32_e32 v0, s0, v0
	s_lshl_b32 s0, s4, 5
	s_add_i32 s1, s15, s1
	s_waitcnt lgkmcnt(0)
	v_mov_b32_e32 v6, s11
	s_add_i32 s0, s1, s0
	v_dual_mov_b32 v0, s12 :: v_dual_add_nc_u32 v3, 0xfffff000, v0
	s_add_i32 s0, s0, s9
	s_add_i32 s4, s10, -1
	s_sub_i32 s0, s0, 64
.LBB7_3:                                ; =>This Inner Loop Header: Depth=1
	s_delay_alu instid0(VALU_DEP_1) | instskip(SKIP_1) | instid1(SALU_CYCLE_1)
	v_ashrrev_i32_e32 v4, 31, v3
	s_ashr_i32 s1, s0, 31
	s_lshl_b64 s[10:11], s[0:1], 3
	s_delay_alu instid0(SALU_CYCLE_1) | instskip(NEXT) | instid1(VALU_DEP_1)
	s_add_u32 s10, s2, s10
	v_lshlrev_b64 v[7:8], 2, v[3:4]
	s_addc_u32 s11, s3, s11
	s_add_i32 s4, s4, -1
	s_sub_i32 s0, s0, 32
	s_cmp_le_i32 s4, s5
	s_load_b64 s[10:11], s[10:11], 0x0
	v_add_co_u32 v7, vcc_lo, s7, v7
	v_add_co_ci_u32_e32 v8, vcc_lo, s8, v8, vcc_lo
	global_load_b32 v4, v[7:8], off
	v_max_f32_e32 v7, v0, v0
	s_waitcnt lgkmcnt(0)
	v_max_f32_e64 v8, s10, s10
	s_delay_alu instid0(VALU_DEP_1) | instskip(NEXT) | instid1(VALU_DEP_1)
	v_max_f32_e32 v7, v7, v8
	v_sub_f32_e32 v8, s10, v7
	s_delay_alu instid0(VALU_DEP_1) | instskip(NEXT) | instid1(VALU_DEP_1)
	v_dual_sub_f32 v0, v0, v7 :: v_dual_mul_f32 v9, 0x3fb8aa3b, v8
	v_fma_f32 v10, 0x3fb8aa3b, v8, -v9
	v_rndne_f32_e32 v11, v9
	s_delay_alu instid0(VALU_DEP_3) | instskip(NEXT) | instid1(VALU_DEP_2)
	v_mul_f32_e32 v12, 0x3fb8aa3b, v0
	v_dual_fmac_f32 v10, 0x32a5705f, v8 :: v_dual_sub_f32 v9, v9, v11
	v_cvt_i32_f32_e32 v11, v11
	s_delay_alu instid0(VALU_DEP_3) | instskip(SKIP_1) | instid1(VALU_DEP_4)
	v_fma_f32 v13, 0x3fb8aa3b, v0, -v12
	v_rndne_f32_e32 v14, v12
	v_add_f32_e32 v9, v9, v10
	v_cmp_ngt_f32_e32 vcc_lo, 0xc2ce8ed0, v8
	s_delay_alu instid0(VALU_DEP_3) | instskip(NEXT) | instid1(VALU_DEP_3)
	v_sub_f32_e32 v10, v12, v14
	v_exp_f32_e32 v9, v9
	s_waitcnt_depctr 0xfff
	v_ldexp_f32 v9, v9, v11
	v_cvt_i32_f32_e32 v11, v14
	s_delay_alu instid0(VALU_DEP_2) | instskip(SKIP_1) | instid1(VALU_DEP_2)
	v_cndmask_b32_e32 v9, 0, v9, vcc_lo
	v_cmp_nlt_f32_e32 vcc_lo, 0x42b17218, v8
	v_cndmask_b32_e32 v9, 0x7f800000, v9, vcc_lo
	v_cmp_ngt_f32_e32 vcc_lo, 0xc2ce8ed0, v0
	v_fmac_f32_e32 v13, 0x32a5705f, v0
	s_delay_alu instid0(VALU_DEP_1) | instskip(NEXT) | instid1(VALU_DEP_1)
	v_add_f32_e32 v10, v10, v13
	v_exp_f32_e32 v10, v10
	s_waitcnt_depctr 0xfff
	v_ldexp_f32 v10, v10, v11
	s_delay_alu instid0(VALU_DEP_1)
	v_dual_mov_b32 v11, v6 :: v_dual_cndmask_b32 v10, 0, v10
	v_cmp_le_f32_e32 vcc_lo, 0xc1a00000, v8
	s_waitcnt vmcnt(1)
	v_dual_cndmask_b32 v8, 0, v9 :: v_dual_mov_b32 v9, v5
	v_cmp_nlt_f32_e32 vcc_lo, 0x42b17218, v0
	v_cndmask_b32_e32 v5, 0x7f800000, v10, vcc_lo
	s_delay_alu instid0(VALU_DEP_3) | instskip(SKIP_2) | instid1(VALU_DEP_3)
	v_mul_f32_e32 v10, s11, v8
	v_cmp_le_f32_e32 vcc_lo, 0xc1a00000, v0
	v_mov_b32_e32 v0, v7
	v_mov_b32_e32 v6, v10
	s_waitcnt vmcnt(0)
	v_dual_cndmask_b32 v12, 0, v5 :: v_dual_mul_f32 v5, v4, v8
	s_delay_alu instid0(VALU_DEP_1) | instskip(NEXT) | instid1(VALU_DEP_2)
	v_dual_fmac_f32 v6, v11, v12 :: v_dual_add_nc_u32 v3, 0xfffff800, v3
	v_fmac_f32_e32 v5, v9, v12
	s_cbranch_scc0 .LBB7_3
	s_branch .LBB7_5
.LBB7_4:
	s_waitcnt lgkmcnt(0)
	v_mov_b32_e32 v6, s11
.LBB7_5:
	s_waitcnt vmcnt(0)
	s_delay_alu instid0(VALU_DEP_1) | instskip(NEXT) | instid1(VALU_DEP_1)
	v_div_scale_f32 v0, null, v6, v6, v5
	v_rcp_f32_e32 v3, v0
	s_waitcnt_depctr 0xfff
	v_fma_f32 v4, -v0, v3, 1.0
	s_delay_alu instid0(VALU_DEP_1) | instskip(SKIP_1) | instid1(VALU_DEP_1)
	v_fmac_f32_e32 v3, v4, v3
	v_div_scale_f32 v4, vcc_lo, v5, v6, v5
	v_mul_f32_e32 v7, v4, v3
	s_delay_alu instid0(VALU_DEP_1) | instskip(NEXT) | instid1(VALU_DEP_1)
	v_fma_f32 v8, -v0, v7, v4
	v_fmac_f32_e32 v7, v8, v3
	s_delay_alu instid0(VALU_DEP_1) | instskip(NEXT) | instid1(VALU_DEP_1)
	v_fma_f32 v0, -v0, v7, v4
	v_div_fmas_f32 v0, v0, v3, v7
	s_delay_alu instid0(VALU_DEP_1)
	v_div_fixup_f32 v0, v0, v6, v5
	global_store_b32 v[1:2], v0, off
.LBB7_6:
	s_nop 0
	s_sendmsg sendmsg(MSG_DEALLOC_VGPRS)
	s_endpgm
	.section	.rodata,"a",@progbits
	.p2align	6, 0x0
	.amdhsa_kernel _ZL33flash_attn_stream_k_fixup_uniformILi64ELi4ELi8EEvPfPK15HIP_vector_typeIfLj2EEiiiiiiS1_IjLj3EES5_S5_
		.amdhsa_group_segment_fixed_size 0
		.amdhsa_private_segment_fixed_size 0
		.amdhsa_kernarg_size 76
		.amdhsa_user_sgpr_count 13
		.amdhsa_user_sgpr_dispatch_ptr 0
		.amdhsa_user_sgpr_queue_ptr 0
		.amdhsa_user_sgpr_kernarg_segment_ptr 1
		.amdhsa_user_sgpr_dispatch_id 0
		.amdhsa_user_sgpr_private_segment_size 0
		.amdhsa_wavefront_size32 1
		.amdhsa_uses_dynamic_stack 0
		.amdhsa_enable_private_segment 0
		.amdhsa_system_sgpr_workgroup_id_x 1
		.amdhsa_system_sgpr_workgroup_id_y 1
		.amdhsa_system_sgpr_workgroup_id_z 1
		.amdhsa_system_sgpr_workgroup_info 0
		.amdhsa_system_vgpr_workitem_id 0
		.amdhsa_next_free_vgpr 15
		.amdhsa_next_free_sgpr 20
		.amdhsa_reserve_vcc 1
		.amdhsa_float_round_mode_32 0
		.amdhsa_float_round_mode_16_64 0
		.amdhsa_float_denorm_mode_32 3
		.amdhsa_float_denorm_mode_16_64 3
		.amdhsa_dx10_clamp 1
		.amdhsa_ieee_mode 1
		.amdhsa_fp16_overflow 0
		.amdhsa_workgroup_processor_mode 1
		.amdhsa_memory_ordered 1
		.amdhsa_forward_progress 0
		.amdhsa_shared_vgpr_count 0
		.amdhsa_exception_fp_ieee_invalid_op 0
		.amdhsa_exception_fp_denorm_src 0
		.amdhsa_exception_fp_ieee_div_zero 0
		.amdhsa_exception_fp_ieee_overflow 0
		.amdhsa_exception_fp_ieee_underflow 0
		.amdhsa_exception_fp_ieee_inexact 0
		.amdhsa_exception_int_div_zero 0
	.end_amdhsa_kernel
	.section	.text._ZL33flash_attn_stream_k_fixup_uniformILi64ELi4ELi8EEvPfPK15HIP_vector_typeIfLj2EEiiiiiiS1_IjLj3EES5_S5_,"axG",@progbits,_ZL33flash_attn_stream_k_fixup_uniformILi64ELi4ELi8EEvPfPK15HIP_vector_typeIfLj2EEiiiiiiS1_IjLj3EES5_S5_,comdat
.Lfunc_end7:
	.size	_ZL33flash_attn_stream_k_fixup_uniformILi64ELi4ELi8EEvPfPK15HIP_vector_typeIfLj2EEiiiiiiS1_IjLj3EES5_S5_, .Lfunc_end7-_ZL33flash_attn_stream_k_fixup_uniformILi64ELi4ELi8EEvPfPK15HIP_vector_typeIfLj2EEiiiiiiS1_IjLj3EES5_S5_
                                        ; -- End function
	.section	.AMDGPU.csdata,"",@progbits
; Kernel info:
; codeLenInByte = 996
; NumSgprs: 22
; NumVgprs: 15
; ScratchSize: 0
; MemoryBound: 0
; FloatMode: 240
; IeeeMode: 1
; LDSByteSize: 0 bytes/workgroup (compile time only)
; SGPRBlocks: 2
; VGPRBlocks: 1
; NumSGPRsForWavesPerEU: 22
; NumVGPRsForWavesPerEU: 15
; Occupancy: 16
; WaveLimiterHint : 0
; COMPUTE_PGM_RSRC2:SCRATCH_EN: 0
; COMPUTE_PGM_RSRC2:USER_SGPR: 13
; COMPUTE_PGM_RSRC2:TRAP_HANDLER: 0
; COMPUTE_PGM_RSRC2:TGID_X_EN: 1
; COMPUTE_PGM_RSRC2:TGID_Y_EN: 1
; COMPUTE_PGM_RSRC2:TGID_Z_EN: 1
; COMPUTE_PGM_RSRC2:TIDIG_COMP_CNT: 0
	.section	.text._ZL33flash_attn_stream_k_fixup_generalILi64ELi4ELi8EEvPfPK15HIP_vector_typeIfLj2EEiiiiS1_IjLj3EES5_S5_S5_,"axG",@progbits,_ZL33flash_attn_stream_k_fixup_generalILi64ELi4ELi8EEvPfPK15HIP_vector_typeIfLj2EEiiiiS1_IjLj3EES5_S5_S5_,comdat
	.globl	_ZL33flash_attn_stream_k_fixup_generalILi64ELi4ELi8EEvPfPK15HIP_vector_typeIfLj2EEiiiiS1_IjLj3EES5_S5_S5_ ; -- Begin function _ZL33flash_attn_stream_k_fixup_generalILi64ELi4ELi8EEvPfPK15HIP_vector_typeIfLj2EEiiiiS1_IjLj3EES5_S5_S5_
	.p2align	8
	.type	_ZL33flash_attn_stream_k_fixup_generalILi64ELi4ELi8EEvPfPK15HIP_vector_typeIfLj2EEiiiiS1_IjLj3EES5_S5_S5_,@function
_ZL33flash_attn_stream_k_fixup_generalILi64ELi4ELi8EEvPfPK15HIP_vector_typeIfLj2EEiiiiS1_IjLj3EES5_S5_S5_: ; @_ZL33flash_attn_stream_k_fixup_generalILi64ELi4ELi8EEvPfPK15HIP_vector_typeIfLj2EEiiiiS1_IjLj3EES5_S5_S5_
; %bb.0:
	s_clause 0x1
	s_load_b128 s[4:7], s[0:1], 0x10
	s_load_b32 s20, s[0:1], 0x50
	s_mov_b32 s2, 0
	s_waitcnt lgkmcnt(0)
	s_mul_hi_i32 s3, s7, s13
	s_mul_i32 s12, s7, s13
	s_cmp_lg_u64 s[2:3], 0
	s_cbranch_scc0 .LBB8_21
; %bb.1:
	v_cvt_f32_ubyte0_e32 v1, 0
	v_cvt_f32_u32_e32 v2, s20
	s_sub_u32 s10, 0, s20
	s_subb_u32 s11, 0, 0
	s_delay_alu instid0(VALU_DEP_1) | instskip(NEXT) | instid1(VALU_DEP_1)
	v_fmamk_f32 v1, v1, 0x4f800000, v2
	v_rcp_f32_e32 v1, v1
	s_waitcnt_depctr 0xfff
	v_mul_f32_e32 v1, 0x5f7ffffc, v1
	s_delay_alu instid0(VALU_DEP_1) | instskip(NEXT) | instid1(VALU_DEP_1)
	v_mul_f32_e32 v2, 0x2f800000, v1
	v_trunc_f32_e32 v2, v2
	s_delay_alu instid0(VALU_DEP_1) | instskip(SKIP_1) | instid1(VALU_DEP_2)
	v_fmamk_f32 v1, v2, 0xcf800000, v1
	v_cvt_u32_f32_e32 v2, v2
	v_cvt_u32_f32_e32 v1, v1
	s_delay_alu instid0(VALU_DEP_2) | instskip(NEXT) | instid1(VALU_DEP_2)
	v_readfirstlane_b32 s8, v2
	v_readfirstlane_b32 s9, v1
	s_delay_alu instid0(VALU_DEP_2) | instskip(NEXT) | instid1(VALU_DEP_1)
	s_mul_i32 s16, s10, s8
	s_mul_hi_u32 s18, s10, s9
	s_mul_i32 s17, s11, s9
	s_add_i32 s16, s18, s16
	s_mul_i32 s19, s10, s9
	s_add_i32 s16, s16, s17
	s_mul_hi_u32 s18, s9, s19
	s_mul_hi_u32 s21, s8, s19
	s_mul_i32 s17, s8, s19
	s_mul_hi_u32 s19, s9, s16
	s_mul_i32 s9, s9, s16
	s_mul_hi_u32 s22, s8, s16
	s_add_u32 s9, s18, s9
	s_addc_u32 s18, 0, s19
	s_add_u32 s9, s9, s17
	s_mul_i32 s16, s8, s16
	s_addc_u32 s9, s18, s21
	s_addc_u32 s17, s22, 0
	s_add_u32 s9, s9, s16
	s_addc_u32 s16, 0, s17
	v_add_co_u32 v1, s9, v1, s9
	s_delay_alu instid0(VALU_DEP_1) | instskip(SKIP_1) | instid1(VALU_DEP_1)
	s_cmp_lg_u32 s9, 0
	s_addc_u32 s8, s8, s16
	v_readfirstlane_b32 s9, v1
	s_mul_i32 s16, s10, s8
	s_delay_alu instid0(VALU_DEP_1)
	s_mul_hi_u32 s17, s10, s9
	s_mul_i32 s11, s11, s9
	s_add_i32 s16, s17, s16
	s_mul_i32 s10, s10, s9
	s_add_i32 s16, s16, s11
	s_mul_hi_u32 s17, s8, s10
	s_mul_i32 s18, s8, s10
	s_mul_hi_u32 s10, s9, s10
	s_mul_hi_u32 s19, s9, s16
	s_mul_i32 s9, s9, s16
	s_mul_hi_u32 s11, s8, s16
	s_add_u32 s9, s10, s9
	s_addc_u32 s10, 0, s19
	s_add_u32 s9, s9, s18
	s_mul_i32 s16, s8, s16
	s_addc_u32 s9, s10, s17
	s_addc_u32 s10, s11, 0
	s_add_u32 s9, s9, s16
	s_addc_u32 s10, 0, s10
	v_add_co_u32 v1, s9, v1, s9
	s_delay_alu instid0(VALU_DEP_1) | instskip(SKIP_2) | instid1(SALU_CYCLE_1)
	s_cmp_lg_u32 s9, 0
	s_addc_u32 s16, s8, s10
	s_ashr_i32 s8, s3, 31
	s_add_u32 s10, s12, s8
	s_addc_u32 s11, s3, s8
	v_readfirstlane_b32 s3, v1
	s_mov_b32 s9, s8
	s_delay_alu instid0(SALU_CYCLE_1) | instskip(NEXT) | instid1(SALU_CYCLE_1)
	s_xor_b64 s[10:11], s[10:11], s[8:9]
	s_mul_i32 s18, s10, s16
	s_delay_alu instid0(VALU_DEP_1)
	s_mul_hi_u32 s19, s10, s3
	s_mul_hi_u32 s17, s10, s16
	s_mul_hi_u32 s22, s11, s3
	s_mul_i32 s3, s11, s3
	s_add_u32 s18, s19, s18
	s_addc_u32 s17, 0, s17
	s_mul_hi_u32 s21, s11, s16
	s_add_u32 s3, s18, s3
	s_mul_i32 s16, s11, s16
	s_addc_u32 s3, s17, s22
	s_addc_u32 s17, s21, 0
	s_add_u32 s3, s3, s16
	s_addc_u32 s16, 0, s17
	s_mul_i32 s18, s20, s3
	s_add_u32 s17, s3, 1
	v_sub_co_u32 v1, s10, s10, s18
	s_mul_hi_u32 s18, s20, s3
	s_addc_u32 s19, s16, 0
	s_mul_i32 s21, s20, s16
	s_delay_alu instid0(VALU_DEP_1)
	v_sub_co_u32 v2, s22, v1, s20
	s_add_u32 s23, s3, 2
	s_addc_u32 s24, s16, 0
	s_add_i32 s18, s18, s21
	s_cmp_lg_u32 s10, 0
	v_readfirstlane_b32 s10, v2
	s_subb_u32 s11, s11, s18
	s_cmp_lg_u32 s22, 0
	s_subb_u32 s18, s11, 0
	s_delay_alu instid0(VALU_DEP_1) | instskip(SKIP_4) | instid1(SALU_CYCLE_1)
	s_cmp_ge_u32 s10, s20
	s_cselect_b32 s10, -1, 0
	s_cmp_eq_u32 s18, 0
	v_readfirstlane_b32 s18, v1
	s_cselect_b32 s10, s10, -1
	s_cmp_lg_u32 s10, 0
	s_cselect_b32 s10, s23, s17
	s_cselect_b32 s17, s24, s19
	s_cmp_ge_u32 s18, s20
	s_cselect_b32 s18, -1, 0
	s_cmp_eq_u32 s11, 0
	s_cselect_b32 s11, s18, -1
	s_delay_alu instid0(SALU_CYCLE_1) | instskip(SKIP_2) | instid1(SALU_CYCLE_1)
	s_cmp_lg_u32 s11, 0
	s_cselect_b32 s11, s17, s16
	s_cselect_b32 s10, s10, s3
	s_xor_b64 s[10:11], s[10:11], s[8:9]
	s_delay_alu instid0(SALU_CYCLE_1)
	s_sub_u32 s16, s10, s8
	s_load_b128 s[8:11], s[0:1], 0x44
	s_and_not1_b32 vcc_lo, exec_lo, s2
	s_cbranch_vccnz .LBB8_3
.LBB8_2:
	v_cvt_f32_u32_e32 v1, s20
	s_sub_i32 s3, 0, s20
	s_delay_alu instid0(VALU_DEP_1) | instskip(SKIP_2) | instid1(VALU_DEP_1)
	v_rcp_iflag_f32_e32 v1, v1
	s_waitcnt_depctr 0xfff
	v_mul_f32_e32 v1, 0x4f7ffffe, v1
	v_cvt_u32_f32_e32 v1, v1
	s_delay_alu instid0(VALU_DEP_1) | instskip(NEXT) | instid1(VALU_DEP_1)
	v_readfirstlane_b32 s2, v1
	s_mul_i32 s3, s3, s2
	s_delay_alu instid0(SALU_CYCLE_1) | instskip(NEXT) | instid1(SALU_CYCLE_1)
	s_mul_hi_u32 s3, s2, s3
	s_add_i32 s2, s2, s3
	s_delay_alu instid0(SALU_CYCLE_1) | instskip(NEXT) | instid1(SALU_CYCLE_1)
	s_mul_hi_u32 s2, s12, s2
	s_mul_i32 s3, s2, s20
	s_waitcnt lgkmcnt(0)
	s_add_i32 s11, s2, 1
	s_sub_i32 s3, s12, s3
	s_delay_alu instid0(SALU_CYCLE_1)
	s_sub_i32 s12, s3, s20
	s_cmp_ge_u32 s3, s20
	s_cselect_b32 s2, s11, s2
	s_cselect_b32 s3, s12, s3
	s_add_i32 s11, s2, 1
	s_cmp_ge_u32 s3, s20
	s_cselect_b32 s16, s11, s2
.LBB8_3:
	s_waitcnt lgkmcnt(0)
	s_add_i32 s11, s13, 1
	s_mov_b32 s2, 0
	s_mul_hi_i32 s3, s7, s11
	s_mul_i32 s11, s7, s11
	s_cmp_lg_u64 s[2:3], 0
	s_cbranch_scc0 .LBB8_22
; %bb.4:
	v_cvt_f32_ubyte0_e32 v1, 0
	v_cvt_f32_u32_e32 v2, s20
	s_sub_u32 s18, 0, s20
	s_subb_u32 s19, 0, 0
	s_delay_alu instid0(VALU_DEP_1) | instskip(NEXT) | instid1(VALU_DEP_1)
	v_fmamk_f32 v1, v1, 0x4f800000, v2
	v_rcp_f32_e32 v1, v1
	s_waitcnt_depctr 0xfff
	v_mul_f32_e32 v1, 0x5f7ffffc, v1
	s_delay_alu instid0(VALU_DEP_1) | instskip(NEXT) | instid1(VALU_DEP_1)
	v_mul_f32_e32 v2, 0x2f800000, v1
	v_trunc_f32_e32 v2, v2
	s_delay_alu instid0(VALU_DEP_1) | instskip(SKIP_1) | instid1(VALU_DEP_2)
	v_fmamk_f32 v1, v2, 0xcf800000, v1
	v_cvt_u32_f32_e32 v2, v2
	v_cvt_u32_f32_e32 v1, v1
	s_delay_alu instid0(VALU_DEP_2) | instskip(NEXT) | instid1(VALU_DEP_2)
	v_readfirstlane_b32 s12, v2
	v_readfirstlane_b32 s17, v1
	s_delay_alu instid0(VALU_DEP_2) | instskip(NEXT) | instid1(VALU_DEP_1)
	s_mul_i32 s21, s18, s12
	s_mul_hi_u32 s23, s18, s17
	s_mul_i32 s22, s19, s17
	s_add_i32 s21, s23, s21
	s_mul_i32 s24, s18, s17
	s_add_i32 s21, s21, s22
	s_mul_hi_u32 s23, s17, s24
	s_mul_hi_u32 s25, s12, s24
	s_mul_i32 s22, s12, s24
	s_mul_hi_u32 s24, s17, s21
	s_mul_i32 s17, s17, s21
	s_mul_hi_u32 s26, s12, s21
	s_add_u32 s17, s23, s17
	s_addc_u32 s23, 0, s24
	s_add_u32 s17, s17, s22
	s_mul_i32 s21, s12, s21
	s_addc_u32 s17, s23, s25
	s_addc_u32 s22, s26, 0
	s_add_u32 s17, s17, s21
	s_addc_u32 s21, 0, s22
	v_add_co_u32 v1, s17, v1, s17
	s_delay_alu instid0(VALU_DEP_1) | instskip(SKIP_1) | instid1(VALU_DEP_1)
	s_cmp_lg_u32 s17, 0
	s_addc_u32 s12, s12, s21
	v_readfirstlane_b32 s17, v1
	s_mul_i32 s21, s18, s12
	s_delay_alu instid0(VALU_DEP_1)
	s_mul_hi_u32 s22, s18, s17
	s_mul_i32 s19, s19, s17
	s_add_i32 s21, s22, s21
	s_mul_i32 s18, s18, s17
	s_add_i32 s21, s21, s19
	s_mul_hi_u32 s22, s12, s18
	s_mul_i32 s23, s12, s18
	s_mul_hi_u32 s18, s17, s18
	s_mul_hi_u32 s24, s17, s21
	s_mul_i32 s17, s17, s21
	s_mul_hi_u32 s19, s12, s21
	s_add_u32 s17, s18, s17
	s_addc_u32 s18, 0, s24
	s_add_u32 s17, s17, s23
	s_mul_i32 s21, s12, s21
	s_addc_u32 s17, s18, s22
	s_addc_u32 s18, s19, 0
	s_add_u32 s17, s17, s21
	s_addc_u32 s18, 0, s18
	v_add_co_u32 v1, s17, v1, s17
	s_delay_alu instid0(VALU_DEP_1) | instskip(SKIP_2) | instid1(SALU_CYCLE_1)
	s_cmp_lg_u32 s17, 0
	s_addc_u32 s12, s12, s18
	s_ashr_i32 s18, s3, 31
	s_add_u32 s22, s11, s18
	s_addc_u32 s23, s3, s18
	v_readfirstlane_b32 s3, v1
	s_mov_b32 s19, s18
	s_delay_alu instid0(SALU_CYCLE_1) | instskip(NEXT) | instid1(SALU_CYCLE_1)
	s_xor_b64 s[22:23], s[22:23], s[18:19]
	s_mul_i32 s21, s22, s12
	s_delay_alu instid0(VALU_DEP_1)
	s_mul_hi_u32 s24, s22, s3
	s_mul_hi_u32 s17, s22, s12
	s_mul_hi_u32 s26, s23, s3
	s_mul_i32 s3, s23, s3
	s_add_u32 s21, s24, s21
	s_addc_u32 s17, 0, s17
	s_mul_hi_u32 s25, s23, s12
	s_add_u32 s3, s21, s3
	s_mul_i32 s12, s23, s12
	s_addc_u32 s3, s17, s26
	s_addc_u32 s17, s25, 0
	s_add_u32 s3, s3, s12
	s_addc_u32 s12, 0, s17
	s_mul_i32 s21, s20, s3
	s_add_u32 s17, s3, 1
	v_sub_co_u32 v1, s21, s22, s21
	s_mul_hi_u32 s22, s20, s3
	s_addc_u32 s24, s12, 0
	s_mul_i32 s25, s20, s12
	s_delay_alu instid0(VALU_DEP_1)
	v_sub_co_u32 v2, s26, v1, s20
	s_add_u32 s27, s3, 2
	s_addc_u32 s28, s12, 0
	s_add_i32 s22, s22, s25
	s_cmp_lg_u32 s21, 0
	v_readfirstlane_b32 s21, v2
	s_subb_u32 s22, s23, s22
	s_cmp_lg_u32 s26, 0
	s_subb_u32 s23, s22, 0
	s_delay_alu instid0(VALU_DEP_1) | instskip(SKIP_4) | instid1(SALU_CYCLE_1)
	s_cmp_ge_u32 s21, s20
	s_cselect_b32 s21, -1, 0
	s_cmp_eq_u32 s23, 0
	v_readfirstlane_b32 s23, v1
	s_cselect_b32 s21, s21, -1
	s_cmp_lg_u32 s21, 0
	s_cselect_b32 s17, s27, s17
	s_cselect_b32 s21, s28, s24
	s_cmp_ge_u32 s23, s20
	s_cselect_b32 s23, -1, 0
	s_cmp_eq_u32 s22, 0
	s_cselect_b32 s22, s23, -1
	s_delay_alu instid0(SALU_CYCLE_1) | instskip(SKIP_2) | instid1(SALU_CYCLE_1)
	s_cmp_lg_u32 s22, 0
	s_cselect_b32 s23, s21, s12
	s_cselect_b32 s22, s17, s3
	s_xor_b64 s[22:23], s[22:23], s[18:19]
	s_delay_alu instid0(SALU_CYCLE_1)
	s_sub_u32 s18, s22, s18
	s_and_not1_b32 vcc_lo, exec_lo, s2
	s_cbranch_vccnz .LBB8_6
.LBB8_5:
	v_cvt_f32_u32_e32 v1, s20
	s_sub_i32 s3, 0, s20
	s_delay_alu instid0(VALU_DEP_1) | instskip(SKIP_2) | instid1(VALU_DEP_1)
	v_rcp_iflag_f32_e32 v1, v1
	s_waitcnt_depctr 0xfff
	v_mul_f32_e32 v1, 0x4f7ffffe, v1
	v_cvt_u32_f32_e32 v1, v1
	s_delay_alu instid0(VALU_DEP_1) | instskip(NEXT) | instid1(VALU_DEP_1)
	v_readfirstlane_b32 s2, v1
	s_mul_i32 s3, s3, s2
	s_delay_alu instid0(SALU_CYCLE_1) | instskip(NEXT) | instid1(SALU_CYCLE_1)
	s_mul_hi_u32 s3, s2, s3
	s_add_i32 s2, s2, s3
	s_delay_alu instid0(SALU_CYCLE_1) | instskip(NEXT) | instid1(SALU_CYCLE_1)
	s_mul_hi_u32 s2, s11, s2
	s_mul_i32 s3, s2, s20
	s_delay_alu instid0(SALU_CYCLE_1)
	s_sub_i32 s3, s11, s3
	s_add_i32 s11, s2, 1
	s_sub_i32 s12, s3, s20
	s_cmp_ge_u32 s3, s20
	s_cselect_b32 s2, s11, s2
	s_cselect_b32 s3, s12, s3
	s_add_i32 s11, s2, 1
	s_cmp_ge_u32 s3, s20
	s_cselect_b32 s18, s11, s2
.LBB8_6:
	s_delay_alu instid0(SALU_CYCLE_1) | instskip(SKIP_3) | instid1(SALU_CYCLE_1)
	s_cmp_eq_u32 s16, s18
	s_mul_hi_u32 s2, s16, s8
	s_cselect_b32 s3, -1, 0
	s_add_i32 s2, s2, s16
	s_lshr_b32 s11, s2, s9
	s_delay_alu instid0(SALU_CYCLE_1) | instskip(NEXT) | instid1(SALU_CYCLE_1)
	s_mul_i32 s2, s11, s10
	s_cmp_eq_u32 s2, s16
	s_mul_hi_u32 s2, s18, s8
	s_cselect_b32 s12, -1, 0
	s_add_i32 s2, s2, s18
	s_delay_alu instid0(SALU_CYCLE_1) | instskip(NEXT) | instid1(SALU_CYCLE_1)
	s_lshr_b32 s2, s2, s9
	s_cmp_eq_u32 s11, s2
	s_mul_i32 s2, s2, s10
	s_cselect_b32 s17, -1, 0
	s_cmp_lg_u32 s2, s18
	s_cselect_b32 s2, -1, 0
	s_or_b32 s3, s3, s12
	s_and_b32 s2, s17, s2
	s_delay_alu instid0(SALU_CYCLE_1) | instskip(NEXT) | instid1(SALU_CYCLE_1)
	s_or_b32 s2, s3, s2
	s_and_b32 vcc_lo, exec_lo, s2
	s_cbranch_vccnz .LBB8_24
; %bb.7:
	s_load_b256 s[24:31], s[0:1], 0x20
	s_waitcnt lgkmcnt(0)
	s_mul_hi_u32 s2, s16, s24
	s_delay_alu instid0(SALU_CYCLE_1) | instskip(NEXT) | instid1(SALU_CYCLE_1)
	s_add_i32 s2, s2, s16
	s_lshr_b32 s17, s2, s25
	s_load_b32 s2, s[0:1], 0x40
	s_mul_i32 s3, s17, s26
	s_delay_alu instid0(SALU_CYCLE_1) | instskip(NEXT) | instid1(SALU_CYCLE_1)
	s_sub_i32 s3, s16, s3
	s_mul_hi_u32 s12, s3, s27
	s_delay_alu instid0(SALU_CYCLE_1) | instskip(NEXT) | instid1(SALU_CYCLE_1)
	s_add_i32 s12, s3, s12
	s_lshr_b32 s21, s12, s28
	s_delay_alu instid0(SALU_CYCLE_1) | instskip(NEXT) | instid1(SALU_CYCLE_1)
	s_mul_i32 s12, s21, s29
	s_sub_i32 s3, s3, s12
	s_delay_alu instid0(SALU_CYCLE_1) | instskip(NEXT) | instid1(SALU_CYCLE_1)
	s_mul_hi_u32 s12, s3, s30
	s_add_i32 s12, s3, s12
	s_delay_alu instid0(SALU_CYCLE_1)
	s_lshr_b32 s12, s12, s31
	s_waitcnt lgkmcnt(0)
	s_mul_i32 s2, s12, s2
	s_lshl_b32 s23, s12, 3
	s_sub_i32 s2, s3, s2
	s_mov_b32 s12, 0
	s_mul_hi_u32 s3, s2, s8
	s_delay_alu instid0(SALU_CYCLE_1) | instskip(NEXT) | instid1(SALU_CYCLE_1)
	s_add_i32 s2, s2, s3
	s_lshr_b32 s22, s2, s9
	s_delay_alu instid0(SALU_CYCLE_1) | instskip(NEXT) | instid1(SALU_CYCLE_1)
	s_lshl_b32 s2, s22, 2
	s_add_i32 s2, s2, s14
	s_delay_alu instid0(SALU_CYCLE_1) | instskip(SKIP_2) | instid1(SALU_CYCLE_1)
	s_cmp_lt_i32 s2, s4
	s_cselect_b32 s2, -1, 0
	s_add_i32 s3, s23, s15
	s_cmp_lt_i32 s3, s6
	s_cselect_b32 s3, -1, 0
	s_delay_alu instid0(SALU_CYCLE_1) | instskip(NEXT) | instid1(SALU_CYCLE_1)
	s_and_b32 s2, s2, s3
	s_and_not1_b32 vcc_lo, exec_lo, s2
	s_cbranch_vccnz .LBB8_24
; %bb.8:
	s_load_b128 s[0:3], s[0:1], 0x0
	s_lshl_b32 s18, s20, 7
	s_mov_b32 s19, s12
	s_lshl_b32 s24, s14, 3
	s_lshl_b64 s[18:19], s[18:19], 2
	s_mul_i32 s4, s17, s4
	s_add_i32 s17, s24, s15
	s_mul_i32 s21, s21, s6
	v_cvt_f32_ubyte0_e32 v4, 0
	v_cvt_f32_u32_e32 v5, s20
	s_waitcnt lgkmcnt(0)
	s_add_u32 s18, s2, s18
	s_addc_u32 s19, s3, s19
	s_add_i32 s4, s4, s14
	s_delay_alu instid0(SALU_CYCLE_1) | instskip(SKIP_4) | instid1(SALU_CYCLE_1)
	s_mul_i32 s4, s4, s5
	s_mul_i32 s5, s5, s22
	s_add_i32 s4, s4, s15
	s_lshl_b32 s5, s5, 8
	s_add_i32 s4, s4, s21
	s_add_i32 s4, s4, s23
	s_delay_alu instid0(SALU_CYCLE_1) | instskip(NEXT) | instid1(SALU_CYCLE_1)
	s_lshl_b32 s4, s4, 6
	s_add_i32 s5, s5, s4
	s_delay_alu instid0(SALU_CYCLE_1) | instskip(SKIP_1) | instid1(VALU_DEP_2)
	v_or_b32_e32 v1, s5, v0
	v_lshl_or_b32 v0, s17, 6, v0
	v_ashrrev_i32_e32 v2, 31, v1
	s_delay_alu instid0(VALU_DEP_1) | instskip(NEXT) | instid1(VALU_DEP_1)
	v_lshlrev_b64 v[1:2], 2, v[1:2]
	v_add_co_u32 v1, vcc_lo, s0, v1
	s_delay_alu instid0(VALU_DEP_2) | instskip(SKIP_1) | instid1(SALU_CYCLE_1)
	v_add_co_ci_u32_e32 v2, vcc_lo, s1, v2, vcc_lo
	s_lshl_b32 s0, s13, 5
	s_add_i32 s0, s17, s0
	global_load_b32 v3, v[1:2], off
	s_ashr_i32 s1, s0, 31
	s_delay_alu instid0(SALU_CYCLE_1) | instskip(NEXT) | instid1(SALU_CYCLE_1)
	s_lshl_b64 s[0:1], s[0:1], 3
	s_add_u32 s0, s2, s0
	s_addc_u32 s1, s3, s1
	s_add_i32 s14, s13, -1
	s_load_b64 s[0:1], s[0:1], 0x0
	v_fmac_f32_e32 v5, 0x4f800000, v4
	s_sub_i32 s6, 0, s20
	s_waitcnt lgkmcnt(0)
	v_mov_b32_e32 v8, s0
	s_delay_alu instid0(VALU_DEP_2) | instskip(SKIP_2) | instid1(VALU_DEP_2)
	v_rcp_f32_e32 v4, v5
	v_cvt_f32_u32_e32 v5, s20
	v_mov_b32_e32 v7, s1
	v_rcp_iflag_f32_e32 v5, v5
	s_waitcnt_depctr 0xfff
	v_mul_f32_e32 v4, 0x5f7ffffc, v4
	s_delay_alu instid0(VALU_DEP_1) | instskip(SKIP_1) | instid1(VALU_DEP_2)
	v_mul_f32_e32 v6, 0x2f800000, v4
	v_mul_f32_e32 v9, 0x4f7ffffe, v5
	v_trunc_f32_e32 v6, v6
	s_delay_alu instid0(VALU_DEP_1) | instskip(SKIP_1) | instid1(VALU_DEP_4)
	v_fmac_f32_e32 v4, 0xcf800000, v6
	v_cvt_u32_f32_e32 v5, v6
	v_cvt_u32_f32_e32 v6, v9
	s_delay_alu instid0(VALU_DEP_3)
	v_cvt_u32_f32_e32 v4, v4
.LBB8_9:                                ; =>This Inner Loop Header: Depth=1
	s_mul_hi_i32 s13, s14, s7
	s_mul_i32 s4, s14, s7
	s_cmp_lg_u64 s[12:13], 0
	s_mov_b32 s5, -1
                                        ; implicit-def: $sgpr0_sgpr1
	s_cbranch_scc0 .LBB8_11
; %bb.10:                               ;   in Loop: Header=BB8_9 Depth=1
	v_readfirstlane_b32 s0, v4
	v_readfirstlane_b32 s1, v5
	s_sub_u32 s5, 0, s20
	s_subb_u32 s15, 0, 0
	s_delay_alu instid0(VALU_DEP_2) | instskip(NEXT) | instid1(VALU_DEP_1)
	s_mul_hi_u32 s21, s5, s0
	s_mul_i32 s22, s5, s1
	s_mul_i32 s23, s15, s0
	s_add_i32 s21, s21, s22
	s_mul_i32 s22, s5, s0
	s_add_i32 s21, s21, s23
	s_mul_hi_u32 s23, s0, s22
	s_mul_i32 s24, s0, s21
	s_mul_hi_u32 s0, s0, s21
	s_add_u32 s23, s23, s24
	s_mul_i32 s25, s1, s22
	s_addc_u32 s0, 0, s0
	s_mul_hi_u32 s22, s1, s22
	s_mul_hi_u32 s24, s1, s21
	s_add_u32 s23, s23, s25
	s_addc_u32 s0, s0, s22
	s_mul_i32 s21, s1, s21
	s_addc_u32 s22, s24, 0
	s_add_u32 s0, s0, s21
	s_addc_u32 s21, 0, s22
	v_add_co_u32 v9, s0, v4, s0
	s_delay_alu instid0(VALU_DEP_1) | instskip(SKIP_1) | instid1(VALU_DEP_1)
	s_cmp_lg_u32 s0, 0
	s_addc_u32 s1, s1, s21
	v_readfirstlane_b32 s0, v9
	s_mul_i32 s21, s5, s1
	s_delay_alu instid0(VALU_DEP_1)
	s_mul_hi_u32 s22, s5, s0
	s_mul_i32 s15, s15, s0
	s_add_i32 s21, s22, s21
	s_mul_i32 s5, s5, s0
	s_add_i32 s21, s21, s15
	s_mul_hi_u32 s15, s1, s5
	s_mul_i32 s23, s1, s5
	s_mul_i32 s24, s0, s21
	s_mul_hi_u32 s5, s0, s5
	s_mul_hi_u32 s0, s0, s21
	s_add_u32 s5, s5, s24
	s_addc_u32 s0, 0, s0
	s_mul_hi_u32 s22, s1, s21
	s_add_u32 s5, s5, s23
	s_addc_u32 s0, s0, s15
	s_mul_i32 s5, s1, s21
	s_addc_u32 s15, s22, 0
	s_add_u32 s0, s0, s5
	s_addc_u32 s5, 0, s15
	v_add_co_u32 v9, s0, v9, s0
	s_delay_alu instid0(VALU_DEP_1) | instskip(SKIP_2) | instid1(SALU_CYCLE_1)
	s_cmp_lg_u32 s0, 0
	s_addc_u32 s5, s1, s5
	s_ashr_i32 s0, s13, 31
	s_add_u32 s22, s4, s0
	s_addc_u32 s23, s13, s0
	v_readfirstlane_b32 s13, v9
	s_mov_b32 s1, s0
	s_delay_alu instid0(SALU_CYCLE_1) | instskip(NEXT) | instid1(SALU_CYCLE_1)
	s_xor_b64 s[22:23], s[22:23], s[0:1]
	s_mul_i32 s15, s22, s5
	s_delay_alu instid0(VALU_DEP_1)
	s_mul_hi_u32 s21, s22, s13
	s_mul_hi_u32 s24, s22, s5
	s_add_u32 s15, s21, s15
	s_mul_i32 s25, s23, s13
	s_addc_u32 s21, 0, s24
	s_mul_hi_u32 s13, s23, s13
	s_mul_hi_u32 s24, s23, s5
	s_add_u32 s15, s15, s25
	s_addc_u32 s13, s21, s13
	s_mul_i32 s5, s23, s5
	s_addc_u32 s15, s24, 0
	s_add_u32 s5, s13, s5
	s_addc_u32 s13, 0, s15
	s_mul_i32 s21, s20, s5
	s_add_u32 s15, s5, 1
	v_sub_co_u32 v9, s21, s22, s21
	s_addc_u32 s22, s13, 0
	s_mul_i32 s25, s20, s13
	s_mul_hi_u32 s27, s20, s5
	s_delay_alu instid0(VALU_DEP_1)
	v_sub_co_u32 v10, s26, v9, s20
	s_add_u32 s24, s5, 2
	s_addc_u32 s28, s13, 0
	s_add_i32 s27, s27, s25
	s_cmp_lg_u32 s21, 0
	v_readfirstlane_b32 s21, v10
	s_subb_u32 s23, s23, s27
	s_cmp_lg_u32 s26, 0
	s_subb_u32 s25, s23, 0
	s_delay_alu instid0(VALU_DEP_1) | instskip(SKIP_4) | instid1(SALU_CYCLE_1)
	s_cmp_ge_u32 s21, s20
	s_cselect_b32 s21, -1, 0
	s_cmp_eq_u32 s25, 0
	v_readfirstlane_b32 s25, v9
	s_cselect_b32 s21, s21, -1
	s_cmp_lg_u32 s21, 0
	s_cselect_b32 s15, s24, s15
	s_cselect_b32 s21, s28, s22
	s_cmp_ge_u32 s25, s20
	s_cselect_b32 s22, -1, 0
	s_cmp_eq_u32 s23, 0
	s_cselect_b32 s22, s22, -1
	s_delay_alu instid0(SALU_CYCLE_1) | instskip(SKIP_4) | instid1(SALU_CYCLE_1)
	s_cmp_lg_u32 s22, 0
	s_cselect_b32 s23, s21, s13
	s_cselect_b32 s22, s15, s5
	s_mov_b32 s5, 0
	s_xor_b64 s[22:23], s[22:23], s[0:1]
	s_sub_u32 s0, s22, s0
.LBB8_11:                               ;   in Loop: Header=BB8_9 Depth=1
	s_and_not1_b32 vcc_lo, exec_lo, s5
	s_cbranch_vccnz .LBB8_13
; %bb.12:                               ;   in Loop: Header=BB8_9 Depth=1
	v_readfirstlane_b32 s0, v6
	s_delay_alu instid0(VALU_DEP_1) | instskip(NEXT) | instid1(SALU_CYCLE_1)
	s_mul_i32 s1, s6, s0
	s_mul_hi_u32 s1, s0, s1
	s_delay_alu instid0(SALU_CYCLE_1) | instskip(NEXT) | instid1(SALU_CYCLE_1)
	s_add_i32 s0, s0, s1
	s_mul_hi_u32 s0, s4, s0
	s_delay_alu instid0(SALU_CYCLE_1) | instskip(NEXT) | instid1(SALU_CYCLE_1)
	s_mul_i32 s1, s0, s20
	s_sub_i32 s1, s4, s1
	s_add_i32 s4, s0, 1
	s_sub_i32 s5, s1, s20
	s_cmp_ge_u32 s1, s20
	s_cselect_b32 s0, s4, s0
	s_cselect_b32 s1, s5, s1
	s_add_i32 s4, s0, 1
	s_cmp_ge_u32 s1, s20
	s_cselect_b32 s0, s4, s0
.LBB8_13:                               ;   in Loop: Header=BB8_9 Depth=1
	s_delay_alu instid0(SALU_CYCLE_1)
	s_cmp_lg_u32 s16, s0
	s_cbranch_scc0 .LBB8_17
; %bb.14:                               ;   in Loop: Header=BB8_9 Depth=1
	s_add_i32 s1, s14, s20
	s_mov_b32 s5, s12
	s_lshl_b32 s1, s1, 5
	s_mov_b32 s15, s16
	s_add_i32 s4, s1, s17
	s_mul_hi_u32 s1, s0, s8
	s_lshl_b64 s[4:5], s[4:5], 3
	s_delay_alu instid0(SALU_CYCLE_1) | instskip(SKIP_2) | instid1(SALU_CYCLE_1)
	s_add_u32 s4, s2, s4
	s_addc_u32 s5, s3, s5
	s_add_i32 s1, s1, s0
	s_lshr_b32 s1, s1, s9
	s_delay_alu instid0(SALU_CYCLE_1) | instskip(NEXT) | instid1(SALU_CYCLE_1)
	s_mul_i32 s13, s1, s10
	s_cmp_eq_u32 s13, s0
	s_cselect_b32 s13, -1, 0
	s_cmp_lt_u32 s1, s11
	s_cselect_b32 s1, -1, 0
	s_delay_alu instid0(SALU_CYCLE_1)
	s_or_b32 s1, s1, s13
	s_mov_b32 s13, -1
	s_and_b32 vcc_lo, exec_lo, s1
	s_mov_b32 s1, s14
	s_cbranch_vccnz .LBB8_16
; %bb.15:                               ;   in Loop: Header=BB8_9 Depth=1
	s_add_i32 s1, s14, -1
	s_mov_b32 s13, 0
	s_mov_b32 s15, s0
.LBB8_16:                               ;   in Loop: Header=BB8_9 Depth=1
	v_lshl_add_u32 v9, s14, 11, v0
	s_load_b64 s[4:5], s[4:5], 0x0
	s_delay_alu instid0(VALU_DEP_1) | instskip(NEXT) | instid1(VALU_DEP_1)
	v_ashrrev_i32_e32 v10, 31, v9
	v_lshlrev_b64 v[9:10], 2, v[9:10]
	s_delay_alu instid0(VALU_DEP_1) | instskip(NEXT) | instid1(VALU_DEP_2)
	v_add_co_u32 v9, vcc_lo, s18, v9
	v_add_co_ci_u32_e32 v10, vcc_lo, s19, v10, vcc_lo
	s_waitcnt lgkmcnt(0)
	v_max_f32_e64 v11, s4, s4
	global_load_b32 v10, v[9:10], off
	v_max_f32_e32 v9, v8, v8
	s_delay_alu instid0(VALU_DEP_1) | instskip(NEXT) | instid1(VALU_DEP_1)
	v_max_f32_e32 v9, v9, v11
	v_sub_f32_e32 v12, v8, v9
	s_delay_alu instid0(VALU_DEP_1) | instskip(NEXT) | instid1(VALU_DEP_1)
	v_dual_mul_f32 v14, 0x3fb8aa3b, v12 :: v_dual_sub_f32 v11, s4, v9
	v_rndne_f32_e32 v18, v14
	s_delay_alu instid0(VALU_DEP_2) | instskip(SKIP_2) | instid1(VALU_DEP_4)
	v_mul_f32_e32 v13, 0x3fb8aa3b, v11
	v_fma_f32 v17, 0x3fb8aa3b, v12, -v14
	v_cmp_ngt_f32_e32 vcc_lo, 0xc2ce8ed0, v11
	v_sub_f32_e32 v14, v14, v18
	s_delay_alu instid0(VALU_DEP_4) | instskip(SKIP_2) | instid1(VALU_DEP_3)
	v_fma_f32 v15, 0x3fb8aa3b, v11, -v13
	v_rndne_f32_e32 v16, v13
	v_fmac_f32_e32 v17, 0x32a5705f, v12
	v_fmac_f32_e32 v15, 0x32a5705f, v11
	s_delay_alu instid0(VALU_DEP_2) | instskip(NEXT) | instid1(VALU_DEP_1)
	v_dual_sub_f32 v13, v13, v16 :: v_dual_add_f32 v14, v14, v17
	v_add_f32_e32 v13, v13, v15
	s_delay_alu instid0(VALU_DEP_2) | instskip(SKIP_2) | instid1(VALU_DEP_3)
	v_exp_f32_e32 v14, v14
	v_cvt_i32_f32_e32 v15, v16
	v_cvt_i32_f32_e32 v16, v18
	v_exp_f32_e32 v13, v13
	s_waitcnt_depctr 0xfff
	v_ldexp_f32 v14, v14, v16
	v_ldexp_f32 v13, v13, v15
	s_delay_alu instid0(VALU_DEP_1) | instskip(SKIP_1) | instid1(VALU_DEP_4)
	v_cndmask_b32_e32 v13, 0, v13, vcc_lo
	v_cmp_ngt_f32_e32 vcc_lo, 0xc2ce8ed0, v12
	v_cndmask_b32_e32 v14, 0, v14, vcc_lo
	v_cmp_nlt_f32_e32 vcc_lo, 0x42b17218, v11
	s_delay_alu instid0(VALU_DEP_4) | instskip(SKIP_1) | instid1(VALU_DEP_4)
	v_cndmask_b32_e32 v13, 0x7f800000, v13, vcc_lo
	v_cmp_nlt_f32_e32 vcc_lo, 0x42b17218, v12
	v_cndmask_b32_e32 v14, 0x7f800000, v14, vcc_lo
	v_cmp_le_f32_e32 vcc_lo, 0xc1a00000, v11
	s_delay_alu instid0(VALU_DEP_4) | instskip(SKIP_1) | instid1(VALU_DEP_4)
	v_cndmask_b32_e32 v11, 0, v13, vcc_lo
	v_cmp_le_f32_e32 vcc_lo, 0xc1a00000, v12
	v_cndmask_b32_e32 v12, 0, v14, vcc_lo
	s_waitcnt vmcnt(0)
	s_delay_alu instid0(VALU_DEP_3) | instskip(NEXT) | instid1(VALU_DEP_1)
	v_mul_f32_e32 v10, v10, v11
	v_dual_mul_f32 v11, s5, v11 :: v_dual_fmac_f32 v10, v3, v12
	s_delay_alu instid0(VALU_DEP_1)
	v_fmac_f32_e32 v11, v7, v12
	s_cbranch_execz .LBB8_18
	s_branch .LBB8_19
.LBB8_17:                               ;   in Loop: Header=BB8_9 Depth=1
                                        ; implicit-def: $sgpr13
                                        ; implicit-def: $vgpr10
                                        ; implicit-def: $vgpr9
                                        ; implicit-def: $vgpr11
                                        ; implicit-def: $sgpr1
                                        ; implicit-def: $sgpr15
.LBB8_18:                               ;   in Loop: Header=BB8_9 Depth=1
	v_mov_b32_e32 v11, v7
	s_waitcnt vmcnt(0)
	v_dual_mov_b32 v9, v8 :: v_dual_mov_b32 v10, v3
	s_add_i32 s1, s14, -1
	s_mov_b32 s13, 0
	s_mov_b32 s15, s16
.LBB8_19:                               ;   in Loop: Header=BB8_9 Depth=1
	s_and_not1_b32 vcc_lo, exec_lo, s13
	s_cbranch_vccz .LBB8_23
; %bb.20:                               ;   in Loop: Header=BB8_9 Depth=1
	v_dual_mov_b32 v7, v11 :: v_dual_mov_b32 v8, v9
	s_waitcnt vmcnt(0)
	v_mov_b32_e32 v3, v10
	s_mov_b32 s16, s15
	s_mov_b32 s14, s1
	s_branch .LBB8_9
.LBB8_21:
                                        ; implicit-def: $sgpr16_sgpr17
	s_load_b128 s[8:11], s[0:1], 0x44
	s_branch .LBB8_2
.LBB8_22:
                                        ; implicit-def: $sgpr18_sgpr19
	s_branch .LBB8_5
.LBB8_23:
	v_div_scale_f32 v0, null, v11, v11, v10
	s_waitcnt vmcnt(0)
	s_delay_alu instid0(VALU_DEP_1) | instskip(SKIP_2) | instid1(VALU_DEP_1)
	v_rcp_f32_e32 v3, v0
	s_waitcnt_depctr 0xfff
	v_fma_f32 v4, -v0, v3, 1.0
	v_fmac_f32_e32 v3, v4, v3
	v_div_scale_f32 v4, vcc_lo, v10, v11, v10
	s_delay_alu instid0(VALU_DEP_1) | instskip(NEXT) | instid1(VALU_DEP_1)
	v_mul_f32_e32 v5, v4, v3
	v_fma_f32 v6, -v0, v5, v4
	s_delay_alu instid0(VALU_DEP_1) | instskip(NEXT) | instid1(VALU_DEP_1)
	v_fmac_f32_e32 v5, v6, v3
	v_fma_f32 v0, -v0, v5, v4
	s_delay_alu instid0(VALU_DEP_1) | instskip(NEXT) | instid1(VALU_DEP_1)
	v_div_fmas_f32 v0, v0, v3, v5
	v_div_fixup_f32 v0, v0, v11, v10
	global_store_b32 v[1:2], v0, off
.LBB8_24:
	s_nop 0
	s_sendmsg sendmsg(MSG_DEALLOC_VGPRS)
	s_endpgm
	.section	.rodata,"a",@progbits
	.p2align	6, 0x0
	.amdhsa_kernel _ZL33flash_attn_stream_k_fixup_generalILi64ELi4ELi8EEvPfPK15HIP_vector_typeIfLj2EEiiiiS1_IjLj3EES5_S5_S5_
		.amdhsa_group_segment_fixed_size 0
		.amdhsa_private_segment_fixed_size 0
		.amdhsa_kernarg_size 336
		.amdhsa_user_sgpr_count 13
		.amdhsa_user_sgpr_dispatch_ptr 0
		.amdhsa_user_sgpr_queue_ptr 0
		.amdhsa_user_sgpr_kernarg_segment_ptr 1
		.amdhsa_user_sgpr_dispatch_id 0
		.amdhsa_user_sgpr_private_segment_size 0
		.amdhsa_wavefront_size32 1
		.amdhsa_uses_dynamic_stack 0
		.amdhsa_enable_private_segment 0
		.amdhsa_system_sgpr_workgroup_id_x 1
		.amdhsa_system_sgpr_workgroup_id_y 1
		.amdhsa_system_sgpr_workgroup_id_z 1
		.amdhsa_system_sgpr_workgroup_info 0
		.amdhsa_system_vgpr_workitem_id 0
		.amdhsa_next_free_vgpr 19
		.amdhsa_next_free_sgpr 32
		.amdhsa_reserve_vcc 1
		.amdhsa_float_round_mode_32 0
		.amdhsa_float_round_mode_16_64 0
		.amdhsa_float_denorm_mode_32 3
		.amdhsa_float_denorm_mode_16_64 3
		.amdhsa_dx10_clamp 1
		.amdhsa_ieee_mode 1
		.amdhsa_fp16_overflow 0
		.amdhsa_workgroup_processor_mode 1
		.amdhsa_memory_ordered 1
		.amdhsa_forward_progress 0
		.amdhsa_shared_vgpr_count 0
		.amdhsa_exception_fp_ieee_invalid_op 0
		.amdhsa_exception_fp_denorm_src 0
		.amdhsa_exception_fp_ieee_div_zero 0
		.amdhsa_exception_fp_ieee_overflow 0
		.amdhsa_exception_fp_ieee_underflow 0
		.amdhsa_exception_fp_ieee_inexact 0
		.amdhsa_exception_int_div_zero 0
	.end_amdhsa_kernel
	.section	.text._ZL33flash_attn_stream_k_fixup_generalILi64ELi4ELi8EEvPfPK15HIP_vector_typeIfLj2EEiiiiS1_IjLj3EES5_S5_S5_,"axG",@progbits,_ZL33flash_attn_stream_k_fixup_generalILi64ELi4ELi8EEvPfPK15HIP_vector_typeIfLj2EEiiiiS1_IjLj3EES5_S5_S5_,comdat
.Lfunc_end8:
	.size	_ZL33flash_attn_stream_k_fixup_generalILi64ELi4ELi8EEvPfPK15HIP_vector_typeIfLj2EEiiiiS1_IjLj3EES5_S5_S5_, .Lfunc_end8-_ZL33flash_attn_stream_k_fixup_generalILi64ELi4ELi8EEvPfPK15HIP_vector_typeIfLj2EEiiiiS1_IjLj3EES5_S5_S5_
                                        ; -- End function
	.section	.AMDGPU.csdata,"",@progbits
; Kernel info:
; codeLenInByte = 3224
; NumSgprs: 34
; NumVgprs: 19
; ScratchSize: 0
; MemoryBound: 0
; FloatMode: 240
; IeeeMode: 1
; LDSByteSize: 0 bytes/workgroup (compile time only)
; SGPRBlocks: 4
; VGPRBlocks: 2
; NumSGPRsForWavesPerEU: 34
; NumVGPRsForWavesPerEU: 19
; Occupancy: 16
; WaveLimiterHint : 0
; COMPUTE_PGM_RSRC2:SCRATCH_EN: 0
; COMPUTE_PGM_RSRC2:USER_SGPR: 13
; COMPUTE_PGM_RSRC2:TRAP_HANDLER: 0
; COMPUTE_PGM_RSRC2:TGID_X_EN: 1
; COMPUTE_PGM_RSRC2:TGID_Y_EN: 1
; COMPUTE_PGM_RSRC2:TGID_Z_EN: 1
; COMPUTE_PGM_RSRC2:TIDIG_COMP_CNT: 0
	.section	.text._ZL15flash_attn_tileILi64ELi64ELi2ELi8ELb0EEvPKcS1_S1_S1_S1_PKiPfP15HIP_vector_typeIfLj2EEffffjfiS5_IjLj3EEiiiiiiiiiiiliiliiiiil,"axG",@progbits,_ZL15flash_attn_tileILi64ELi64ELi2ELi8ELb0EEvPKcS1_S1_S1_S1_PKiPfP15HIP_vector_typeIfLj2EEffffjfiS5_IjLj3EEiiiiiiiiiiiliiliiiiil,comdat
	.globl	_ZL15flash_attn_tileILi64ELi64ELi2ELi8ELb0EEvPKcS1_S1_S1_S1_PKiPfP15HIP_vector_typeIfLj2EEffffjfiS5_IjLj3EEiiiiiiiiiiiliiliiiiil ; -- Begin function _ZL15flash_attn_tileILi64ELi64ELi2ELi8ELb0EEvPKcS1_S1_S1_S1_PKiPfP15HIP_vector_typeIfLj2EEffffjfiS5_IjLj3EEiiiiiiiiiiiliiliiiiil
	.p2align	8
	.type	_ZL15flash_attn_tileILi64ELi64ELi2ELi8ELb0EEvPKcS1_S1_S1_S1_PKiPfP15HIP_vector_typeIfLj2EEffffjfiS5_IjLj3EEiiiiiiiiiiiliiliiiiil,@function
_ZL15flash_attn_tileILi64ELi64ELi2ELi8ELb0EEvPKcS1_S1_S1_S1_PKiPfP15HIP_vector_typeIfLj2EEffffjfiS5_IjLj3EEiiiiiiiiiiiliiliiiiil: ; @_ZL15flash_attn_tileILi64ELi64ELi2ELi8ELb0EEvPKcS1_S1_S1_S1_PKiPfP15HIP_vector_typeIfLj2EEffffjfiS5_IjLj3EEiiiiiiiiiiiliiliiiiil
; %bb.0:
	s_clause 0x1
	s_load_b128 s[36:39], s[0:1], 0x5c
	s_load_b64 s[34:35], s[0:1], 0x80
	s_mov_b64 s[40:41], 0
	s_waitcnt lgkmcnt(0)
	s_ashr_i32 s2, s39, 31
	s_delay_alu instid0(SALU_CYCLE_1) | instskip(NEXT) | instid1(SALU_CYCLE_1)
	s_lshr_b32 s2, s2, 29
	s_add_i32 s2, s39, s2
	s_delay_alu instid0(SALU_CYCLE_1) | instskip(NEXT) | instid1(SALU_CYCLE_1)
	s_ashr_i32 s2, s2, 3
	v_cvt_f32_u32_e32 v1, s2
	s_sub_i32 s4, 0, s2
	s_delay_alu instid0(VALU_DEP_1) | instskip(SKIP_2) | instid1(VALU_DEP_1)
	v_rcp_iflag_f32_e32 v1, v1
	s_waitcnt_depctr 0xfff
	v_mul_f32_e32 v1, 0x4f7ffffe, v1
	v_cvt_u32_f32_e32 v1, v1
	s_delay_alu instid0(VALU_DEP_1) | instskip(NEXT) | instid1(VALU_DEP_1)
	v_readfirstlane_b32 s3, v1
	s_mul_i32 s4, s4, s3
	s_delay_alu instid0(SALU_CYCLE_1) | instskip(NEXT) | instid1(SALU_CYCLE_1)
	s_mul_hi_u32 s4, s3, s4
	s_add_i32 s3, s3, s4
	s_delay_alu instid0(SALU_CYCLE_1) | instskip(NEXT) | instid1(SALU_CYCLE_1)
	s_mul_hi_u32 s3, s15, s3
	s_mul_i32 s4, s3, s2
	s_add_i32 s5, s3, 1
	s_sub_i32 s4, s15, s4
	s_delay_alu instid0(SALU_CYCLE_1)
	s_sub_i32 s6, s4, s2
	s_cmp_ge_u32 s4, s2
	s_cselect_b32 s3, s5, s3
	s_cselect_b32 s4, s6, s4
	s_add_i32 s5, s3, 1
	s_cmp_ge_u32 s4, s2
	s_cselect_b32 s33, s5, s3
	s_abs_i32 s2, s35
	s_abs_i32 s7, s39
	v_cvt_f32_u32_e32 v1, s2
	s_sub_i32 s4, 0, s2
	s_lshl_b32 s5, s15, 3
	s_mul_i32 s6, s33, s39
	s_delay_alu instid0(VALU_DEP_1) | instskip(SKIP_3) | instid1(VALU_DEP_1)
	v_rcp_iflag_f32_e32 v1, v1
	s_sub_i32 s42, s5, s6
	s_waitcnt_depctr 0xfff
	v_mul_f32_e32 v1, 0x4f7ffffe, v1
	v_cvt_u32_f32_e32 v1, v1
	s_delay_alu instid0(VALU_DEP_1) | instskip(NEXT) | instid1(VALU_DEP_1)
	v_readfirstlane_b32 s3, v1
	s_mul_i32 s4, s4, s3
	s_delay_alu instid0(SALU_CYCLE_1) | instskip(NEXT) | instid1(SALU_CYCLE_1)
	s_mul_hi_u32 s4, s3, s4
	s_add_i32 s3, s3, s4
	s_xor_b32 s4, s39, s35
	s_mul_hi_u32 s3, s7, s3
	s_ashr_i32 s4, s4, 31
	s_mul_i32 s5, s3, s2
	s_add_i32 s6, s3, 1
	s_sub_i32 s5, s7, s5
	s_delay_alu instid0(SALU_CYCLE_1)
	s_sub_i32 s7, s5, s2
	s_cmp_ge_u32 s5, s2
	s_cselect_b32 s3, s6, s3
	s_cselect_b32 s5, s7, s5
	s_add_i32 s6, s3, 1
	s_cmp_ge_u32 s5, s2
	s_cselect_b32 s2, s6, s3
	s_delay_alu instid0(SALU_CYCLE_1) | instskip(NEXT) | instid1(SALU_CYCLE_1)
	s_xor_b32 s2, s2, s4
	s_sub_i32 s9, s2, s4
	s_clause 0x1
	s_load_b512 s[16:31], s[0:1], 0x0
	s_load_b64 s[2:3], s[0:1], 0xb8
	s_abs_i32 s8, s9
	s_delay_alu instid0(SALU_CYCLE_1) | instskip(NEXT) | instid1(VALU_DEP_1)
	v_cvt_f32_u32_e32 v1, s8
	v_rcp_iflag_f32_e32 v1, v1
	s_waitcnt_depctr 0xfff
	v_mul_f32_e32 v1, 0x4f7ffffe, v1
	s_waitcnt lgkmcnt(0)
	s_cmp_eq_u64 s[22:23], 0
	s_delay_alu instid0(VALU_DEP_1) | instskip(NEXT) | instid1(VALU_DEP_1)
	v_cvt_u32_f32_e32 v1, v1
	v_readfirstlane_b32 s10, v1
	s_cbranch_scc1 .LBB9_2
; %bb.1:
	s_abs_i32 s2, s2
	s_abs_i32 s6, s33
	v_cvt_f32_u32_e32 v1, s2
	s_sub_i32 s5, 0, s2
	s_delay_alu instid0(VALU_DEP_1) | instskip(SKIP_2) | instid1(VALU_DEP_1)
	v_rcp_iflag_f32_e32 v1, v1
	s_waitcnt_depctr 0xfff
	v_mul_f32_e32 v1, 0x4f7ffffe, v1
	v_cvt_u32_f32_e32 v1, v1
	s_delay_alu instid0(VALU_DEP_1) | instskip(NEXT) | instid1(VALU_DEP_1)
	v_readfirstlane_b32 s4, v1
	s_mul_i32 s5, s5, s4
	s_delay_alu instid0(SALU_CYCLE_1) | instskip(NEXT) | instid1(SALU_CYCLE_1)
	s_mul_hi_u32 s5, s4, s5
	s_add_i32 s7, s4, s5
	s_load_b64 s[4:5], s[0:1], 0xc8
	s_mul_hi_u32 s7, s6, s7
	s_delay_alu instid0(SALU_CYCLE_1) | instskip(NEXT) | instid1(SALU_CYCLE_1)
	s_mul_i32 s7, s7, s2
	s_sub_i32 s6, s6, s7
	s_ashr_i32 s7, s33, 31
	s_sub_i32 s11, s6, s2
	s_cmp_ge_u32 s6, s2
	s_cselect_b32 s6, s11, s6
	s_delay_alu instid0(SALU_CYCLE_1) | instskip(SKIP_2) | instid1(SALU_CYCLE_1)
	s_sub_i32 s11, s6, s2
	s_cmp_ge_u32 s6, s2
	s_cselect_b32 s2, s11, s6
	s_xor_b32 s2, s2, s7
	s_delay_alu instid0(SALU_CYCLE_1)
	s_sub_i32 s2, s2, s7
	s_waitcnt lgkmcnt(0)
	s_mul_i32 s5, s2, s5
	s_mul_hi_u32 s6, s2, s4
	s_ashr_i32 s7, s2, 31
	s_add_i32 s5, s6, s5
	s_mul_i32 s7, s7, s4
	s_mul_i32 s2, s2, s4
	s_add_i32 s5, s5, s7
	s_add_u32 s40, s22, s2
	s_addc_u32 s41, s23, s5
.LBB9_2:
	s_load_b128 s[4:7], s[0:1], 0x70
	v_bfe_u32 v6, v0, 10, 10
	s_delay_alu instid0(VALU_DEP_1) | instskip(SKIP_1) | instid1(VALU_DEP_2)
	v_lshrrev_b32_e32 v1, 1, v6
	v_lshlrev_b32_e32 v4, 2, v6
	v_lshl_add_u32 v13, s13, 1, v1
	s_delay_alu instid0(VALU_DEP_2)
	v_or_b32_e32 v23, 3, v4
	v_or_b32_e32 v21, 1, v4
	;; [unrolled: 1-line block ×3, first 2 shown]
	v_and_b32_e32 v54, 4, v4
	v_mul_hi_u32 v1, s36, v13
	v_and_b32_e32 v24, 7, v23
	v_and_b32_e32 v19, 5, v21
	;; [unrolled: 1-line block ×3, first 2 shown]
	s_waitcnt lgkmcnt(0)
	s_mul_i32 s2, s33, s6
	s_mul_i32 s6, s42, s5
	s_ashr_i32 s7, s2, 31
	s_add_u32 s2, s16, s2
	s_addc_u32 s7, s17, s7
	s_ashr_i32 s11, s6, 31
	s_add_u32 s2, s2, s6
	s_addc_u32 s6, s7, s11
	s_ashr_i32 s11, s5, 31
	s_ashr_i32 s7, s4, 31
	v_alignbit_b32 v5, s11, s5, 2
	v_alignbit_b32 v2, s7, s4, 2
	s_lshr_b32 s4, s7, 2
	s_lshr_b32 s5, s11, 2
	s_cmp_eq_u64 s[26:27], 0
	v_mad_u64_u32 v[10:11], null, v5, v24, 0
	v_and_b32_e32 v12, 0x3ff, v0
	v_add_nc_u32_e32 v0, v13, v1
	v_mad_u64_u32 v[8:9], null, v5, v20, 0
	v_mad_u64_u32 v[14:15], null, v5, v54, 0
	s_delay_alu instid0(VALU_DEP_3) | instskip(NEXT) | instid1(VALU_DEP_1)
	v_lshrrev_b32_e32 v0, s37, v0
	v_mul_lo_u32 v0, v0, s38
	s_delay_alu instid0(VALU_DEP_1) | instskip(NEXT) | instid1(VALU_DEP_1)
	v_sub_nc_u32_e32 v7, v13, v0
	v_mad_u64_u32 v[0:1], null, v2, v7, 0
	v_mad_u64_u32 v[2:3], null, v5, v19, 0
	v_mov_b32_e32 v5, v9
	s_delay_alu instid0(VALU_DEP_2) | instskip(NEXT) | instid1(VALU_DEP_3)
	v_mad_u64_u32 v[16:17], null, s4, v7, v[1:2]
	v_mad_u64_u32 v[17:18], null, s5, v19, v[3:4]
	v_mov_b32_e32 v1, v11
	s_delay_alu instid0(VALU_DEP_4) | instskip(NEXT) | instid1(VALU_DEP_2)
	v_mad_u64_u32 v[18:19], null, s5, v20, v[5:6]
	v_mad_u64_u32 v[19:20], null, s5, v24, v[1:2]
	v_mov_b32_e32 v1, v16
	v_mov_b32_e32 v3, v17
	v_mul_lo_u32 v25, s5, v54
	v_dual_mov_b32 v9, v18 :: v_dual_lshlrev_b32 v24, 3, v12
	s_delay_alu instid0(VALU_DEP_4)
	v_lshlrev_b64 v[0:1], 2, v[0:1]
	v_mov_b32_e32 v11, v19
	v_lshlrev_b64 v[2:3], 2, v[2:3]
	v_lshlrev_b32_e32 v17, 5, v23
	v_or_b32_e32 v15, v15, v25
	v_add_co_u32 v5, vcc_lo, s2, v0
	v_add_co_ci_u32_e32 v16, vcc_lo, s6, v1, vcc_lo
	s_delay_alu instid0(VALU_DEP_3) | instskip(NEXT) | instid1(VALU_DEP_3)
	v_lshlrev_b64 v[14:15], 2, v[14:15]
	v_add_co_u32 v5, vcc_lo, v5, v24
	s_delay_alu instid0(VALU_DEP_3) | instskip(SKIP_2) | instid1(VALU_DEP_4)
	v_add_co_ci_u32_e32 v16, vcc_lo, 0, v16, vcc_lo
	v_lshlrev_b64 v[0:1], 2, v[8:9]
	v_lshlrev_b64 v[8:9], 2, v[10:11]
	v_add_co_u32 v10, vcc_lo, v5, v14
	s_delay_alu instid0(VALU_DEP_4)
	v_add_co_ci_u32_e32 v11, vcc_lo, v16, v15, vcc_lo
	v_add_co_u32 v2, vcc_lo, v5, v2
	v_add_co_ci_u32_e32 v3, vcc_lo, v16, v3, vcc_lo
	v_add_co_u32 v0, vcc_lo, v5, v0
	;; [unrolled: 2-line block ×3, first 2 shown]
	v_add_co_ci_u32_e32 v9, vcc_lo, v16, v9, vcc_lo
	s_clause 0x3
	global_load_b64 v[14:15], v[10:11], off
	global_load_b64 v[2:3], v[2:3], off
	;; [unrolled: 1-line block ×4, first 2 shown]
	s_load_b32 s2, s[0:1], 0x40
	v_lshlrev_b32_e32 v11, 2, v12
	v_lshlrev_b32_e32 v5, 5, v21
	;; [unrolled: 1-line block ×3, first 2 shown]
	v_add_lshl_u32 v17, v17, v12, 2
	s_delay_alu instid0(VALU_DEP_4) | instskip(NEXT) | instid1(VALU_DEP_4)
	v_lshl_or_b32 v16, v6, 9, v11
	v_add_lshl_u32 v5, v5, v12, 2
	s_delay_alu instid0(VALU_DEP_4)
	v_add_lshl_u32 v10, v10, v12, 2
	s_waitcnt vmcnt(3) lgkmcnt(0)
	v_fma_mixlo_f16 v14, v14, s2, 0
	s_waitcnt vmcnt(2)
	v_fma_mixlo_f16 v2, v2, s2, 0
	s_waitcnt vmcnt(1)
	;; [unrolled: 2-line block ×3, first 2 shown]
	v_fma_mixlo_f16 v8, v8, s2, 0
	v_fma_mixhi_f16 v14, v15, s2, 0
	v_fma_mixhi_f16 v2, v3, s2, 0
	;; [unrolled: 1-line block ×3, first 2 shown]
	s_delay_alu instid0(VALU_DEP_4)
	v_fma_mixhi_f16 v8, v9, s2, 0
	ds_store_b32 v16, v14 offset:22528
	ds_store_b32 v5, v2 offset:22528
	;; [unrolled: 1-line block ×4, first 2 shown]
	s_waitcnt lgkmcnt(0)
	s_barrier
	buffer_gl0_inv
	s_cbranch_scc1 .LBB9_4
; %bb.3:
	s_load_b32 s2, s[0:1], 0xd0
	s_mov_b32 s5, 0
	s_waitcnt lgkmcnt(0)
	s_mul_i32 s2, s2, s33
	s_delay_alu instid0(SALU_CYCLE_1) | instskip(NEXT) | instid1(SALU_CYCLE_1)
	s_add_i32 s4, s2, s13
	s_lshl_b64 s[4:5], s[4:5], 2
	s_delay_alu instid0(SALU_CYCLE_1)
	s_add_u32 s4, s26, s4
	s_addc_u32 s5, s27, s5
	s_load_b32 s34, s[4:5], 0x0
.LBB9_4:
	v_mbcnt_lo_u32_b32 v55, -1, 0
	s_lshl_b32 s26, s14, 7
	s_waitcnt lgkmcnt(0)
	s_cmp_lt_i32 s26, s34
	s_cbranch_scc1 .LBB9_6
; %bb.5:
	v_mbcnt_lo_u32_b32 v5, -1, 0
	v_mov_b32_e32 v56, 32
	s_mov_b32 s2, 0
	s_mov_b32 s4, 0xfeffffff
	s_delay_alu instid0(VALU_DEP_2)
	v_xor_b32_e32 v61, 16, v5
	v_xor_b32_e32 v60, 8, v5
	;; [unrolled: 1-line block ×5, first 2 shown]
	s_branch .LBB9_7
.LBB9_6:
	s_mov_b32 s2, -1
                                        ; implicit-def: $sgpr4
                                        ; implicit-def: $vgpr5
                                        ; implicit-def: $vgpr56
                                        ; implicit-def: $vgpr61
                                        ; implicit-def: $vgpr60
                                        ; implicit-def: $vgpr59
                                        ; implicit-def: $vgpr58
                                        ; implicit-def: $vgpr57
.LBB9_7:
	s_delay_alu instid0(SALU_CYCLE_1) | instskip(SKIP_2) | instid1(VALU_DEP_3)
	v_cndmask_b32_e64 v0, 0, 1, s2
	v_dual_mov_b32 v3, s4 :: v_dual_mov_b32 v40, s2
	v_dual_mov_b32 v104, s2 :: v_dual_mov_b32 v1, s4
	v_cmp_ne_u32_e32 vcc_lo, 1, v0
	v_dual_mov_b32 v2, s4 :: v_dual_mov_b32 v43, s2
	v_dual_mov_b32 v0, s4 :: v_dual_mov_b32 v41, s2
	;; [unrolled: 1-line block ×4, first 2 shown]
	s_cbranch_vccnz .LBB9_11
; %bb.8:
	s_clause 0x1
	s_load_b128 s[4:7], s[0:1], 0x98
	s_load_b64 s[12:13], s[0:1], 0x8c
	s_sub_i32 s2, 0, s8
	s_abs_i32 s11, s42
	s_mul_i32 s2, s2, s10
	s_ashr_i32 s15, s42, 31
	s_mul_hi_u32 s2, s10, s2
	s_ashr_i32 s9, s9, 31
	s_add_i32 s10, s10, s2
	s_ashr_i32 s2, s3, 1
	s_mul_hi_u32 s3, s11, s10
	s_ashr_i32 s10, s33, 31
	s_load_b64 s[16:17], s[0:1], 0xa8
	s_mul_i32 s22, s3, s8
	v_lshrrev_b32_e32 v0, 3, v12
	v_mov_b32_e32 v101, 0
	v_and_b32_e32 v3, 28, v11
	v_lshl_add_u32 v64, v6, 9, 0x5800
	v_lshl_add_u32 v73, v6, 10, 0x4800
	v_add_nc_u32_e32 v0, v0, v4
	s_waitcnt lgkmcnt(0)
	s_ashr_i32 s27, s6, 2
	s_mul_i32 s5, s33, s5
	s_mul_hi_u32 s6, s33, s4
	s_ashr_i32 s35, s12, 2
	s_mul_i32 s12, s10, s4
	s_add_i32 s5, s6, s5
	s_mul_i32 s4, s33, s4
	s_add_i32 s5, s5, s12
	s_add_u32 s4, s18, s4
	s_addc_u32 s5, s19, s5
	s_xor_b32 s6, s15, s9
	s_sub_i32 s9, s11, s22
	s_add_i32 s11, s3, 1
	s_sub_i32 s12, s9, s8
	s_cmp_ge_u32 s9, s8
	s_mul_i32 s10, s10, s16
	s_cselect_b32 s3, s11, s3
	s_cselect_b32 s9, s12, s9
	s_add_i32 s11, s3, 1
	s_cmp_ge_u32 s9, s8
	s_mul_i32 s8, s33, s17
	s_cselect_b32 s3, s11, s3
	s_mul_hi_u32 s9, s33, s16
	s_xor_b32 s3, s3, s6
	v_mul_lo_u32 v1, s35, v0
	s_sub_i32 s3, s3, s6
	v_mul_lo_u32 v25, s27, v0
	s_mul_i32 s6, s3, s13
	s_mul_i32 s11, s33, s16
	s_ashr_i32 s12, s6, 31
	s_add_u32 s36, s4, s6
	s_addc_u32 s37, s5, s12
	s_add_i32 s4, s9, s8
	s_mul_i32 s3, s3, s7
	s_add_i32 s4, s4, s10
	s_add_u32 s5, s20, s11
	s_addc_u32 s4, s21, s4
	s_ashr_i32 s6, s3, 31
	s_add_u32 s43, s5, s3
	s_addc_u32 s44, s4, s6
	s_lshl_b32 s3, s35, 4
	s_lshl_b32 s4, s27, 4
	v_dual_mov_b32 v103, 0 :: v_dual_add_nc_u32 v8, s3, v1
	v_lshlrev_b32_e32 v2, 2, v3
	v_dual_mov_b32 v104, 0 :: v_dual_add_nc_u32 v27, s4, v25
	s_delay_alu instid0(VALU_DEP_3) | instskip(SKIP_1) | instid1(VALU_DEP_4)
	v_add_nc_u32_e32 v14, s3, v8
	v_mad_u64_u32 v[4:5], null, v7, s2, v[12:13]
	v_mad_u32_u24 v63, 0x90, v0, v2
	v_lshl_or_b32 v65, v0, 7, v2
	v_add_nc_u32_e32 v29, s4, v27
	v_ashrrev_i32_e32 v2, 31, v1
	v_dual_mov_b32 v0, 0xfeffffff :: v_dual_lshlrev_b32 v81, 2, v3
	v_dual_mov_b32 v3, 0xfeffffff :: v_dual_add_nc_u32 v16, s3, v14
	s_delay_alu instid0(VALU_DEP_3) | instskip(SKIP_2) | instid1(VALU_DEP_4)
	v_lshlrev_b64 v[5:6], 2, v[1:2]
	v_dual_mov_b32 v2, 0xfeffffff :: v_dual_add_nc_u32 v31, s4, v29
	v_ashrrev_i32_e32 v9, 31, v8
	v_add_nc_u32_e32 v18, s3, v16
	v_ashrrev_i32_e32 v15, 31, v14
	v_ashrrev_i32_e32 v17, 31, v16
	v_add_nc_u32_e32 v35, s4, v31
	v_ashrrev_i32_e32 v26, 31, v25
	v_add_nc_u32_e32 v20, s3, v18
	v_ashrrev_i32_e32 v19, 31, v18
	v_ashrrev_i32_e32 v28, 31, v27
	v_add_nc_u32_e32 v37, s4, v35
	;; [unrolled: 5-line block ×4, first 2 shown]
	v_ashrrev_i32_e32 v40, 31, v39
	v_ashrrev_i32_e32 v34, 31, v33
	v_lshlrev_b64 v[7:8], 2, v[8:9]
	v_lshlrev_b64 v[9:10], 2, v[14:15]
	v_ashrrev_i32_e32 v42, 31, v41
	v_lshlrev_b64 v[14:15], 2, v[16:17]
	v_lshlrev_b64 v[16:17], 2, v[18:19]
	v_lshlrev_b64 v[18:19], 2, v[20:21]
	v_lshlrev_b64 v[20:21], 2, v[22:23]
	v_lshlrev_b64 v[22:23], 2, v[33:34]
	v_add_nc_u32_e32 v82, v73, v24
	v_lshlrev_b64 v[24:25], 2, v[25:26]
	v_lshlrev_b64 v[26:27], 2, v[27:28]
	;; [unrolled: 1-line block ×7, first 2 shown]
	v_mov_b32_e32 v40, 0
	v_lshlrev_b64 v[38:39], 2, v[41:42]
	v_mul_u32_u24_e32 v62, 0x90, v12
	v_dual_mov_b32 v43, 0 :: v_dual_add_nc_u32 v66, 0x900, v63
	v_dual_mov_b32 v56, 32 :: v_dual_add_nc_u32 v67, 0x1200, v63
	v_add_nc_u32_e32 v68, 0x1b00, v63
	v_dual_mov_b32 v102, 0 :: v_dual_add_nc_u32 v69, 0x2400, v63
	v_add_nc_u32_e32 v70, 0x2d00, v63
	v_dual_mov_b32 v42, 0 :: v_dual_add_nc_u32 v71, 0x3600, v63
	v_add_nc_u32_e32 v72, 0x3f00, v63
	v_add_nc_u32_e32 v74, 0x800, v65
	v_add_nc_u32_e32 v75, 0x1000, v65
	;; [unrolled: 1-line block ×7, first 2 shown]
	v_xor_b32_e32 v61, 16, v55
	v_xor_b32_e32 v60, 8, v55
	;; [unrolled: 1-line block ×5, first 2 shown]
	v_add_nc_u32_e32 v83, 0x400, v11
	v_add_nc_u32_e32 v84, 0x800, v11
	;; [unrolled: 1-line block ×15, first 2 shown]
	v_mov_b32_e32 v1, 0xfeffffff
	v_mov_b32_e32 v41, 0
	s_add_u32 s22, s0, 0xd0
	s_addc_u32 s23, s1, 0
.LBB9_9:                                ; =>This Inner Loop Header: Depth=1
	v_cmp_gt_i32_e32 vcc_lo, 32, v61
	v_dual_mov_b32 v106, v2 :: v_dual_mov_b32 v107, v1
	v_mov_b32_e32 v124, 0
	v_dual_mov_b32 v100, v41 :: v_dual_mov_b32 v105, v3
	v_cndmask_b32_e32 v1, v55, v61, vcc_lo
	v_cmp_gt_i32_e32 vcc_lo, 32, v60
	v_dual_mov_b32 v108, v0 :: v_dual_mov_b32 v109, 0
	s_mul_hi_i32 s3, s26, s35
	s_mul_i32 s2, s26, s35
	v_dual_cndmask_b32 v2, v55, v60 :: v_dual_mov_b32 v125, v40
	v_cmp_gt_i32_e32 vcc_lo, 32, v59
	v_add_nc_u32_e32 v0, s26, v4
	v_dual_mov_b32 v98, v43 :: v_dual_mov_b32 v99, v42
	s_lshl_b64 s[2:3], s[2:3], 2
	v_cndmask_b32_e32 v3, v55, v59, vcc_lo
	v_cmp_gt_i32_e32 vcc_lo, 32, v58
	s_mul_hi_i32 s5, s26, s27
	s_mul_i32 s4, s26, s27
	s_add_u32 s8, s36, s2
	s_addc_u32 s9, s37, s3
	v_dual_cndmask_b32 v41, v55, v58 :: v_dual_lshlrev_b32 v130, 2, v1
	v_cmp_gt_i32_e32 vcc_lo, 32, v57
	v_lshlrev_b32_e32 v129, 2, v2
	v_lshlrev_b32_e32 v128, 2, v3
	s_delay_alu instid0(VALU_DEP_4) | instskip(SKIP_4) | instid1(VALU_DEP_3)
	v_lshlrev_b32_e32 v127, 2, v41
	s_lshl_b64 s[10:11], s[4:5], 2
	v_cndmask_b32_e32 v42, v55, v57, vcc_lo
	v_add_co_u32 v2, vcc_lo, s8, v7
	v_add_co_u32 v3, s2, s8, v9
	v_lshlrev_b32_e32 v126, 2, v42
	v_add_co_u32 v40, s3, s8, v14
	v_add_co_u32 v41, s4, s8, v16
	;; [unrolled: 1-line block ×6, first 2 shown]
	s_delay_alu instid0(VALU_DEP_1)
	v_add_co_ci_u32_e64 v48, s8, s9, v6, s8
	v_ashrrev_i32_e32 v1, 31, v0
	s_add_u32 s8, s43, s10
	v_add_co_ci_u32_e32 v50, vcc_lo, s9, v8, vcc_lo
	v_add_co_ci_u32_e64 v51, vcc_lo, s9, v10, s2
	v_add_co_ci_u32_e64 v134, vcc_lo, s9, v15, s3
	;; [unrolled: 1-line block ×6, first 2 shown]
	s_addc_u32 s9, s44, s11
	v_add_co_u32 v143, vcc_lo, s8, v26
	v_add_co_u32 v146, s2, s8, v28
	v_add_co_u32 v147, s3, s8, v30
	;; [unrolled: 1-line block ×7, first 2 shown]
	s_delay_alu instid0(VALU_DEP_1)
	v_add_co_ci_u32_e64 v159, s8, s9, v25, s8
	v_lshlrev_b64 v[52:53], 1, v[0:1]
	v_add_co_ci_u32_e32 v162, vcc_lo, s9, v27, vcc_lo
	v_add_co_ci_u32_e64 v163, vcc_lo, s9, v29, s2
	v_add_co_ci_u32_e64 v1, vcc_lo, s9, v31, s3
	;; [unrolled: 1-line block ×6, first 2 shown]
	v_add_co_u32 v132, s8, v46, v81
	v_add_co_u32 v136, vcc_lo, v2, v81
	v_add_co_u32 v140, s2, v3, v81
	v_add_co_ci_u32_e64 v133, s8, 0, v48, s8
	v_add_co_u32 v144, s3, v40, v81
	v_add_co_u32 v156, s6, v43, v81
	v_add_co_u32 v160, s7, v44, v81
	v_add_co_ci_u32_e32 v137, vcc_lo, 0, v50, vcc_lo
	v_add_co_u32 v148, s4, v41, v81
	v_add_co_u32 v152, s5, v42, v81
	v_add_co_ci_u32_e64 v141, vcc_lo, 0, v51, s2
	v_add_co_ci_u32_e64 v145, vcc_lo, 0, v134, s3
	;; [unrolled: 1-line block ×4, first 2 shown]
	v_add_co_u32 v2, s6, v143, v81
	v_add_co_u32 v40, s7, v146, v81
	;; [unrolled: 1-line block ×3, first 2 shown]
	v_add_co_ci_u32_e64 v149, vcc_lo, 0, v135, s4
	v_add_co_ci_u32_e64 v153, vcc_lo, 0, v138, s5
	v_add_co_u32 v42, vcc_lo, v147, v81
	v_add_co_u32 v44, s2, v150, v81
	v_add_co_u32 v46, s3, v151, v81
	;; [unrolled: 1-line block ×4, first 2 shown]
	v_add_co_ci_u32_e64 v51, s8, 0, v159, s8
	v_add_co_ci_u32_e64 v3, s6, 0, v162, s6
	;; [unrolled: 1-line block ×3, first 2 shown]
	s_clause 0x7
	global_load_b128 v[132:135], v[132:133], off
	global_load_b128 v[136:139], v[136:137], off
	;; [unrolled: 1-line block ×8, first 2 shown]
	v_dual_mov_b32 v110, 0 :: v_dual_mov_b32 v111, 0
	v_dual_mov_b32 v112, 0 :: v_dual_mov_b32 v113, 0
	v_dual_mov_b32 v114, 0 :: v_dual_mov_b32 v115, 0
	v_dual_mov_b32 v116, 0 :: v_dual_mov_b32 v117, 0
	v_dual_mov_b32 v118, 0 :: v_dual_mov_b32 v119, 0
	v_dual_mov_b32 v120, 0 :: v_dual_mov_b32 v121, 0
	v_dual_mov_b32 v122, 0 :: v_dual_mov_b32 v123, 0
	v_add_co_u32 v52, s6, s40, v52
	s_delay_alu instid0(VALU_DEP_1)
	v_add_co_ci_u32_e64 v53, s6, s41, v53, s6
	v_add_co_ci_u32_e32 v43, vcc_lo, 0, v1, vcc_lo
	v_add_co_ci_u32_e64 v45, vcc_lo, 0, v45, s2
	v_add_co_ci_u32_e64 v47, vcc_lo, 0, v47, s3
	;; [unrolled: 1-line block ×4, first 2 shown]
	s_waitcnt vmcnt(7)
	ds_store_b128 v63, v[132:135]
	s_waitcnt vmcnt(6)
	ds_store_b128 v66, v[136:139]
	;; [unrolled: 2-line block ×8, first 2 shown]
	s_waitcnt lgkmcnt(0)
	s_barrier
	buffer_gl0_inv
	ds_load_b128 v[132:135], v62
	ds_load_b128 v[136:139], v64
	ds_load_b128 v[140:143], v64 offset:128
	ds_load_b128 v[144:147], v64 offset:256
	;; [unrolled: 1-line block ×6, first 2 shown]
	s_waitcnt lgkmcnt(6)
	;;#ASMSTART
	v_dot2_f32_f16 v109, v132, v136, v109
	;;#ASMEND
	;;#ASMSTART
	v_dot2_f32_f16 v109, v133, v137, v109
	;;#ASMEND
	;;#ASMSTART
	v_dot2_f32_f16 v109, v134, v138, v109
	;;#ASMEND
	;;#ASMSTART
	v_dot2_f32_f16 v109, v135, v139, v109
	;;#ASMEND
	s_waitcnt lgkmcnt(5)
	;;#ASMSTART
	v_dot2_f32_f16 v110, v132, v140, v110
	;;#ASMEND
	;;#ASMSTART
	v_dot2_f32_f16 v110, v133, v141, v110
	;;#ASMEND
	;;#ASMSTART
	v_dot2_f32_f16 v110, v134, v142, v110
	;;#ASMEND
	;;#ASMSTART
	v_dot2_f32_f16 v110, v135, v143, v110
	;;#ASMEND
	;; [unrolled: 13-line block ×5, first 2 shown]
	;;#ASMSTART
	v_dot2_f32_f16 v114, v152, v140, v114
	;;#ASMEND
	;;#ASMSTART
	v_dot2_f32_f16 v114, v153, v141, v114
	;;#ASMEND
	;; [unrolled: 3-line block ×12, first 2 shown]
	s_waitcnt lgkmcnt(1)
	;;#ASMSTART
	v_dot2_f32_f16 v117, v156, v136, v117
	;;#ASMEND
	;;#ASMSTART
	v_dot2_f32_f16 v117, v157, v137, v117
	;;#ASMEND
	;;#ASMSTART
	v_dot2_f32_f16 v117, v158, v138, v117
	;;#ASMEND
	;;#ASMSTART
	v_dot2_f32_f16 v117, v159, v139, v117
	;;#ASMEND
	;;#ASMSTART
	v_dot2_f32_f16 v118, v156, v140, v118
	;;#ASMEND
	;;#ASMSTART
	v_dot2_f32_f16 v118, v157, v141, v118
	;;#ASMEND
	;;#ASMSTART
	v_dot2_f32_f16 v118, v158, v142, v118
	;;#ASMEND
	;;#ASMSTART
	v_dot2_f32_f16 v118, v159, v143, v118
	;;#ASMEND
	;;#ASMSTART
	v_dot2_f32_f16 v119, v156, v144, v119
	;;#ASMEND
	;;#ASMSTART
	v_dot2_f32_f16 v119, v157, v145, v119
	;;#ASMEND
	;;#ASMSTART
	v_dot2_f32_f16 v119, v158, v146, v119
	;;#ASMEND
	;;#ASMSTART
	v_dot2_f32_f16 v119, v159, v147, v119
	;;#ASMEND
	;;#ASMSTART
	v_dot2_f32_f16 v120, v156, v148, v120
	;;#ASMEND
	;;#ASMSTART
	v_dot2_f32_f16 v120, v157, v149, v120
	;;#ASMEND
	;;#ASMSTART
	v_dot2_f32_f16 v120, v158, v150, v120
	;;#ASMEND
	;;#ASMSTART
	v_dot2_f32_f16 v120, v159, v151, v120
	;;#ASMEND
	s_waitcnt lgkmcnt(0)
	;;#ASMSTART
	v_dot2_f32_f16 v121, v160, v136, v121
	;;#ASMEND
	;;#ASMSTART
	v_dot2_f32_f16 v121, v161, v137, v121
	;;#ASMEND
	;;#ASMSTART
	v_dot2_f32_f16 v121, v162, v138, v121
	;;#ASMEND
	;;#ASMSTART
	v_dot2_f32_f16 v121, v163, v139, v121
	;;#ASMEND
	;;#ASMSTART
	v_dot2_f32_f16 v122, v160, v140, v122
	;;#ASMEND
	;;#ASMSTART
	v_dot2_f32_f16 v122, v161, v141, v122
	;;#ASMEND
	;;#ASMSTART
	v_dot2_f32_f16 v122, v162, v142, v122
	;;#ASMEND
	;;#ASMSTART
	v_dot2_f32_f16 v122, v163, v143, v122
	;;#ASMEND
	;;#ASMSTART
	v_dot2_f32_f16 v123, v160, v144, v123
	;;#ASMEND
	;;#ASMSTART
	v_dot2_f32_f16 v123, v161, v145, v123
	;;#ASMEND
	;;#ASMSTART
	v_dot2_f32_f16 v123, v162, v146, v123
	;;#ASMEND
	;;#ASMSTART
	v_dot2_f32_f16 v123, v163, v147, v123
	;;#ASMEND
	;;#ASMSTART
	v_dot2_f32_f16 v124, v160, v148, v124
	;;#ASMEND
	;;#ASMSTART
	v_dot2_f32_f16 v124, v161, v149, v124
	;;#ASMEND
	;;#ASMSTART
	v_dot2_f32_f16 v124, v162, v150, v124
	;;#ASMEND
	;;#ASMSTART
	v_dot2_f32_f16 v124, v163, v151, v124
	;;#ASMEND
	ds_load_b128 v[132:135], v62 offset:16
	ds_load_b128 v[136:139], v64 offset:16
	;; [unrolled: 1-line block ×8, first 2 shown]
	s_waitcnt lgkmcnt(6)
	;;#ASMSTART
	v_dot2_f32_f16 v109, v132, v136, v109
	;;#ASMEND
	;;#ASMSTART
	v_dot2_f32_f16 v109, v133, v137, v109
	;;#ASMEND
	;;#ASMSTART
	v_dot2_f32_f16 v109, v134, v138, v109
	;;#ASMEND
	;;#ASMSTART
	v_dot2_f32_f16 v109, v135, v139, v109
	;;#ASMEND
	s_waitcnt lgkmcnt(5)
	;;#ASMSTART
	v_dot2_f32_f16 v110, v132, v140, v110
	;;#ASMEND
	;;#ASMSTART
	v_dot2_f32_f16 v110, v133, v141, v110
	;;#ASMEND
	;;#ASMSTART
	v_dot2_f32_f16 v110, v134, v142, v110
	;;#ASMEND
	;;#ASMSTART
	v_dot2_f32_f16 v110, v135, v143, v110
	;;#ASMEND
	;; [unrolled: 13-line block ×5, first 2 shown]
	;;#ASMSTART
	v_dot2_f32_f16 v114, v152, v140, v114
	;;#ASMEND
	;;#ASMSTART
	v_dot2_f32_f16 v114, v153, v141, v114
	;;#ASMEND
	;; [unrolled: 3-line block ×12, first 2 shown]
	s_waitcnt lgkmcnt(1)
	;;#ASMSTART
	v_dot2_f32_f16 v117, v156, v136, v117
	;;#ASMEND
	;;#ASMSTART
	v_dot2_f32_f16 v117, v157, v137, v117
	;;#ASMEND
	;; [unrolled: 3-line block ×16, first 2 shown]
	s_waitcnt lgkmcnt(0)
	;;#ASMSTART
	v_dot2_f32_f16 v121, v160, v136, v121
	;;#ASMEND
	;;#ASMSTART
	v_dot2_f32_f16 v121, v161, v137, v121
	;;#ASMEND
	;; [unrolled: 3-line block ×16, first 2 shown]
	ds_load_b128 v[132:135], v62 offset:32
	ds_load_b128 v[136:139], v64 offset:32
	;; [unrolled: 1-line block ×8, first 2 shown]
	s_waitcnt lgkmcnt(6)
	;;#ASMSTART
	v_dot2_f32_f16 v109, v132, v136, v109
	;;#ASMEND
	;;#ASMSTART
	v_dot2_f32_f16 v109, v133, v137, v109
	;;#ASMEND
	;;#ASMSTART
	v_dot2_f32_f16 v109, v134, v138, v109
	;;#ASMEND
	;;#ASMSTART
	v_dot2_f32_f16 v109, v135, v139, v109
	;;#ASMEND
	s_waitcnt lgkmcnt(5)
	;;#ASMSTART
	v_dot2_f32_f16 v110, v132, v140, v110
	;;#ASMEND
	;;#ASMSTART
	v_dot2_f32_f16 v110, v133, v141, v110
	;;#ASMEND
	;;#ASMSTART
	v_dot2_f32_f16 v110, v134, v142, v110
	;;#ASMEND
	;;#ASMSTART
	v_dot2_f32_f16 v110, v135, v143, v110
	;;#ASMEND
	;; [unrolled: 13-line block ×5, first 2 shown]
	;;#ASMSTART
	v_dot2_f32_f16 v114, v152, v140, v114
	;;#ASMEND
	;;#ASMSTART
	v_dot2_f32_f16 v114, v153, v141, v114
	;;#ASMEND
	;; [unrolled: 3-line block ×12, first 2 shown]
	s_waitcnt lgkmcnt(1)
	;;#ASMSTART
	v_dot2_f32_f16 v117, v156, v136, v117
	;;#ASMEND
	;;#ASMSTART
	v_dot2_f32_f16 v117, v157, v137, v117
	;;#ASMEND
	;; [unrolled: 3-line block ×16, first 2 shown]
	s_waitcnt lgkmcnt(0)
	;;#ASMSTART
	v_dot2_f32_f16 v121, v160, v136, v121
	;;#ASMEND
	;;#ASMSTART
	v_dot2_f32_f16 v121, v161, v137, v121
	;;#ASMEND
	;; [unrolled: 3-line block ×16, first 2 shown]
	ds_load_b128 v[132:135], v62 offset:48
	ds_load_b128 v[136:139], v64 offset:48
	;; [unrolled: 1-line block ×8, first 2 shown]
	s_waitcnt lgkmcnt(6)
	;;#ASMSTART
	v_dot2_f32_f16 v109, v132, v136, v109
	;;#ASMEND
	;;#ASMSTART
	v_dot2_f32_f16 v109, v133, v137, v109
	;;#ASMEND
	;;#ASMSTART
	v_dot2_f32_f16 v109, v134, v138, v109
	;;#ASMEND
	;;#ASMSTART
	v_dot2_f32_f16 v109, v135, v139, v109
	;;#ASMEND
	s_waitcnt lgkmcnt(5)
	;;#ASMSTART
	v_dot2_f32_f16 v110, v132, v140, v110
	;;#ASMEND
	;;#ASMSTART
	v_dot2_f32_f16 v110, v133, v141, v110
	;;#ASMEND
	;;#ASMSTART
	v_dot2_f32_f16 v110, v134, v142, v110
	;;#ASMEND
	;;#ASMSTART
	v_dot2_f32_f16 v110, v135, v143, v110
	;;#ASMEND
	;; [unrolled: 13-line block ×5, first 2 shown]
	;;#ASMSTART
	v_dot2_f32_f16 v114, v152, v140, v114
	;;#ASMEND
	;;#ASMSTART
	v_dot2_f32_f16 v114, v153, v141, v114
	;;#ASMEND
	;; [unrolled: 3-line block ×12, first 2 shown]
	s_waitcnt lgkmcnt(1)
	;;#ASMSTART
	v_dot2_f32_f16 v117, v156, v136, v117
	;;#ASMEND
	;;#ASMSTART
	v_dot2_f32_f16 v117, v157, v137, v117
	;;#ASMEND
	;; [unrolled: 3-line block ×16, first 2 shown]
	s_waitcnt lgkmcnt(0)
	;;#ASMSTART
	v_dot2_f32_f16 v121, v160, v136, v121
	;;#ASMEND
	;;#ASMSTART
	v_dot2_f32_f16 v121, v161, v137, v121
	;;#ASMEND
	;; [unrolled: 3-line block ×16, first 2 shown]
	ds_load_b128 v[132:135], v62 offset:64
	ds_load_b128 v[136:139], v64 offset:64
	;; [unrolled: 1-line block ×8, first 2 shown]
	s_waitcnt lgkmcnt(6)
	;;#ASMSTART
	v_dot2_f32_f16 v109, v132, v136, v109
	;;#ASMEND
	;;#ASMSTART
	v_dot2_f32_f16 v109, v133, v137, v109
	;;#ASMEND
	;;#ASMSTART
	v_dot2_f32_f16 v109, v134, v138, v109
	;;#ASMEND
	;;#ASMSTART
	v_dot2_f32_f16 v109, v135, v139, v109
	;;#ASMEND
	s_waitcnt lgkmcnt(5)
	;;#ASMSTART
	v_dot2_f32_f16 v110, v132, v140, v110
	;;#ASMEND
	;;#ASMSTART
	v_dot2_f32_f16 v110, v133, v141, v110
	;;#ASMEND
	;;#ASMSTART
	v_dot2_f32_f16 v110, v134, v142, v110
	;;#ASMEND
	;;#ASMSTART
	v_dot2_f32_f16 v110, v135, v143, v110
	;;#ASMEND
	;; [unrolled: 13-line block ×5, first 2 shown]
	;;#ASMSTART
	v_dot2_f32_f16 v114, v152, v140, v114
	;;#ASMEND
	;;#ASMSTART
	v_dot2_f32_f16 v114, v153, v141, v114
	;;#ASMEND
	;; [unrolled: 3-line block ×12, first 2 shown]
	s_waitcnt lgkmcnt(1)
	;;#ASMSTART
	v_dot2_f32_f16 v117, v156, v136, v117
	;;#ASMEND
	;;#ASMSTART
	v_dot2_f32_f16 v117, v157, v137, v117
	;;#ASMEND
	;;#ASMSTART
	v_dot2_f32_f16 v117, v158, v138, v117
	;;#ASMEND
	;;#ASMSTART
	v_dot2_f32_f16 v117, v159, v139, v117
	;;#ASMEND
	;;#ASMSTART
	v_dot2_f32_f16 v118, v156, v140, v118
	;;#ASMEND
	;;#ASMSTART
	v_dot2_f32_f16 v118, v157, v141, v118
	;;#ASMEND
	;;#ASMSTART
	v_dot2_f32_f16 v118, v158, v142, v118
	;;#ASMEND
	;;#ASMSTART
	v_dot2_f32_f16 v118, v159, v143, v118
	;;#ASMEND
	;;#ASMSTART
	v_dot2_f32_f16 v119, v156, v144, v119
	;;#ASMEND
	;;#ASMSTART
	v_dot2_f32_f16 v119, v157, v145, v119
	;;#ASMEND
	;;#ASMSTART
	v_dot2_f32_f16 v119, v158, v146, v119
	;;#ASMEND
	;;#ASMSTART
	v_dot2_f32_f16 v119, v159, v147, v119
	;;#ASMEND
	;;#ASMSTART
	v_dot2_f32_f16 v120, v156, v148, v120
	;;#ASMEND
	;;#ASMSTART
	v_dot2_f32_f16 v120, v157, v149, v120
	;;#ASMEND
	;;#ASMSTART
	v_dot2_f32_f16 v120, v158, v150, v120
	;;#ASMEND
	;;#ASMSTART
	v_dot2_f32_f16 v120, v159, v151, v120
	;;#ASMEND
	s_waitcnt lgkmcnt(0)
	;;#ASMSTART
	v_dot2_f32_f16 v121, v160, v136, v121
	;;#ASMEND
	;;#ASMSTART
	v_dot2_f32_f16 v121, v161, v137, v121
	;;#ASMEND
	;; [unrolled: 3-line block ×16, first 2 shown]
	ds_load_b128 v[132:135], v62 offset:80
	ds_load_b128 v[136:139], v64 offset:80
	;; [unrolled: 1-line block ×8, first 2 shown]
	s_waitcnt lgkmcnt(6)
	;;#ASMSTART
	v_dot2_f32_f16 v109, v132, v136, v109
	;;#ASMEND
	;;#ASMSTART
	v_dot2_f32_f16 v109, v133, v137, v109
	;;#ASMEND
	;;#ASMSTART
	v_dot2_f32_f16 v109, v134, v138, v109
	;;#ASMEND
	;;#ASMSTART
	v_dot2_f32_f16 v109, v135, v139, v109
	;;#ASMEND
	s_waitcnt lgkmcnt(5)
	;;#ASMSTART
	v_dot2_f32_f16 v110, v132, v140, v110
	;;#ASMEND
	;;#ASMSTART
	v_dot2_f32_f16 v110, v133, v141, v110
	;;#ASMEND
	;;#ASMSTART
	v_dot2_f32_f16 v110, v134, v142, v110
	;;#ASMEND
	;;#ASMSTART
	v_dot2_f32_f16 v110, v135, v143, v110
	;;#ASMEND
	;; [unrolled: 13-line block ×5, first 2 shown]
	;;#ASMSTART
	v_dot2_f32_f16 v114, v152, v140, v114
	;;#ASMEND
	;;#ASMSTART
	v_dot2_f32_f16 v114, v153, v141, v114
	;;#ASMEND
	;; [unrolled: 3-line block ×12, first 2 shown]
	s_waitcnt lgkmcnt(1)
	;;#ASMSTART
	v_dot2_f32_f16 v117, v156, v136, v117
	;;#ASMEND
	;;#ASMSTART
	v_dot2_f32_f16 v117, v157, v137, v117
	;;#ASMEND
	;; [unrolled: 3-line block ×16, first 2 shown]
	s_waitcnt lgkmcnt(0)
	;;#ASMSTART
	v_dot2_f32_f16 v121, v160, v136, v121
	;;#ASMEND
	;;#ASMSTART
	v_dot2_f32_f16 v121, v161, v137, v121
	;;#ASMEND
	;; [unrolled: 3-line block ×16, first 2 shown]
	ds_load_b128 v[132:135], v62 offset:96
	ds_load_b128 v[136:139], v64 offset:96
	;; [unrolled: 1-line block ×8, first 2 shown]
	s_waitcnt lgkmcnt(6)
	;;#ASMSTART
	v_dot2_f32_f16 v109, v132, v136, v109
	;;#ASMEND
	;;#ASMSTART
	v_dot2_f32_f16 v109, v133, v137, v109
	;;#ASMEND
	;;#ASMSTART
	v_dot2_f32_f16 v109, v134, v138, v109
	;;#ASMEND
	;;#ASMSTART
	v_dot2_f32_f16 v109, v135, v139, v109
	;;#ASMEND
	s_waitcnt lgkmcnt(5)
	;;#ASMSTART
	v_dot2_f32_f16 v110, v132, v140, v110
	;;#ASMEND
	;;#ASMSTART
	v_dot2_f32_f16 v110, v133, v141, v110
	;;#ASMEND
	;;#ASMSTART
	v_dot2_f32_f16 v110, v134, v142, v110
	;;#ASMEND
	;;#ASMSTART
	v_dot2_f32_f16 v110, v135, v143, v110
	;;#ASMEND
	;; [unrolled: 13-line block ×5, first 2 shown]
	;;#ASMSTART
	v_dot2_f32_f16 v114, v152, v140, v114
	;;#ASMEND
	;;#ASMSTART
	v_dot2_f32_f16 v114, v153, v141, v114
	;;#ASMEND
	;; [unrolled: 3-line block ×12, first 2 shown]
	s_waitcnt lgkmcnt(1)
	;;#ASMSTART
	v_dot2_f32_f16 v117, v156, v136, v117
	;;#ASMEND
	;;#ASMSTART
	v_dot2_f32_f16 v117, v157, v137, v117
	;;#ASMEND
	;; [unrolled: 3-line block ×16, first 2 shown]
	s_waitcnt lgkmcnt(0)
	;;#ASMSTART
	v_dot2_f32_f16 v121, v160, v136, v121
	;;#ASMEND
	;;#ASMSTART
	v_dot2_f32_f16 v121, v161, v137, v121
	;;#ASMEND
	;; [unrolled: 3-line block ×16, first 2 shown]
	ds_load_b128 v[132:135], v62 offset:112
	ds_load_b128 v[136:139], v64 offset:112
	;; [unrolled: 1-line block ×8, first 2 shown]
	s_waitcnt lgkmcnt(6)
	;;#ASMSTART
	v_dot2_f32_f16 v109, v132, v136, v109
	;;#ASMEND
	;;#ASMSTART
	v_dot2_f32_f16 v109, v133, v137, v109
	;;#ASMEND
	;;#ASMSTART
	v_dot2_f32_f16 v109, v134, v138, v109
	;;#ASMEND
	;;#ASMSTART
	v_dot2_f32_f16 v109, v135, v139, v109
	;;#ASMEND
	s_waitcnt lgkmcnt(5)
	;;#ASMSTART
	v_dot2_f32_f16 v110, v132, v140, v110
	;;#ASMEND
	;;#ASMSTART
	v_dot2_f32_f16 v110, v133, v141, v110
	;;#ASMEND
	;;#ASMSTART
	v_dot2_f32_f16 v110, v134, v142, v110
	;;#ASMEND
	;;#ASMSTART
	v_dot2_f32_f16 v110, v135, v143, v110
	;;#ASMEND
	;; [unrolled: 13-line block ×5, first 2 shown]
	;;#ASMSTART
	v_dot2_f32_f16 v114, v152, v140, v114
	;;#ASMEND
	;;#ASMSTART
	v_dot2_f32_f16 v114, v153, v141, v114
	;;#ASMEND
	;; [unrolled: 3-line block ×12, first 2 shown]
	s_waitcnt lgkmcnt(1)
	;;#ASMSTART
	v_dot2_f32_f16 v117, v156, v136, v117
	;;#ASMEND
	;;#ASMSTART
	v_dot2_f32_f16 v117, v157, v137, v117
	;;#ASMEND
	;; [unrolled: 3-line block ×16, first 2 shown]
	s_waitcnt lgkmcnt(0)
	;;#ASMSTART
	v_dot2_f32_f16 v121, v160, v136, v121
	;;#ASMEND
	;;#ASMSTART
	v_dot2_f32_f16 v121, v161, v137, v121
	;;#ASMEND
	;; [unrolled: 3-line block ×16, first 2 shown]
	s_clause 0x3
	flat_load_u16 v159, v[52:53] offset:64
	flat_load_u16 v160, v[52:53] offset:128
	flat_load_u16 v161, v[52:53]
	flat_load_u16 v162, v[52:53] offset:192
	s_waitcnt vmcnt(0) lgkmcnt(0)
	s_barrier
	buffer_gl0_inv
	s_clause 0x7
	global_load_b128 v[50:53], v[50:51], off
	global_load_b128 v[131:134], v[2:3], off
	global_load_b128 v[135:138], v[40:41], off
	global_load_b128 v[139:142], v[42:43], off
	global_load_b128 v[143:146], v[44:45], off
	global_load_b128 v[147:150], v[46:47], off
	global_load_b128 v[151:154], v[48:49], off
	global_load_b128 v[155:158], v[0:1], off
	v_cvt_f32_f16_e64 v0, v159
	v_cvt_f32_f16_e64 v1, v160
	;; [unrolled: 1-line block ×4, first 2 shown]
	s_delay_alu instid0(VALU_DEP_4) | instskip(NEXT) | instid1(VALU_DEP_4)
	v_add_f32_e32 v40, v113, v0
	v_dual_add_f32 v44, v115, v0 :: v_dual_add_f32 v47, v120, v1
	s_delay_alu instid0(VALU_DEP_4)
	v_dual_add_f32 v46, v116, v0 :: v_dual_add_f32 v49, v109, v2
	v_dual_add_f32 v41, v117, v1 :: v_dual_add_f32 v42, v114, v0
	v_add_f32_e32 v45, v119, v1
	v_add_f32_e32 v43, v118, v1
	v_dual_add_f32 v48, v110, v2 :: v_dual_add_f32 v113, v124, v3
	v_dual_add_f32 v109, v122, v3 :: v_dual_add_f32 v112, v112, v2
	;; [unrolled: 1-line block ×3, first 2 shown]
	v_add_f32_e32 v0, 0x40051340, v40
	v_dual_add_f32 v2, 0x40051340, v44 :: v_dual_add_f32 v115, 0x40051340, v49
	v_dual_add_f32 v114, v123, v3 :: v_dual_add_f32 v1, 0x40051340, v42
	;; [unrolled: 1-line block ×4, first 2 shown]
	v_add_f32_e32 v119, 0x40051340, v110
	v_max3_f32 v0, v108, v115, v0
	v_dual_add_f32 v122, 0x40051340, v112 :: v_dual_add_f32 v123, 0x40051340, v45
	v_dual_add_f32 v120, 0x40051340, v109 :: v_dual_add_f32 v121, 0x40051340, v111
	s_delay_alu instid0(VALU_DEP_3)
	v_max3_f32 v0, v0, v117, v119
	v_dual_add_f32 v124, 0x40051340, v47 :: v_dual_add_f32 v159, 0x40051340, v114
	v_max3_f32 v1, v107, v116, v1
	v_max3_f32 v3, v105, v122, v3
	ds_bpermute_b32 v115, v130, v0
	v_add_f32_e32 v160, 0x40051340, v113
	v_max3_f32 v2, v106, v121, v2
	v_max3_f32 v1, v1, v118, v120
	s_delay_alu instid0(VALU_DEP_2)
	v_max3_f32 v2, v2, v123, v159
	ds_bpermute_b32 v116, v130, v1
	ds_bpermute_b32 v118, v130, v2
	s_waitcnt lgkmcnt(2)
	v_max_f32_e32 v115, v115, v115
	v_max3_f32 v3, v3, v124, v160
	ds_bpermute_b32 v117, v130, v3
	s_waitcnt lgkmcnt(0)
	v_dual_max_f32 v116, v116, v116 :: v_dual_max_f32 v117, v117, v117
	v_max_f32_e32 v0, v0, v115
	s_delay_alu instid0(VALU_DEP_2) | instskip(NEXT) | instid1(VALU_DEP_3)
	v_dual_max_f32 v118, v118, v118 :: v_dual_max_f32 v1, v1, v116
	v_max_f32_e32 v3, v3, v117
	ds_bpermute_b32 v115, v129, v0
	v_max_f32_e32 v2, v2, v118
	ds_bpermute_b32 v116, v129, v1
	ds_bpermute_b32 v117, v129, v3
	s_waitcnt lgkmcnt(2)
	v_max_f32_e32 v115, v115, v115
	ds_bpermute_b32 v118, v129, v2
	s_waitcnt lgkmcnt(1)
	v_dual_max_f32 v116, v116, v116 :: v_dual_max_f32 v117, v117, v117
	s_delay_alu instid0(VALU_DEP_1) | instskip(NEXT) | instid1(VALU_DEP_2)
	v_dual_max_f32 v0, v0, v115 :: v_dual_max_f32 v1, v1, v116
	v_max_f32_e32 v3, v3, v117
	ds_bpermute_b32 v115, v128, v0
	ds_bpermute_b32 v116, v128, v1
	;; [unrolled: 1-line block ×3, first 2 shown]
	s_waitcnt lgkmcnt(3)
	v_max_f32_e32 v118, v118, v118
	s_waitcnt lgkmcnt(2)
	s_delay_alu instid0(VALU_DEP_1) | instskip(SKIP_3) | instid1(VALU_DEP_1)
	v_dual_max_f32 v2, v2, v118 :: v_dual_max_f32 v115, v115, v115
	ds_bpermute_b32 v118, v128, v2
	s_waitcnt lgkmcnt(1)
	v_dual_max_f32 v116, v116, v116 :: v_dual_max_f32 v117, v117, v117
	v_dual_max_f32 v0, v0, v115 :: v_dual_max_f32 v1, v1, v116
	s_delay_alu instid0(VALU_DEP_2)
	v_max_f32_e32 v3, v3, v117
	ds_bpermute_b32 v115, v127, v0
	ds_bpermute_b32 v116, v127, v1
	;; [unrolled: 1-line block ×3, first 2 shown]
	s_waitcnt lgkmcnt(3)
	v_max_f32_e32 v118, v118, v118
	s_waitcnt lgkmcnt(2)
	s_delay_alu instid0(VALU_DEP_1) | instskip(SKIP_3) | instid1(VALU_DEP_1)
	v_dual_max_f32 v2, v2, v118 :: v_dual_max_f32 v115, v115, v115
	ds_bpermute_b32 v118, v127, v2
	s_waitcnt lgkmcnt(1)
	v_dual_max_f32 v116, v116, v116 :: v_dual_max_f32 v117, v117, v117
	v_dual_max_f32 v0, v0, v115 :: v_dual_max_f32 v1, v1, v116
	s_delay_alu instid0(VALU_DEP_2)
	v_max_f32_e32 v3, v3, v117
	ds_bpermute_b32 v115, v126, v0
	ds_bpermute_b32 v116, v126, v1
	;; [unrolled: 1-line block ×3, first 2 shown]
	s_waitcnt lgkmcnt(3)
	v_max_f32_e32 v118, v118, v118
	s_waitcnt lgkmcnt(2)
	s_delay_alu instid0(VALU_DEP_1) | instskip(SKIP_3) | instid1(VALU_DEP_1)
	v_dual_max_f32 v2, v2, v118 :: v_dual_max_f32 v115, v115, v115
	ds_bpermute_b32 v118, v126, v2
	s_waitcnt lgkmcnt(1)
	v_dual_max_f32 v116, v116, v116 :: v_dual_max_f32 v117, v117, v117
	v_dual_max_f32 v0, v0, v115 :: v_dual_max_f32 v1, v1, v116
	s_delay_alu instid0(VALU_DEP_1) | instskip(NEXT) | instid1(VALU_DEP_2)
	v_dual_max_f32 v3, v3, v117 :: v_dual_sub_f32 v108, v108, v0
	v_dual_sub_f32 v40, v40, v0 :: v_dual_sub_f32 v43, v43, v1
	v_dual_sub_f32 v49, v49, v0 :: v_dual_sub_f32 v48, v48, v1
	v_sub_f32_e32 v41, v41, v0
	v_dual_sub_f32 v110, v110, v0 :: v_dual_sub_f32 v109, v109, v1
	v_sub_f32_e32 v107, v107, v1
	v_sub_f32_e32 v105, v105, v3
	v_dual_sub_f32 v46, v46, v3 :: v_dual_mul_f32 v115, 0x3fb8aa3b, v40
	s_waitcnt lgkmcnt(0)
	v_dual_max_f32 v118, v118, v118 :: v_dual_sub_f32 v47, v47, v3
	v_dual_sub_f32 v113, v113, v3 :: v_dual_mul_f32 v116, 0x3fb8aa3b, v48
	s_delay_alu instid0(VALU_DEP_2) | instskip(SKIP_3) | instid1(VALU_DEP_4)
	v_dual_mul_f32 v117, 0x3fb8aa3b, v49 :: v_dual_max_f32 v2, v2, v118
	v_sub_f32_e32 v42, v42, v1
	v_sub_f32_e32 v112, v112, v3
	v_dual_mul_f32 v118, 0x3fb8aa3b, v41 :: v_dual_mul_f32 v119, 0x3fb8aa3b, v110
	v_sub_f32_e32 v106, v106, v2
	v_sub_f32_e32 v44, v44, v2
	;; [unrolled: 1-line block ×5, first 2 shown]
	v_dual_mul_f32 v120, 0x3fb8aa3b, v108 :: v_dual_mul_f32 v121, 0x3fb8aa3b, v42
	v_dual_mul_f32 v124, 0x3fb8aa3b, v107 :: v_dual_mul_f32 v127, 0x3fb8aa3b, v112
	;; [unrolled: 1-line block ×7, first 2 shown]
	v_fma_f32 v164, 0x3fb8aa3b, v40, -v115
	v_rndne_f32_e32 v165, v115
	v_fma_f32 v166, 0x3fb8aa3b, v48, -v116
	v_rndne_f32_e32 v167, v116
	;; [unrolled: 2-line block ×7, first 2 shown]
	v_rndne_f32_e32 v187, v127
	v_mul_f32_e32 v162, 0x3fb8aa3b, v113
	v_fma_f32 v178, 0x3fb8aa3b, v43, -v122
	v_rndne_f32_e32 v179, v122
	v_fma_f32 v180, 0x3fb8aa3b, v109, -v123
	v_rndne_f32_e32 v181, v123
	v_fma_f32 v186, 0x3fb8aa3b, v112, -v127
	v_sub_f32_e32 v127, v127, v187
	v_rndne_f32_e32 v191, v129
	v_rndne_f32_e32 v195, v159
	v_fma_f32 v198, 0x3fb8aa3b, v47, -v161
	v_rndne_f32_e32 v199, v161
	v_fma_f32 v200, 0x3fb8aa3b, v113, -v162
	;; [unrolled: 2-line block ×3, first 2 shown]
	v_rndne_f32_e32 v203, v163
	v_dual_fmac_f32 v164, 0x32a5705f, v40 :: v_dual_sub_f32 v115, v115, v165
	v_dual_fmac_f32 v166, 0x32a5705f, v48 :: v_dual_sub_f32 v117, v117, v169
	v_dual_sub_f32 v116, v116, v167 :: v_dual_sub_f32 v119, v119, v173
	v_fmac_f32_e32 v168, 0x32a5705f, v49
	v_fmac_f32_e32 v170, 0x32a5705f, v41
	v_dual_sub_f32 v118, v118, v171 :: v_dual_sub_f32 v121, v121, v177
	v_dual_fmac_f32 v172, 0x32a5705f, v110 :: v_dual_sub_f32 v123, v123, v181
	v_dual_fmac_f32 v174, 0x32a5705f, v108 :: v_dual_sub_f32 v161, v161, v199
	v_dual_sub_f32 v120, v120, v175 :: v_dual_add_f32 v115, v115, v164
	v_dual_fmac_f32 v176, 0x32a5705f, v42 :: v_dual_sub_f32 v163, v163, v203
	v_fma_f32 v188, 0x3fb8aa3b, v111, -v128
	v_fma_f32 v190, 0x3fb8aa3b, v45, -v129
	;; [unrolled: 1-line block ×3, first 2 shown]
	v_dual_sub_f32 v122, v122, v179 :: v_dual_add_f32 v119, v119, v172
	v_dual_fmac_f32 v180, 0x32a5705f, v109 :: v_dual_add_f32 v121, v121, v176
	v_sub_f32_e32 v129, v129, v191
	v_dual_fmac_f32 v178, 0x32a5705f, v43 :: v_dual_add_f32 v117, v117, v168
	v_sub_f32_e32 v159, v159, v195
	v_fmac_f32_e32 v198, 0x32a5705f, v47
	v_fmac_f32_e32 v200, 0x32a5705f, v113
	v_sub_f32_e32 v162, v162, v201
	v_fmac_f32_e32 v202, 0x32a5705f, v105
	v_add_f32_e32 v116, v116, v166
	v_add_f32_e32 v118, v118, v170
	;; [unrolled: 1-line block ×3, first 2 shown]
	v_dual_fmac_f32 v186, 0x32a5705f, v112 :: v_dual_add_f32 v161, v161, v198
	v_dual_fmac_f32 v188, 0x32a5705f, v111 :: v_dual_add_f32 v163, v163, v202
	v_add_f32_e32 v162, v162, v200
	v_exp_f32_e32 v115, v115
	v_exp_f32_e32 v116, v116
	;; [unrolled: 1-line block ×7, first 2 shown]
	v_cvt_i32_f32_e32 v165, v165
	v_cvt_i32_f32_e32 v167, v167
	;; [unrolled: 1-line block ×7, first 2 shown]
	v_exp_f32_e32 v161, v161
	v_exp_f32_e32 v162, v162
	;; [unrolled: 1-line block ×3, first 2 shown]
	v_cvt_i32_f32_e32 v199, v199
	v_cvt_i32_f32_e32 v201, v201
	;; [unrolled: 1-line block ×3, first 2 shown]
	v_ldexp_f32 v115, v115, v165
	v_ldexp_f32 v116, v116, v167
	v_cmp_ngt_f32_e32 vcc_lo, 0xc2ce8ed0, v48
	v_ldexp_f32 v117, v117, v169
	v_cmp_ngt_f32_e64 s2, 0xc2ce8ed0, v49
	v_ldexp_f32 v118, v118, v171
	v_cmp_ngt_f32_e64 s3, 0xc2ce8ed0, v41
	;; [unrolled: 2-line block ×5, first 2 shown]
	v_cmp_ngt_f32_e64 s21, 0xc2ce8ed0, v40
	v_rndne_f32_e32 v189, v128
	v_fma_f32 v192, 0x3fb8aa3b, v114, -v130
	v_rndne_f32_e32 v193, v130
	v_fma_f32 v196, 0x3fb8aa3b, v46, -v160
	v_rndne_f32_e32 v197, v160
	v_ldexp_f32 v161, v161, v199
	v_cmp_ngt_f32_e64 s18, 0xc2ce8ed0, v47
	v_ldexp_f32 v162, v162, v201
	v_cmp_ngt_f32_e64 s19, 0xc2ce8ed0, v113
	;; [unrolled: 2-line block ×3, first 2 shown]
	v_cndmask_b32_e64 v115, 0, v115, s21
	v_cndmask_b32_e32 v116, 0, v116, vcc_lo
	v_cmp_nlt_f32_e32 vcc_lo, 0x42b17218, v48
	v_cndmask_b32_e64 v48, 0, v117, s2
	v_cmp_nlt_f32_e64 s2, 0x42b17218, v49
	v_cndmask_b32_e64 v49, 0, v118, s3
	v_cmp_nlt_f32_e64 s3, 0x42b17218, v41
	;; [unrolled: 2-line block ×5, first 2 shown]
	v_cmp_nlt_f32_e64 s21, 0x42b17218, v40
	v_rndne_f32_e32 v185, v126
	v_sub_f32_e32 v128, v128, v189
	v_sub_f32_e32 v130, v130, v193
	;; [unrolled: 1-line block ×3, first 2 shown]
	v_cndmask_b32_e64 v118, 0, v161, s18
	v_cmp_nlt_f32_e64 s18, 0x42b17218, v47
	v_cndmask_b32_e64 v47, 0, v162, s19
	v_cmp_nlt_f32_e64 s19, 0x42b17218, v113
	;; [unrolled: 2-line block ×3, first 2 shown]
	v_cndmask_b32_e64 v105, 0x7f800000, v115, s21
	v_cndmask_b32_e32 v115, 0x7f800000, v116, vcc_lo
	v_cndmask_b32_e64 v48, 0x7f800000, v48, s2
	v_fmac_f32_e32 v192, 0x32a5705f, v114
	v_cndmask_b32_e64 v49, 0x7f800000, v49, s3
	v_fmac_f32_e32 v196, 0x32a5705f, v46
	v_cndmask_b32_e64 v116, 0x7f800000, v41, s4
	v_cndmask_b32_e64 v41, 0x7f800000, v108, s6
	v_fmac_f32_e32 v194, 0x32a5705f, v106
	v_fma_f32 v184, 0x3fb8aa3b, v44, -v126
	v_sub_f32_e32 v126, v126, v185
	v_add_f32_e32 v130, v130, v192
	s_delay_alu instid0(VALU_DEP_4) | instskip(SKIP_2) | instid1(VALU_DEP_4)
	v_dual_add_f32 v160, v160, v196 :: v_dual_add_f32 v159, v159, v194
	v_cvt_i32_f32_e32 v193, v193
	v_cvt_i32_f32_e32 v195, v195
	v_exp_f32_e32 v130, v130
	s_delay_alu instid0(VALU_DEP_3)
	v_exp_f32_e32 v160, v160
	v_exp_f32_e32 v159, v159
	v_cvt_i32_f32_e32 v197, v197
	v_cmp_ngt_f32_e64 s15, 0xc2ce8ed0, v114
	v_cmp_ngt_f32_e64 s16, 0xc2ce8ed0, v106
	;; [unrolled: 1-line block ×3, first 2 shown]
	v_fma_f32 v182, 0x3fb8aa3b, v107, -v124
	v_rndne_f32_e32 v183, v124
	v_add_f32_e32 v122, v122, v178
	v_ldexp_f32 v130, v130, v193
	v_ldexp_f32 v160, v160, v197
	;; [unrolled: 1-line block ×3, first 2 shown]
	v_dual_fmac_f32 v182, 0x32a5705f, v107 :: v_dual_add_f32 v123, v123, v180
	s_delay_alu instid0(VALU_DEP_4) | instskip(SKIP_1) | instid1(VALU_DEP_4)
	v_cndmask_b32_e64 v117, 0, v130, s15
	v_cmp_nlt_f32_e64 s15, 0x42b17218, v114
	v_cndmask_b32_e64 v114, 0, v159, s16
	v_cmp_nlt_f32_e64 s16, 0x42b17218, v106
	;; [unrolled: 2-line block ×3, first 2 shown]
	v_dual_sub_f32 v124, v124, v183 :: v_dual_add_f32 v127, v127, v186
	v_add_f32_e32 v128, v128, v188
	v_exp_f32_e32 v122, v122
	s_delay_alu instid0(VALU_DEP_3)
	v_cndmask_b32_e64 v106, 0x7f800000, v106, s17
	v_fmac_f32_e32 v190, 0x32a5705f, v45
	v_fmac_f32_e32 v184, 0x32a5705f, v44
	v_add_f32_e32 v124, v124, v182
	v_exp_f32_e32 v123, v123
	v_exp_f32_e32 v127, v127
	s_delay_alu instid0(VALU_DEP_2) | instskip(NEXT) | instid1(VALU_DEP_2)
	v_dual_add_f32 v129, v129, v190 :: v_dual_add_f32 v126, v126, v184
	v_exp_f32_e32 v124, v124
	v_exp_f32_e32 v128, v128
	v_cvt_i32_f32_e32 v179, v179
	s_delay_alu instid0(VALU_DEP_2)
	v_exp_f32_e32 v129, v129
	v_exp_f32_e32 v126, v126
	v_cvt_i32_f32_e32 v181, v181
	v_cvt_i32_f32_e32 v183, v183
	;; [unrolled: 1-line block ×6, first 2 shown]
	v_ldexp_f32 v122, v122, v179
	v_cmp_ngt_f32_e64 s7, 0xc2ce8ed0, v43
	v_ldexp_f32 v123, v123, v181
	v_cmp_ngt_f32_e64 s8, 0xc2ce8ed0, v109
	;; [unrolled: 2-line block ×7, first 2 shown]
	v_cndmask_b32_e64 v42, 0, v122, s7
	v_cmp_nlt_f32_e64 s7, 0x42b17218, v43
	v_cndmask_b32_e64 v43, 0, v123, s8
	v_cmp_nlt_f32_e64 s8, 0x42b17218, v109
	;; [unrolled: 2-line block ×7, first 2 shown]
	v_cndmask_b32_e64 v45, 0x7f800000, v110, s5
	v_cndmask_b32_e64 v110, 0x7f800000, v42, s7
	;; [unrolled: 1-line block ×13, first 2 shown]
	v_add_f32_e32 v113, v48, v105
	v_cvt_f16_f32_e32 v47, v105
	v_cvt_f16_f32_e32 v118, v115
	;; [unrolled: 1-line block ×3, first 2 shown]
	v_add_f32_e32 v115, v115, v41
	v_cvt_f16_f32_e32 v119, v41
	v_add_f32_e32 v122, v108, v42
	v_cvt_f16_f32_e32 v123, v42
	v_cvt_f16_f32_e32 v41, v107
	;; [unrolled: 1-line block ×3, first 2 shown]
	v_add_f32_e32 v127, v107, v106
	v_cvt_f16_f32_e32 v106, v106
	v_cvt_f16_f32_e32 v105, v49
	;; [unrolled: 1-line block ×9, first 2 shown]
	v_pack_b32_f16 v42, v42, v41
	v_pack_b32_f16 v41, v48, v118
	;; [unrolled: 1-line block ×8, first 2 shown]
	v_add_f32_e32 v113, v49, v113
	ds_store_2addr_b64 v82, v[41:42], v[47:48] offset1:32
	ds_store_2addr_b64 v82, v[105:106], v[107:108] offset0:64 offset1:96
	s_waitcnt vmcnt(7)
	ds_store_b128 v65, v[50:53]
	s_waitcnt vmcnt(6)
	ds_store_b128 v74, v[131:134]
	;; [unrolled: 2-line block ×8, first 2 shown]
	s_waitcnt lgkmcnt(0)
	s_barrier
	buffer_gl0_inv
	ds_load_2addr_b32 v[52:53], v11 offset1:32
	ds_load_b128 v[48:51], v73
	v_cvt_f16_f32_e64 v128, v44
	v_dual_add_f32 v42, v110, v115 :: v_dual_add_f32 v47, v109, v122
	v_add_f32_e32 v105, v112, v127
	v_cvt_f16_f32_e64 v159, v45
	v_cvt_f16_f32_e64 v160, v40
	;; [unrolled: 1-line block ×3, first 2 shown]
	v_pk_mul_f16 v101, v128, v101 op_sel_hi:[0,1]
	v_dual_add_f32 v41, v116, v113 :: v_dual_add_f32 v42, v43, v42
	v_add_f32_e32 v43, v111, v47
	v_add_f32_e32 v47, v114, v105
	ds_load_b128 v[105:108], v73 offset:16
	ds_load_b128 v[109:112], v73 offset:32
	;; [unrolled: 1-line block ×3, first 2 shown]
	ds_load_2addr_b32 v[126:127], v11 offset0:64 offset1:96
	ds_load_2addr_b32 v[128:129], v11 offset0:128 offset1:160
	;; [unrolled: 1-line block ×3, first 2 shown]
	ds_load_2addr_b32 v[132:133], v83 offset1:32
	ds_load_2addr_b32 v[134:135], v83 offset0:64 offset1:96
	ds_load_b128 v[117:120], v73 offset:64
	ds_load_b128 v[121:124], v73 offset:80
	v_dual_fmac_f32 v41, v100, v45 :: v_dual_fmac_f32 v42, v99, v40
	v_fmac_f32_e32 v43, v98, v46
	s_waitcnt lgkmcnt(10)
	v_pk_mul_f16 v136, v52, v48 op_sel_hi:[1,0]
	v_pk_mul_f16 v48, v52, v48 op_sel:[0,1]
	v_pk_mul_f16 v137, v52, v49 op_sel_hi:[1,0]
	v_pk_fma_f16 v49, v52, v49, v101 op_sel:[0,1,0]
	s_delay_alu instid0(VALU_DEP_4) | instskip(NEXT) | instid1(VALU_DEP_4)
	v_pk_fma_f16 v52, v159, v104, v136 op_sel_hi:[0,1,1]
	v_pk_fma_f16 v48, v160, v103, v48 op_sel_hi:[0,1,1]
	s_delay_alu instid0(VALU_DEP_4) | instskip(NEXT) | instid1(VALU_DEP_4)
	v_pk_fma_f16 v101, v161, v102, v137 op_sel_hi:[0,1,1]
	v_pk_fma_f16 v49, v53, v51, v49 op_sel:[0,1,0]
	ds_load_2addr_b32 v[136:137], v83 offset0:128 offset1:160
	v_pk_fma_f16 v102, v53, v50, v52 op_sel_hi:[1,0,1]
	v_pk_fma_f16 v48, v53, v50, v48 op_sel:[0,1,0]
	v_pk_fma_f16 v50, v53, v51, v101 op_sel_hi:[1,0,1]
	s_waitcnt lgkmcnt(7)
	v_pk_fma_f16 v101, v126, v106, v49 op_sel:[0,1,0]
	ds_load_2addr_b32 v[52:53], v83 offset0:192 offset1:224
	v_pk_fma_f16 v102, v126, v105, v102 op_sel_hi:[1,0,1]
	v_pk_fma_f16 v103, v126, v105, v48 op_sel:[0,1,0]
	v_pk_fma_f16 v104, v126, v106, v50 op_sel_hi:[1,0,1]
	ds_load_b128 v[48:51], v73 offset:96
	v_pk_fma_f16 v105, v127, v108, v101 op_sel:[0,1,0]
	v_pk_fma_f16 v106, v127, v107, v102 op_sel_hi:[1,0,1]
	v_pk_fma_f16 v107, v127, v107, v103 op_sel:[0,1,0]
	v_pk_fma_f16 v108, v127, v108, v104 op_sel_hi:[1,0,1]
	ds_load_b128 v[101:104], v73 offset:112
	s_waitcnt lgkmcnt(9)
	v_pk_fma_f16 v105, v128, v110, v105 op_sel:[0,1,0]
	v_pk_fma_f16 v106, v128, v109, v106 op_sel_hi:[1,0,1]
	v_pk_fma_f16 v107, v128, v109, v107 op_sel:[0,1,0]
	v_pk_fma_f16 v108, v128, v110, v108 op_sel_hi:[1,0,1]
	ds_load_2addr_b32 v[126:127], v84 offset1:32
	v_pk_fma_f16 v105, v129, v112, v105 op_sel:[0,1,0]
	v_pk_fma_f16 v106, v129, v111, v106 op_sel_hi:[1,0,1]
	v_pk_fma_f16 v107, v129, v111, v107 op_sel:[0,1,0]
	v_pk_fma_f16 v108, v129, v112, v108 op_sel_hi:[1,0,1]
	ds_load_2addr_b32 v[128:129], v84 offset0:64 offset1:96
	s_waitcnt lgkmcnt(10)
	v_pk_fma_f16 v109, v130, v114, v105 op_sel:[0,1,0]
	v_pk_fma_f16 v110, v130, v113, v106 op_sel_hi:[1,0,1]
	v_pk_fma_f16 v111, v130, v113, v107 op_sel:[0,1,0]
	v_pk_fma_f16 v112, v130, v114, v108 op_sel_hi:[1,0,1]
	ds_load_b128 v[105:108], v73 offset:128
	v_pk_fma_f16 v113, v131, v116, v109 op_sel:[0,1,0]
	v_pk_fma_f16 v114, v131, v115, v110 op_sel_hi:[1,0,1]
	v_pk_fma_f16 v115, v131, v115, v111 op_sel:[0,1,0]
	v_pk_fma_f16 v116, v131, v116, v112 op_sel_hi:[1,0,1]
	ds_load_b128 v[109:112], v73 offset:144
	s_waitcnt lgkmcnt(9)
	v_pk_fma_f16 v113, v132, v118, v113 op_sel:[0,1,0]
	v_pk_fma_f16 v114, v132, v117, v114 op_sel_hi:[1,0,1]
	v_pk_fma_f16 v115, v132, v117, v115 op_sel:[0,1,0]
	v_pk_fma_f16 v116, v132, v118, v116 op_sel_hi:[1,0,1]
	ds_load_2addr_b32 v[130:131], v84 offset0:128 offset1:160
	v_pk_fma_f16 v113, v133, v120, v113 op_sel:[0,1,0]
	v_pk_fma_f16 v114, v133, v119, v114 op_sel_hi:[1,0,1]
	v_pk_fma_f16 v115, v133, v119, v115 op_sel:[0,1,0]
	v_pk_fma_f16 v116, v133, v120, v116 op_sel_hi:[1,0,1]
	ds_load_2addr_b32 v[132:133], v84 offset0:192 offset1:224
	s_waitcnt lgkmcnt(10)
	v_pk_fma_f16 v117, v134, v122, v113 op_sel:[0,1,0]
	v_pk_fma_f16 v118, v134, v121, v114 op_sel_hi:[1,0,1]
	v_pk_fma_f16 v119, v134, v121, v115 op_sel:[0,1,0]
	v_pk_fma_f16 v120, v134, v122, v116 op_sel_hi:[1,0,1]
	ds_load_b128 v[113:116], v73 offset:160
	v_pk_fma_f16 v121, v135, v124, v117 op_sel:[0,1,0]
	v_pk_fma_f16 v122, v135, v123, v118 op_sel_hi:[1,0,1]
	v_pk_fma_f16 v123, v135, v123, v119 op_sel:[0,1,0]
	v_pk_fma_f16 v124, v135, v124, v120 op_sel_hi:[1,0,1]
	ds_load_b128 v[117:120], v73 offset:176
	s_waitcnt lgkmcnt(9)
	v_pk_fma_f16 v134, v136, v49, v121 op_sel:[0,1,0]
	v_pk_fma_f16 v135, v136, v48, v122 op_sel_hi:[1,0,1]
	v_pk_fma_f16 v48, v136, v48, v123 op_sel:[0,1,0]
	v_pk_fma_f16 v49, v136, v49, v124 op_sel_hi:[1,0,1]
	ds_load_2addr_b32 v[121:122], v85 offset1:32
	v_pk_fma_f16 v134, v137, v51, v134 op_sel:[0,1,0]
	v_pk_fma_f16 v135, v137, v50, v135 op_sel_hi:[1,0,1]
	v_pk_fma_f16 v48, v137, v50, v48 op_sel:[0,1,0]
	v_pk_fma_f16 v49, v137, v51, v49 op_sel_hi:[1,0,1]
	ds_load_2addr_b32 v[123:124], v85 offset0:64 offset1:96
	s_waitcnt lgkmcnt(10)
	v_pk_fma_f16 v134, v52, v102, v134 op_sel:[0,1,0]
	v_pk_fma_f16 v135, v52, v101, v135 op_sel_hi:[1,0,1]
	v_pk_fma_f16 v101, v52, v101, v48 op_sel:[0,1,0]
	v_pk_fma_f16 v52, v52, v102, v49 op_sel_hi:[1,0,1]
	ds_load_b128 v[48:51], v73 offset:192
	v_pk_fma_f16 v134, v53, v104, v134 op_sel:[0,1,0]
	v_pk_fma_f16 v135, v53, v103, v135 op_sel_hi:[1,0,1]
	v_pk_fma_f16 v136, v53, v103, v101 op_sel:[0,1,0]
	v_pk_fma_f16 v52, v53, v104, v52 op_sel_hi:[1,0,1]
	ds_load_b128 v[101:104], v73 offset:208
	s_waitcnt lgkmcnt(9)
	v_pk_fma_f16 v134, v126, v106, v134 op_sel:[0,1,0]
	v_pk_fma_f16 v135, v126, v105, v135 op_sel_hi:[1,0,1]
	v_pk_fma_f16 v105, v126, v105, v136 op_sel:[0,1,0]
	v_pk_fma_f16 v106, v126, v106, v52 op_sel_hi:[1,0,1]
	ds_load_2addr_b32 v[52:53], v85 offset0:128 offset1:160
	v_pk_fma_f16 v134, v127, v108, v134 op_sel:[0,1,0]
	v_pk_fma_f16 v135, v127, v107, v135 op_sel_hi:[1,0,1]
	v_pk_fma_f16 v105, v127, v107, v105 op_sel:[0,1,0]
	v_pk_fma_f16 v106, v127, v108, v106 op_sel_hi:[1,0,1]
	ds_load_2addr_b32 v[126:127], v85 offset0:192 offset1:224
	s_waitcnt lgkmcnt(10)
	v_pk_fma_f16 v134, v128, v110, v134 op_sel:[0,1,0]
	;; [unrolled: 44-line block ×14, first 2 shown]
	v_pk_fma_f16 v134, v126, v109, v134 op_sel_hi:[1,0,1]
	v_pk_fma_f16 v109, v126, v109, v105 op_sel:[0,1,0]
	v_pk_fma_f16 v110, v126, v110, v107 op_sel_hi:[1,0,1]
	ds_load_b128 v[105:108], v73 offset:992
	v_pk_fma_f16 v126, v127, v112, v135 op_sel:[0,1,0]
	v_pk_fma_f16 v134, v127, v111, v134 op_sel_hi:[1,0,1]
	v_pk_fma_f16 v135, v127, v111, v109 op_sel:[0,1,0]
	v_pk_fma_f16 v127, v127, v112, v110 op_sel_hi:[1,0,1]
	ds_load_b128 v[109:112], v73 offset:1008
	s_waitcnt lgkmcnt(9)
	v_pk_fma_f16 v126, v128, v114, v126 op_sel:[0,1,0]
	v_pk_fma_f16 v134, v128, v113, v134 op_sel_hi:[1,0,1]
	v_pk_fma_f16 v113, v128, v113, v135 op_sel:[0,1,0]
	v_pk_fma_f16 v114, v128, v114, v127 op_sel_hi:[1,0,1]
	s_waitcnt lgkmcnt(0)
	v_pk_fma_f16 v126, v129, v116, v126 op_sel:[0,1,0]
	v_pk_fma_f16 v127, v129, v115, v134 op_sel_hi:[1,0,1]
	v_pk_fma_f16 v113, v129, v115, v113 op_sel:[0,1,0]
	v_pk_fma_f16 v114, v129, v116, v114 op_sel_hi:[1,0,1]
	s_barrier
	v_pk_fma_f16 v115, v130, v118, v126 op_sel:[0,1,0]
	v_pk_fma_f16 v116, v130, v117, v127 op_sel_hi:[1,0,1]
	v_pk_fma_f16 v113, v130, v117, v113 op_sel:[0,1,0]
	v_pk_fma_f16 v114, v130, v118, v114 op_sel_hi:[1,0,1]
	buffer_gl0_inv
	v_pk_fma_f16 v115, v131, v120, v115 op_sel:[0,1,0]
	v_pk_fma_f16 v116, v131, v119, v116 op_sel_hi:[1,0,1]
	v_pk_fma_f16 v113, v131, v119, v113 op_sel:[0,1,0]
	v_pk_fma_f16 v114, v131, v120, v114 op_sel_hi:[1,0,1]
	s_load_b32 s2, s[22:23], 0x4
	v_pk_fma_f16 v115, v132, v49, v115 op_sel:[0,1,0]
	v_pk_fma_f16 v116, v132, v48, v116 op_sel_hi:[1,0,1]
	v_pk_fma_f16 v48, v132, v48, v113 op_sel:[0,1,0]
	v_pk_fma_f16 v49, v132, v49, v114 op_sel_hi:[1,0,1]
	s_delay_alu instid0(VALU_DEP_4) | instskip(NEXT) | instid1(VALU_DEP_4)
	v_pk_fma_f16 v45, v133, v51, v115 op_sel:[0,1,0]
	v_pk_fma_f16 v100, v133, v50, v116 op_sel_hi:[1,0,1]
	s_delay_alu instid0(VALU_DEP_4) | instskip(NEXT) | instid1(VALU_DEP_4)
	;; [unrolled: 3-line block ×6, first 2 shown]
	v_pk_fma_f16 v48, v122, v103, v48 op_sel:[0,1,0]
	v_pk_fma_f16 v49, v122, v104, v49 op_sel_hi:[1,0,1]
	v_mov_b32_e32 v40, v47
	v_pk_fma_f16 v46, v123, v106, v46 op_sel:[0,1,0]
	v_pk_fma_f16 v45, v123, v105, v45 op_sel_hi:[1,0,1]
	v_pk_fma_f16 v47, v123, v105, v48 op_sel:[0,1,0]
	v_pk_fma_f16 v48, v123, v106, v49 op_sel_hi:[1,0,1]
	v_fmac_f32_e32 v40, v125, v44
	v_pk_fma_f16 v44, v124, v108, v46 op_sel:[0,1,0]
	v_pk_fma_f16 v45, v124, v107, v45 op_sel_hi:[1,0,1]
	v_pk_fma_f16 v46, v124, v107, v47 op_sel:[0,1,0]
	v_pk_fma_f16 v47, v124, v108, v48 op_sel_hi:[1,0,1]
	s_waitcnt lgkmcnt(0)
	s_lshl_b32 s2, s2, 7
	v_pk_fma_f16 v44, v52, v110, v44 op_sel:[0,1,0]
	v_pk_fma_f16 v45, v52, v109, v45 op_sel_hi:[1,0,1]
	v_pk_fma_f16 v46, v52, v109, v46 op_sel:[0,1,0]
	v_pk_fma_f16 v47, v52, v110, v47 op_sel_hi:[1,0,1]
	s_add_i32 s26, s2, s26
	v_pk_fma_f16 v101, v53, v112, v44 op_sel:[0,1,0]
	v_pk_fma_f16 v104, v53, v111, v45 op_sel_hi:[1,0,1]
	v_pk_fma_f16 v103, v53, v111, v46 op_sel:[0,1,0]
	v_pk_fma_f16 v102, v53, v112, v47 op_sel_hi:[1,0,1]
	s_cmp_ge_i32 s26, s34
	s_cbranch_scc0 .LBB9_9
; %bb.10:
	v_mov_b32_e32 v5, v55
.LBB9_11:
	v_cmp_lt_i32_e32 vcc_lo, v61, v56
	v_lshlrev_b32_e32 v15, 1, v12
	s_cmp_lg_u64 s[24:25], 0
	s_cselect_b32 s2, -1, 0
	v_cndmask_b32_e32 v4, v5, v61, vcc_lo
	v_cmp_lt_i32_e32 vcc_lo, v60, v56
	s_cmp_eq_u32 s14, 0
	s_cselect_b32 s3, -1, 0
	s_delay_alu instid0(VALU_DEP_2)
	v_lshlrev_b32_e32 v4, 2, v4
	s_and_b32 s2, s3, s2
	ds_bpermute_b32 v7, v4, v42
	s_waitcnt lgkmcnt(0)
	v_add_f32_e32 v7, v42, v7
	ds_bpermute_b32 v6, v4, v41
	ds_bpermute_b32 v8, v4, v43
	ds_bpermute_b32 v4, v4, v40
	s_waitcnt lgkmcnt(2)
	v_add_f32_e32 v6, v41, v6
	v_cndmask_b32_e32 v9, v5, v60, vcc_lo
	v_cmp_lt_i32_e32 vcc_lo, v59, v56
	s_waitcnt lgkmcnt(1)
	s_delay_alu instid0(VALU_DEP_2)
	v_dual_add_f32 v8, v43, v8 :: v_dual_lshlrev_b32 v9, 2, v9
	v_cndmask_b32_e32 v16, v5, v59, vcc_lo
	v_cmp_lt_i32_e32 vcc_lo, v58, v56
	ds_bpermute_b32 v11, v9, v7
	v_lshlrev_b32_e32 v16, 2, v16
	ds_bpermute_b32 v14, v9, v8
	s_waitcnt lgkmcnt(1)
	v_add_f32_e32 v7, v7, v11
	ds_bpermute_b32 v10, v9, v6
	s_waitcnt lgkmcnt(1)
	v_add_f32_e32 v8, v8, v14
	;; [unrolled: 3-line block ×3, first 2 shown]
	ds_bpermute_b32 v10, v16, v7
	s_waitcnt lgkmcnt(0)
	v_dual_add_f32 v4, v40, v4 :: v_dual_add_f32 v7, v7, v10
	ds_bpermute_b32 v9, v9, v4
	s_waitcnt lgkmcnt(0)
	v_add_f32_e32 v4, v4, v9
	ds_bpermute_b32 v9, v16, v6
	ds_bpermute_b32 v14, v16, v4
	v_cndmask_b32_e32 v16, v5, v58, vcc_lo
	v_cmp_lt_i32_e32 vcc_lo, v57, v56
	s_delay_alu instid0(VALU_DEP_2)
	v_dual_cndmask_b32 v5, v5, v57 :: v_dual_lshlrev_b32 v16, 2, v16
	s_and_b32 vcc_lo, exec_lo, s2
	ds_bpermute_b32 v10, v16, v7
	v_lshlrev_b32_e32 v5, 2, v5
	s_waitcnt lgkmcnt(0)
	v_add_f32_e32 v7, v7, v10
	v_add_f32_e32 v4, v4, v14
	ds_bpermute_b32 v10, v5, v7
	v_add_f32_e32 v6, v6, v9
	ds_bpermute_b32 v14, v16, v4
	ds_bpermute_b32 v9, v16, v6
	s_waitcnt lgkmcnt(0)
	v_dual_add_f32 v6, v6, v9 :: v_dual_add_f32 v9, v4, v14
	ds_bpermute_b32 v4, v5, v6
	ds_bpermute_b32 v14, v5, v9
	v_add_f32_e32 v8, v8, v11
	ds_bpermute_b32 v11, v16, v8
	s_waitcnt lgkmcnt(2)
	v_add_f32_e32 v4, v6, v4
	s_waitcnt lgkmcnt(0)
	v_add_f32_e32 v8, v8, v11
	ds_bpermute_b32 v11, v5, v8
	v_add_f32_e32 v5, v7, v10
	s_waitcnt lgkmcnt(0)
	v_dual_add_f32 v7, v9, v14 :: v_dual_add_f32 v6, v8, v11
	s_cbranch_vccz .LBB9_14
; %bb.12:
	v_dual_max_f32 v17, v1, v1 :: v_dual_add_nc_u32 v8, s42, v54
	v_dual_max_f32 v14, v0, v0 :: v_dual_max_f32 v19, v3, v3
	s_delay_alu instid0(VALU_DEP_2) | instskip(NEXT) | instid1(VALU_DEP_1)
	v_ashrrev_i32_e32 v9, 31, v8
	v_lshlrev_b64 v[8:9], 2, v[8:9]
	s_delay_alu instid0(VALU_DEP_1) | instskip(NEXT) | instid1(VALU_DEP_2)
	v_add_co_u32 v8, vcc_lo, s24, v8
	v_add_co_ci_u32_e32 v9, vcc_lo, s25, v9, vcc_lo
	global_load_b128 v[8:11], v[8:9], off
	s_waitcnt vmcnt(0)
	v_dual_max_f32 v16, v8, v8 :: v_dual_max_f32 v21, v10, v10
	v_max_f32_e32 v22, v11, v11
	s_delay_alu instid0(VALU_DEP_1) | instskip(NEXT) | instid1(VALU_DEP_1)
	v_dual_max_f32 v20, v9, v9 :: v_dual_max_f32 v19, v19, v22
	v_dual_max_f32 v18, v2, v2 :: v_dual_max_f32 v17, v17, v20
	s_delay_alu instid0(VALU_DEP_2) | instskip(NEXT) | instid1(VALU_DEP_1)
	v_dual_max_f32 v16, v14, v16 :: v_dual_sub_f32 v11, v11, v19
	v_dual_sub_f32 v9, v9, v17 :: v_dual_sub_f32 v8, v8, v16
	s_delay_alu instid0(VALU_DEP_3) | instskip(SKIP_1) | instid1(VALU_DEP_2)
	v_max_f32_e32 v18, v18, v21
	v_sub_f32_e32 v14, v0, v16
	v_dual_sub_f32 v20, v1, v17 :: v_dual_sub_f32 v21, v2, v18
	v_sub_f32_e32 v22, v3, v19
	s_delay_alu instid0(VALU_DEP_3) | instskip(NEXT) | instid1(VALU_DEP_3)
	v_cmp_ngt_f32_e32 vcc_lo, 0xc2ce8ed0, v14
	v_dual_mul_f32 v23, 0x3fb8aa3b, v21 :: v_dual_mov_b32 v0, v16
	s_delay_alu instid0(VALU_DEP_3)
	v_mul_f32_e32 v25, 0x3fb8aa3b, v22
	v_dual_mov_b32 v1, v17 :: v_dual_mov_b32 v2, v18
	v_mov_b32_e32 v3, v19
	v_dual_mul_f32 v17, 0x3fb8aa3b, v8 :: v_dual_sub_f32 v10, v10, v18
	v_mul_f32_e32 v19, 0x3fb8aa3b, v9
	v_rndne_f32_e32 v36, v23
	v_mul_f32_e32 v16, 0x3fb8aa3b, v14
	v_fma_f32 v35, 0x3fb8aa3b, v21, -v23
	v_rndne_f32_e32 v40, v25
	s_delay_alu instid0(VALU_DEP_4) | instskip(NEXT) | instid1(VALU_DEP_4)
	v_dual_mul_f32 v24, 0x3fb8aa3b, v10 :: v_dual_sub_f32 v23, v23, v36
	v_fma_f32 v27, 0x3fb8aa3b, v14, -v16
	v_rndne_f32_e32 v28, v16
	v_fma_f32 v33, 0x3fb8aa3b, v9, -v19
	v_fma_f32 v39, 0x3fb8aa3b, v22, -v25
	v_sub_f32_e32 v25, v25, v40
	v_fma_f32 v37, 0x3fb8aa3b, v10, -v24
	v_dual_fmac_f32 v27, 0x32a5705f, v14 :: v_dual_sub_f32 v16, v16, v28
	v_fmac_f32_e32 v33, 0x32a5705f, v9
	v_fma_f32 v29, 0x3fb8aa3b, v8, -v17
	s_delay_alu instid0(VALU_DEP_4)
	v_fmac_f32_e32 v37, 0x32a5705f, v10
	v_rndne_f32_e32 v30, v17
	v_add_f32_e32 v16, v16, v27
	v_mul_f32_e32 v18, 0x3fb8aa3b, v20
	v_rndne_f32_e32 v34, v19
	v_mul_f32_e32 v26, 0x3fb8aa3b, v11
	v_rndne_f32_e32 v38, v24
	v_exp_f32_e32 v16, v16
	v_cvt_i32_f32_e32 v28, v28
	v_sub_f32_e32 v19, v19, v34
	v_fma_f32 v41, 0x3fb8aa3b, v11, -v26
	v_rndne_f32_e32 v42, v26
	v_dual_fmac_f32 v29, 0x32a5705f, v8 :: v_dual_sub_f32 v24, v24, v38
	v_sub_f32_e32 v17, v17, v30
	v_fma_f32 v31, 0x3fb8aa3b, v20, -v18
	v_rndne_f32_e32 v32, v18
	v_fmac_f32_e32 v35, 0x32a5705f, v21
	v_dual_fmac_f32 v41, 0x32a5705f, v11 :: v_dual_add_f32 v24, v24, v37
	s_delay_alu instid0(VALU_DEP_4) | instskip(NEXT) | instid1(VALU_DEP_4)
	v_dual_fmac_f32 v31, 0x32a5705f, v20 :: v_dual_sub_f32 v26, v26, v42
	v_sub_f32_e32 v18, v18, v32
	v_ldexp_f32 v16, v16, v28
	v_add_f32_e32 v17, v17, v29
	v_fmac_f32_e32 v39, 0x32a5705f, v22
	v_dual_add_f32 v23, v23, v35 :: v_dual_add_f32 v26, v26, v41
	v_add_f32_e32 v18, v18, v31
	v_cndmask_b32_e32 v16, 0, v16, vcc_lo
	v_exp_f32_e32 v17, v17
	v_cvt_i32_f32_e32 v30, v30
	v_exp_f32_e32 v26, v26
	v_exp_f32_e32 v18, v18
	v_cvt_i32_f32_e32 v32, v32
	v_cvt_i32_f32_e32 v29, v42
	v_cmp_ngt_f32_e32 vcc_lo, 0xc2ce8ed0, v8
	v_cvt_i32_f32_e32 v34, v34
	v_exp_f32_e32 v23, v23
	v_cvt_i32_f32_e32 v36, v36
	v_ldexp_f32 v17, v17, v30
	v_exp_f32_e32 v24, v24
	v_ldexp_f32 v26, v26, v29
	v_ldexp_f32 v18, v18, v32
	v_cvt_i32_f32_e32 v38, v38
	v_cndmask_b32_e32 v17, 0, v17, vcc_lo
	v_cmp_ngt_f32_e32 vcc_lo, 0xc2ce8ed0, v20
	v_add_f32_e32 v19, v19, v33
	v_ldexp_f32 v23, v23, v36
	v_cvt_i32_f32_e32 v27, v40
	v_cndmask_b32_e32 v18, 0, v18, vcc_lo
	s_delay_alu instid0(VALU_DEP_4) | instskip(SKIP_4) | instid1(VALU_DEP_1)
	v_exp_f32_e32 v19, v19
	v_cmp_ngt_f32_e32 vcc_lo, 0xc2ce8ed0, v9
	v_ldexp_f32 v24, v24, v38
	s_waitcnt_depctr 0xfff
	v_ldexp_f32 v19, v19, v34
	v_cndmask_b32_e32 v19, 0, v19, vcc_lo
	v_cmp_ngt_f32_e32 vcc_lo, 0xc2ce8ed0, v21
	v_cndmask_b32_e32 v23, 0, v23, vcc_lo
	v_cmp_ngt_f32_e32 vcc_lo, 0xc2ce8ed0, v10
	v_dual_add_f32 v25, v25, v39 :: v_dual_cndmask_b32 v24, 0, v24
	s_delay_alu instid0(VALU_DEP_1) | instskip(SKIP_3) | instid1(VALU_DEP_1)
	v_exp_f32_e32 v25, v25
	v_cmp_ngt_f32_e32 vcc_lo, 0xc2ce8ed0, v22
	s_waitcnt_depctr 0xfff
	v_ldexp_f32 v25, v25, v27
	v_cndmask_b32_e32 v25, 0, v25, vcc_lo
	v_cmp_ngt_f32_e32 vcc_lo, 0xc2ce8ed0, v11
	v_cndmask_b32_e32 v26, 0, v26, vcc_lo
	v_cmp_nlt_f32_e32 vcc_lo, 0x42b17218, v14
	v_cndmask_b32_e32 v14, 0x7f800000, v16, vcc_lo
	v_cmp_nlt_f32_e32 vcc_lo, 0x42b17218, v8
	;; [unrolled: 2-line block ×3, first 2 shown]
	s_delay_alu instid0(VALU_DEP_2)
	v_fmac_f32_e32 v8, v4, v14
	v_cndmask_b32_e32 v16, 0x7f800000, v18, vcc_lo
	v_cmp_nlt_f32_e32 vcc_lo, 0x42b17218, v9
	v_cvt_f16_f32_e32 v4, v14
	v_cndmask_b32_e32 v9, 0x7f800000, v19, vcc_lo
	v_cmp_nlt_f32_e32 vcc_lo, 0x42b17218, v21
	s_delay_alu instid0(VALU_DEP_3)
	v_pk_mul_f16 v104, v104, v4 op_sel_hi:[1,0]
	v_dual_mov_b32 v4, v8 :: v_dual_cndmask_b32 v17, 0x7f800000, v23
	v_cmp_nlt_f32_e32 vcc_lo, 0x42b17218, v10
	v_cndmask_b32_e32 v10, 0x7f800000, v24, vcc_lo
	v_cmp_nlt_f32_e32 vcc_lo, 0x42b17218, v22
	v_cndmask_b32_e32 v18, 0x7f800000, v25, vcc_lo
	v_cmp_nlt_f32_e32 vcc_lo, 0x42b17218, v11
	s_delay_alu instid0(VALU_DEP_2) | instskip(SKIP_1) | instid1(VALU_DEP_2)
	v_cvt_f16_f32_e32 v14, v18
	v_cndmask_b32_e32 v11, 0x7f800000, v26, vcc_lo
	v_pk_mul_f16 v101, v101, v14 op_sel_hi:[1,0]
	s_delay_alu instid0(VALU_DEP_2) | instskip(NEXT) | instid1(VALU_DEP_1)
	v_fmac_f32_e32 v11, v7, v18
	v_dual_mov_b32 v7, v11 :: v_dual_fmac_f32 v10, v6, v17
	v_cvt_f16_f32_e32 v6, v17
	s_delay_alu instid0(VALU_DEP_1) | instskip(NEXT) | instid1(VALU_DEP_3)
	v_pk_mul_f16 v102, v102, v6 op_sel_hi:[1,0]
	v_dual_mov_b32 v6, v10 :: v_dual_fmac_f32 v9, v5, v16
	v_cvt_f16_f32_e32 v5, v16
	s_delay_alu instid0(VALU_DEP_1) | instskip(NEXT) | instid1(VALU_DEP_3)
	v_pk_mul_f16 v103, v103, v5 op_sel_hi:[1,0]
	v_mov_b32_e32 v5, v9
	s_mov_b32 s2, exec_lo
	v_cmpx_gt_i32_e64 s38, v13
	s_cbranch_execnz .LBB9_15
.LBB9_13:
	s_nop 0
	s_sendmsg sendmsg(MSG_DEALLOC_VGPRS)
	s_endpgm
.LBB9_14:
	s_delay_alu instid0(VALU_DEP_1)
	v_dual_mov_b32 v11, v7 :: v_dual_mov_b32 v10, v6
	v_dual_mov_b32 v9, v5 :: v_dual_mov_b32 v8, v4
	s_mov_b32 s2, exec_lo
	v_cmpx_gt_i32_e64 s38, v13
	s_cbranch_execz .LBB9_13
.LBB9_15:
	s_load_b32 s1, s[0:1], 0xd4
	v_mov_b32_e32 v16, 1.0
	s_waitcnt lgkmcnt(0)
	s_cmp_lg_u32 s1, 1
	s_cselect_b32 s3, -1, 0
	s_cmp_eq_u32 s1, 1
	s_cselect_b32 s2, -1, 0
	s_and_b32 vcc_lo, exec_lo, s3
	s_cbranch_vccnz .LBB9_17
; %bb.16:
	v_div_scale_f32 v14, null, v4, v4, 1.0
	s_delay_alu instid0(VALU_DEP_1) | instskip(SKIP_2) | instid1(VALU_DEP_1)
	v_rcp_f32_e32 v16, v14
	s_waitcnt_depctr 0xfff
	v_fma_f32 v17, -v14, v16, 1.0
	v_fmac_f32_e32 v16, v17, v16
	v_div_scale_f32 v17, vcc_lo, 1.0, v4, 1.0
	s_delay_alu instid0(VALU_DEP_1) | instskip(NEXT) | instid1(VALU_DEP_1)
	v_mul_f32_e32 v18, v17, v16
	v_fma_f32 v19, -v14, v18, v17
	s_delay_alu instid0(VALU_DEP_1) | instskip(NEXT) | instid1(VALU_DEP_1)
	v_fmac_f32_e32 v18, v19, v16
	v_fma_f32 v14, -v14, v18, v17
	s_delay_alu instid0(VALU_DEP_1) | instskip(NEXT) | instid1(VALU_DEP_1)
	v_div_fmas_f32 v14, v14, v16, v18
	v_div_fixup_f32 v16, v14, v4, 1.0
.LBB9_17:
	v_mad_u64_u32 v[17:18], null, s33, s38, v[13:14]
	v_cmp_eq_u32_e32 vcc_lo, 0, v12
	s_delay_alu instid0(VALU_DEP_2) | instskip(NEXT) | instid1(VALU_DEP_1)
	v_mul_lo_u32 v4, v17, s39
	v_add3_u32 v4, s42, v54, v4
	s_delay_alu instid0(VALU_DEP_1) | instskip(SKIP_3) | instid1(VALU_DEP_3)
	v_mad_u64_u32 v[13:14], null, s1, v4, s[14:15]
	v_cvt_f32_f16_e32 v14, v104
	v_mov_b32_e32 v18, 0
	v_lshrrev_b32_e32 v4, 16, v104
	v_mul_f32_e32 v19, v16, v14
	v_lshl_add_u32 v17, v13, 6, v15
	s_delay_alu instid0(VALU_DEP_3) | instskip(NEXT) | instid1(VALU_DEP_2)
	v_cvt_f32_f16_e32 v4, v4
	v_lshlrev_b64 v[17:18], 2, v[17:18]
	s_delay_alu instid0(VALU_DEP_2) | instskip(NEXT) | instid1(VALU_DEP_2)
	v_mul_f32_e32 v20, v16, v4
	v_add_co_u32 v16, s0, s28, v17
	s_delay_alu instid0(VALU_DEP_1)
	v_add_co_ci_u32_e64 v17, s0, s29, v18, s0
	s_and_b32 s0, vcc_lo, s3
	global_store_b64 v[16:17], v[19:20], off
	s_and_saveexec_b32 s3, s0
	s_cbranch_execz .LBB9_19
; %bb.18:
	v_ashrrev_i32_e32 v14, 31, v13
	v_mov_b32_e32 v18, v0
	v_mov_b32_e32 v19, v8
	s_delay_alu instid0(VALU_DEP_3) | instskip(NEXT) | instid1(VALU_DEP_1)
	v_lshlrev_b64 v[16:17], 3, v[13:14]
	v_add_co_u32 v16, vcc_lo, s30, v16
	s_delay_alu instid0(VALU_DEP_2)
	v_add_co_ci_u32_e32 v17, vcc_lo, s31, v17, vcc_lo
	global_store_b64 v[16:17], v[18:19], off
.LBB9_19:
	s_or_b32 exec_lo, exec_lo, s3
	v_cndmask_b32_e64 v12, 0, 1, s2
	v_mov_b32_e32 v0, 1.0
	s_and_not1_b32 vcc_lo, exec_lo, s2
	s_cbranch_vccnz .LBB9_21
; %bb.20:
	v_div_scale_f32 v0, null, v5, v5, 1.0
	s_delay_alu instid0(VALU_DEP_1) | instskip(SKIP_2) | instid1(VALU_DEP_1)
	v_rcp_f32_e32 v4, v0
	s_waitcnt_depctr 0xfff
	v_fma_f32 v8, -v0, v4, 1.0
	v_fmac_f32_e32 v4, v8, v4
	v_div_scale_f32 v8, vcc_lo, 1.0, v5, 1.0
	s_delay_alu instid0(VALU_DEP_1) | instskip(NEXT) | instid1(VALU_DEP_1)
	v_mul_f32_e32 v14, v8, v4
	v_fma_f32 v16, -v0, v14, v8
	s_delay_alu instid0(VALU_DEP_1) | instskip(NEXT) | instid1(VALU_DEP_1)
	v_fmac_f32_e32 v14, v16, v4
	v_fma_f32 v0, -v0, v14, v8
	s_delay_alu instid0(VALU_DEP_1) | instskip(NEXT) | instid1(VALU_DEP_1)
	v_div_fmas_f32 v0, v0, v4, v14
	v_div_fixup_f32 v0, v0, v5, 1.0
.LBB9_21:
	v_add_nc_u32_e32 v4, s1, v13
	v_lshrrev_b32_e32 v5, 16, v103
	v_cvt_f32_f16_e32 v8, v103
	s_delay_alu instid0(VALU_DEP_3) | instskip(NEXT) | instid1(VALU_DEP_3)
	v_lshl_add_u32 v13, v4, 6, v15
	v_cvt_f32_f16_e32 v5, v5
	v_mov_b32_e32 v14, 0
	s_delay_alu instid0(VALU_DEP_4) | instskip(NEXT) | instid1(VALU_DEP_3)
	v_mul_f32_e32 v16, v0, v8
	v_mul_f32_e32 v17, v0, v5
	s_delay_alu instid0(VALU_DEP_3) | instskip(NEXT) | instid1(VALU_DEP_1)
	v_lshlrev_b64 v[13:14], 2, v[13:14]
	v_add_co_u32 v13, vcc_lo, s28, v13
	s_delay_alu instid0(VALU_DEP_2)
	v_add_co_ci_u32_e32 v14, vcc_lo, s29, v14, vcc_lo
	global_store_b64 v[13:14], v[16:17], off
	s_and_saveexec_b32 s2, s0
	s_cbranch_execz .LBB9_23
; %bb.22:
	v_ashrrev_i32_e32 v5, 31, v4
	v_mov_b32_e32 v8, v1
	s_delay_alu instid0(VALU_DEP_2) | instskip(NEXT) | instid1(VALU_DEP_1)
	v_lshlrev_b64 v[13:14], 3, v[4:5]
	v_add_co_u32 v13, vcc_lo, s30, v13
	s_delay_alu instid0(VALU_DEP_2)
	v_add_co_ci_u32_e32 v14, vcc_lo, s31, v14, vcc_lo
	global_store_b64 v[13:14], v[8:9], off
.LBB9_23:
	s_or_b32 exec_lo, exec_lo, s2
	v_cmp_ne_u32_e32 vcc_lo, 1, v12
	v_mov_b32_e32 v1, 1.0
	s_cbranch_vccnz .LBB9_25
; %bb.24:
	v_div_scale_f32 v0, null, v6, v6, 1.0
	s_delay_alu instid0(VALU_DEP_1) | instskip(SKIP_2) | instid1(VALU_DEP_1)
	v_rcp_f32_e32 v1, v0
	s_waitcnt_depctr 0xfff
	v_fma_f32 v5, -v0, v1, 1.0
	v_fmac_f32_e32 v1, v5, v1
	v_div_scale_f32 v5, vcc_lo, 1.0, v6, 1.0
	s_delay_alu instid0(VALU_DEP_1) | instskip(NEXT) | instid1(VALU_DEP_1)
	v_mul_f32_e32 v8, v5, v1
	v_fma_f32 v9, -v0, v8, v5
	s_delay_alu instid0(VALU_DEP_1) | instskip(NEXT) | instid1(VALU_DEP_1)
	v_fmac_f32_e32 v8, v9, v1
	v_fma_f32 v0, -v0, v8, v5
	s_delay_alu instid0(VALU_DEP_1) | instskip(NEXT) | instid1(VALU_DEP_1)
	v_div_fmas_f32 v0, v0, v1, v8
	v_div_fixup_f32 v1, v0, v6, 1.0
.LBB9_25:
	v_dual_mov_b32 v5, 0 :: v_dual_add_nc_u32 v0, s1, v4
	v_lshrrev_b32_e32 v6, 16, v102
	v_cvt_f32_f16_e32 v8, v102
	s_delay_alu instid0(VALU_DEP_3) | instskip(NEXT) | instid1(VALU_DEP_3)
	v_lshl_add_u32 v4, v0, 6, v15
	v_cvt_f32_f16_e32 v6, v6
	s_delay_alu instid0(VALU_DEP_3) | instskip(NEXT) | instid1(VALU_DEP_3)
	v_mul_f32_e32 v8, v1, v8
	v_lshlrev_b64 v[4:5], 2, v[4:5]
	s_delay_alu instid0(VALU_DEP_3) | instskip(NEXT) | instid1(VALU_DEP_2)
	v_mul_f32_e32 v9, v1, v6
	v_add_co_u32 v4, vcc_lo, s28, v4
	s_delay_alu instid0(VALU_DEP_3)
	v_add_co_ci_u32_e32 v5, vcc_lo, s29, v5, vcc_lo
	global_store_b64 v[4:5], v[8:9], off
	s_and_saveexec_b32 s2, s0
	s_cbranch_execz .LBB9_27
; %bb.26:
	v_ashrrev_i32_e32 v1, 31, v0
	v_mov_b32_e32 v9, v2
	s_delay_alu instid0(VALU_DEP_2) | instskip(NEXT) | instid1(VALU_DEP_1)
	v_lshlrev_b64 v[4:5], 3, v[0:1]
	v_add_co_u32 v4, vcc_lo, s30, v4
	s_delay_alu instid0(VALU_DEP_2)
	v_add_co_ci_u32_e32 v5, vcc_lo, s31, v5, vcc_lo
	global_store_b64 v[4:5], v[9:10], off
.LBB9_27:
	s_or_b32 exec_lo, exec_lo, s2
	v_cmp_ne_u32_e32 vcc_lo, 1, v12
	v_mov_b32_e32 v1, 1.0
	s_cbranch_vccnz .LBB9_29
; %bb.28:
	v_div_scale_f32 v1, null, v7, v7, 1.0
	s_delay_alu instid0(VALU_DEP_1) | instskip(SKIP_2) | instid1(VALU_DEP_1)
	v_rcp_f32_e32 v2, v1
	s_waitcnt_depctr 0xfff
	v_fma_f32 v4, -v1, v2, 1.0
	v_fmac_f32_e32 v2, v4, v2
	v_div_scale_f32 v4, vcc_lo, 1.0, v7, 1.0
	s_delay_alu instid0(VALU_DEP_1) | instskip(NEXT) | instid1(VALU_DEP_1)
	v_mul_f32_e32 v5, v4, v2
	v_fma_f32 v6, -v1, v5, v4
	s_delay_alu instid0(VALU_DEP_1) | instskip(NEXT) | instid1(VALU_DEP_1)
	v_fmac_f32_e32 v5, v6, v2
	v_fma_f32 v1, -v1, v5, v4
	s_delay_alu instid0(VALU_DEP_1) | instskip(NEXT) | instid1(VALU_DEP_1)
	v_div_fmas_f32 v1, v1, v2, v5
	v_div_fixup_f32 v1, v1, v7, 1.0
.LBB9_29:
	v_dual_mov_b32 v5, 0 :: v_dual_add_nc_u32 v0, s1, v0
	v_lshrrev_b32_e32 v2, 16, v101
	v_cvt_f32_f16_e32 v6, v101
	s_delay_alu instid0(VALU_DEP_3) | instskip(NEXT) | instid1(VALU_DEP_3)
	v_lshl_add_u32 v4, v0, 6, v15
	v_cvt_f32_f16_e32 v2, v2
	s_delay_alu instid0(VALU_DEP_3) | instskip(NEXT) | instid1(VALU_DEP_3)
	v_mul_f32_e32 v6, v1, v6
	v_lshlrev_b64 v[4:5], 2, v[4:5]
	s_delay_alu instid0(VALU_DEP_3) | instskip(NEXT) | instid1(VALU_DEP_2)
	v_mul_f32_e32 v7, v1, v2
	v_add_co_u32 v1, vcc_lo, s28, v4
	s_delay_alu instid0(VALU_DEP_3)
	v_add_co_ci_u32_e32 v2, vcc_lo, s29, v5, vcc_lo
	global_store_b64 v[1:2], v[6:7], off
	s_and_b32 exec_lo, exec_lo, s0
	s_cbranch_execz .LBB9_13
; %bb.30:
	v_ashrrev_i32_e32 v1, 31, v0
	v_mov_b32_e32 v10, v3
	s_delay_alu instid0(VALU_DEP_2) | instskip(NEXT) | instid1(VALU_DEP_1)
	v_lshlrev_b64 v[0:1], 3, v[0:1]
	v_add_co_u32 v0, vcc_lo, s30, v0
	s_delay_alu instid0(VALU_DEP_2)
	v_add_co_ci_u32_e32 v1, vcc_lo, s31, v1, vcc_lo
	global_store_b64 v[0:1], v[10:11], off
	s_nop 0
	s_sendmsg sendmsg(MSG_DEALLOC_VGPRS)
	s_endpgm
	.section	.rodata,"a",@progbits
	.p2align	6, 0x0
	.amdhsa_kernel _ZL15flash_attn_tileILi64ELi64ELi2ELi8ELb0EEvPKcS1_S1_S1_S1_PKiPfP15HIP_vector_typeIfLj2EEffffjfiS5_IjLj3EEiiiiiiiiiiiliiliiiiil
		.amdhsa_group_segment_fixed_size 24576
		.amdhsa_private_segment_fixed_size 0
		.amdhsa_kernarg_size 464
		.amdhsa_user_sgpr_count 13
		.amdhsa_user_sgpr_dispatch_ptr 0
		.amdhsa_user_sgpr_queue_ptr 0
		.amdhsa_user_sgpr_kernarg_segment_ptr 1
		.amdhsa_user_sgpr_dispatch_id 0
		.amdhsa_user_sgpr_private_segment_size 0
		.amdhsa_wavefront_size32 1
		.amdhsa_uses_dynamic_stack 0
		.amdhsa_enable_private_segment 0
		.amdhsa_system_sgpr_workgroup_id_x 1
		.amdhsa_system_sgpr_workgroup_id_y 1
		.amdhsa_system_sgpr_workgroup_id_z 1
		.amdhsa_system_sgpr_workgroup_info 0
		.amdhsa_system_vgpr_workitem_id 1
		.amdhsa_next_free_vgpr 204
		.amdhsa_next_free_sgpr 45
		.amdhsa_reserve_vcc 1
		.amdhsa_float_round_mode_32 0
		.amdhsa_float_round_mode_16_64 0
		.amdhsa_float_denorm_mode_32 3
		.amdhsa_float_denorm_mode_16_64 3
		.amdhsa_dx10_clamp 1
		.amdhsa_ieee_mode 1
		.amdhsa_fp16_overflow 0
		.amdhsa_workgroup_processor_mode 1
		.amdhsa_memory_ordered 1
		.amdhsa_forward_progress 0
		.amdhsa_shared_vgpr_count 0
		.amdhsa_exception_fp_ieee_invalid_op 0
		.amdhsa_exception_fp_denorm_src 0
		.amdhsa_exception_fp_ieee_div_zero 0
		.amdhsa_exception_fp_ieee_overflow 0
		.amdhsa_exception_fp_ieee_underflow 0
		.amdhsa_exception_fp_ieee_inexact 0
		.amdhsa_exception_int_div_zero 0
	.end_amdhsa_kernel
	.section	.text._ZL15flash_attn_tileILi64ELi64ELi2ELi8ELb0EEvPKcS1_S1_S1_S1_PKiPfP15HIP_vector_typeIfLj2EEffffjfiS5_IjLj3EEiiiiiiiiiiiliiliiiiil,"axG",@progbits,_ZL15flash_attn_tileILi64ELi64ELi2ELi8ELb0EEvPKcS1_S1_S1_S1_PKiPfP15HIP_vector_typeIfLj2EEffffjfiS5_IjLj3EEiiiiiiiiiiiliiliiiiil,comdat
.Lfunc_end9:
	.size	_ZL15flash_attn_tileILi64ELi64ELi2ELi8ELb0EEvPKcS1_S1_S1_S1_PKiPfP15HIP_vector_typeIfLj2EEffffjfiS5_IjLj3EEiiiiiiiiiiiliiliiiiil, .Lfunc_end9-_ZL15flash_attn_tileILi64ELi64ELi2ELi8ELb0EEvPKcS1_S1_S1_S1_PKiPfP15HIP_vector_typeIfLj2EEffffjfiS5_IjLj3EEiiiiiiiiiiiliiliiiiil
                                        ; -- End function
	.section	.AMDGPU.csdata,"",@progbits
; Kernel info:
; codeLenInByte = 25408
; NumSgprs: 47
; NumVgprs: 204
; ScratchSize: 0
; MemoryBound: 0
; FloatMode: 240
; IeeeMode: 1
; LDSByteSize: 24576 bytes/workgroup (compile time only)
; SGPRBlocks: 5
; VGPRBlocks: 25
; NumSGPRsForWavesPerEU: 47
; NumVGPRsForWavesPerEU: 204
; Occupancy: 5
; WaveLimiterHint : 1
; COMPUTE_PGM_RSRC2:SCRATCH_EN: 0
; COMPUTE_PGM_RSRC2:USER_SGPR: 13
; COMPUTE_PGM_RSRC2:TRAP_HANDLER: 0
; COMPUTE_PGM_RSRC2:TGID_X_EN: 1
; COMPUTE_PGM_RSRC2:TGID_Y_EN: 1
; COMPUTE_PGM_RSRC2:TGID_Z_EN: 1
; COMPUTE_PGM_RSRC2:TIDIG_COMP_CNT: 1
	.section	.text._ZL25flash_attn_mask_to_KV_maxILi2EEvPK7__half2Piiii,"axG",@progbits,_ZL25flash_attn_mask_to_KV_maxILi2EEvPK7__half2Piiii,comdat
	.globl	_ZL25flash_attn_mask_to_KV_maxILi2EEvPK7__half2Piiii ; -- Begin function _ZL25flash_attn_mask_to_KV_maxILi2EEvPK7__half2Piiii
	.p2align	8
	.type	_ZL25flash_attn_mask_to_KV_maxILi2EEvPK7__half2Piiii,@function
_ZL25flash_attn_mask_to_KV_maxILi2EEvPK7__half2Piiii: ; @_ZL25flash_attn_mask_to_KV_maxILi2EEvPK7__half2Piiii
; %bb.0:
	s_load_b128 s[4:7], s[0:1], 0x0
	s_mov_b32 s2, exec_lo
	v_cmpx_gt_u32_e32 32, v0
	s_cbranch_execz .LBB10_2
; %bb.1:
	v_dual_mov_b32 v2, 1 :: v_dual_lshlrev_b32 v1, 2, v0
	ds_store_b32 v1, v2
.LBB10_2:
	s_or_b32 exec_lo, exec_lo, s2
	s_clause 0x1
	s_load_b128 s[8:11], s[0:1], 0x10
	s_load_b32 s1, s[0:1], 0x20
	v_dual_mov_b32 v2, 0 :: v_dual_and_b32 v1, 31, v0
	v_lshrrev_b32_e32 v3, 3, v0
	s_waitcnt lgkmcnt(0)
	s_barrier
	s_delay_alu instid0(VALU_DEP_2) | instskip(SKIP_4) | instid1(SALU_CYCLE_1)
	v_lshlrev_b32_e32 v4, 2, v1
	buffer_gl0_inv
	s_mul_i32 s0, s14, s9
	s_mul_i32 s2, s15, s10
	s_lshl_b32 s0, s0, 1
	s_add_i32 s2, s2, s0
	v_cmp_eq_u32_e64 s0, 0, v1
	s_ashr_i32 s3, s2, 31
	s_delay_alu instid0(SALU_CYCLE_1) | instskip(NEXT) | instid1(SALU_CYCLE_1)
	s_lshl_b64 s[10:11], s[2:3], 2
	s_add_u32 s3, s4, s10
	s_addc_u32 s4, s5, s11
	s_lshl_b32 s5, s8, 8
	s_branch .LBB10_4
.LBB10_3:                               ;   in Loop: Header=BB10_4 Depth=1
	s_or_b32 exec_lo, exec_lo, s10
	s_waitcnt lgkmcnt(0)
	s_barrier
	buffer_gl0_inv
	ds_load_b32 v1, v4
	s_waitcnt lgkmcnt(0)
	s_barrier
	buffer_gl0_inv
	;;#ASMSTART
	;;#ASMEND
	v_cmp_ne_u32_e32 vcc_lo, 0, v1
	s_cmp_lg_u32 vcc_lo, exec_lo
	s_cselect_b32 s8, -1, 0
	s_delay_alu instid0(SALU_CYCLE_1)
	s_and_b32 vcc_lo, exec_lo, s8
	s_cbranch_vccnz .LBB10_12
.LBB10_4:                               ; =>This Inner Loop Header: Depth=1
	s_mov_b32 s2, s5
	s_addk_i32 s5, 0xff00
	s_delay_alu instid0(SALU_CYCLE_1)
	s_cmp_lt_i32 s5, 0
	s_cbranch_scc1 .LBB10_11
; %bb.5:                                ;   in Loop: Header=BB10_4 Depth=1
	s_lshr_b32 s8, s5, 1
	s_mov_b32 s10, 0
	v_add_nc_u32_e32 v1, s8, v0
	s_delay_alu instid0(VALU_DEP_1) | instskip(NEXT) | instid1(VALU_DEP_1)
	v_lshlrev_b64 v[5:6], 2, v[1:2]
	v_add_co_u32 v5, vcc_lo, s3, v5
	s_delay_alu instid0(VALU_DEP_2) | instskip(SKIP_4) | instid1(VALU_DEP_2)
	v_add_co_ci_u32_e32 v6, vcc_lo, s4, v6, vcc_lo
	global_load_b32 v5, v[5:6], off
	s_waitcnt vmcnt(0)
	v_lshrrev_b32_e32 v6, 16, v5
	v_cmp_class_f16_e64 s8, v5, 0x204
	v_and_b32_e32 v6, 0x7fff, v6
	s_delay_alu instid0(VALU_DEP_1) | instskip(NEXT) | instid1(VALU_DEP_3)
	v_cmp_eq_f16_e32 vcc_lo, 0x7c00, v6
	s_and_b32 s11, s8, vcc_lo
	s_delay_alu instid0(SALU_CYCLE_1)
	s_and_saveexec_b32 s8, s11
	s_cbranch_execz .LBB10_9
; %bb.6:                                ;   in Loop: Header=BB10_4 Depth=1
	v_add_nc_u32_e32 v5, s9, v1
	s_delay_alu instid0(VALU_DEP_1) | instskip(NEXT) | instid1(VALU_DEP_1)
	v_ashrrev_i32_e32 v6, 31, v5
	v_lshlrev_b64 v[5:6], 2, v[5:6]
	s_delay_alu instid0(VALU_DEP_1) | instskip(NEXT) | instid1(VALU_DEP_2)
	v_add_co_u32 v5, vcc_lo, s3, v5
	v_add_co_ci_u32_e32 v6, vcc_lo, s4, v6, vcc_lo
	global_load_b32 v1, v[5:6], off
	s_waitcnt vmcnt(0)
	v_cmp_class_f16_e64 s12, v1, 0x204
	s_delay_alu instid0(VALU_DEP_1)
	s_and_saveexec_b32 s11, s12
; %bb.7:                                ;   in Loop: Header=BB10_4 Depth=1
	v_lshrrev_b32_e32 v1, 16, v1
	s_delay_alu instid0(VALU_DEP_1) | instskip(NEXT) | instid1(VALU_DEP_1)
	v_cmp_class_f16_e64 s10, v1, 0x204
	s_and_b32 s10, s10, exec_lo
; %bb.8:                                ;   in Loop: Header=BB10_4 Depth=1
	s_or_b32 exec_lo, exec_lo, s11
	s_delay_alu instid0(SALU_CYCLE_1)
	s_and_b32 s10, s10, exec_lo
.LBB10_9:                               ;   in Loop: Header=BB10_4 Depth=1
	s_or_b32 exec_lo, exec_lo, s8
	v_cndmask_b32_e64 v1, 0, 1, s10
	;;#ASMSTART
	;;#ASMEND
	s_delay_alu instid0(VALU_DEP_1)
	v_cmp_ne_u32_e32 vcc_lo, 0, v1
	s_mov_b32 s8, exec_lo
	s_and_saveexec_b32 s10, s0
	s_cbranch_execz .LBB10_3
; %bb.10:                               ;   in Loop: Header=BB10_4 Depth=1
	s_cmp_eq_u32 vcc_lo, s8
	s_cselect_b32 s8, -1, 0
	s_delay_alu instid0(SALU_CYCLE_1)
	v_cndmask_b32_e64 v1, 0, 1, s8
	ds_store_b32 v3, v1
	s_branch .LBB10_3
.LBB10_11:                              ;   in Loop: Header=BB10_4 Depth=1
                                        ; implicit-def: $sgpr5
	s_cbranch_execz .LBB10_4
.LBB10_12:
	s_mov_b32 s0, exec_lo
	v_cmpx_eq_u32_e32 0, v0
	s_cbranch_execz .LBB10_14
; %bb.13:
	s_mul_i32 s0, s1, s15
	v_dual_mov_b32 v0, 0 :: v_dual_mov_b32 v1, s2
	s_add_i32 s0, s0, s14
	s_delay_alu instid0(SALU_CYCLE_1) | instskip(NEXT) | instid1(SALU_CYCLE_1)
	s_ashr_i32 s1, s0, 31
	s_lshl_b64 s[0:1], s[0:1], 2
	s_delay_alu instid0(SALU_CYCLE_1)
	s_add_u32 s0, s6, s0
	s_addc_u32 s1, s7, s1
	global_store_b32 v0, v1, s[0:1]
.LBB10_14:
	s_nop 0
	s_sendmsg sendmsg(MSG_DEALLOC_VGPRS)
	s_endpgm
	.section	.rodata,"a",@progbits
	.p2align	6, 0x0
	.amdhsa_kernel _ZL25flash_attn_mask_to_KV_maxILi2EEvPK7__half2Piiii
		.amdhsa_group_segment_fixed_size 128
		.amdhsa_private_segment_fixed_size 0
		.amdhsa_kernarg_size 288
		.amdhsa_user_sgpr_count 14
		.amdhsa_user_sgpr_dispatch_ptr 0
		.amdhsa_user_sgpr_queue_ptr 0
		.amdhsa_user_sgpr_kernarg_segment_ptr 1
		.amdhsa_user_sgpr_dispatch_id 0
		.amdhsa_user_sgpr_private_segment_size 0
		.amdhsa_wavefront_size32 1
		.amdhsa_uses_dynamic_stack 0
		.amdhsa_enable_private_segment 0
		.amdhsa_system_sgpr_workgroup_id_x 1
		.amdhsa_system_sgpr_workgroup_id_y 1
		.amdhsa_system_sgpr_workgroup_id_z 0
		.amdhsa_system_sgpr_workgroup_info 0
		.amdhsa_system_vgpr_workitem_id 0
		.amdhsa_next_free_vgpr 7
		.amdhsa_next_free_sgpr 16
		.amdhsa_reserve_vcc 1
		.amdhsa_float_round_mode_32 0
		.amdhsa_float_round_mode_16_64 0
		.amdhsa_float_denorm_mode_32 3
		.amdhsa_float_denorm_mode_16_64 3
		.amdhsa_dx10_clamp 1
		.amdhsa_ieee_mode 1
		.amdhsa_fp16_overflow 0
		.amdhsa_workgroup_processor_mode 1
		.amdhsa_memory_ordered 1
		.amdhsa_forward_progress 0
		.amdhsa_shared_vgpr_count 0
		.amdhsa_exception_fp_ieee_invalid_op 0
		.amdhsa_exception_fp_denorm_src 0
		.amdhsa_exception_fp_ieee_div_zero 0
		.amdhsa_exception_fp_ieee_overflow 0
		.amdhsa_exception_fp_ieee_underflow 0
		.amdhsa_exception_fp_ieee_inexact 0
		.amdhsa_exception_int_div_zero 0
	.end_amdhsa_kernel
	.section	.text._ZL25flash_attn_mask_to_KV_maxILi2EEvPK7__half2Piiii,"axG",@progbits,_ZL25flash_attn_mask_to_KV_maxILi2EEvPK7__half2Piiii,comdat
.Lfunc_end10:
	.size	_ZL25flash_attn_mask_to_KV_maxILi2EEvPK7__half2Piiii, .Lfunc_end10-_ZL25flash_attn_mask_to_KV_maxILi2EEvPK7__half2Piiii
                                        ; -- End function
	.section	.AMDGPU.csdata,"",@progbits
; Kernel info:
; codeLenInByte = 584
; NumSgprs: 18
; NumVgprs: 7
; ScratchSize: 0
; MemoryBound: 0
; FloatMode: 240
; IeeeMode: 1
; LDSByteSize: 128 bytes/workgroup (compile time only)
; SGPRBlocks: 2
; VGPRBlocks: 0
; NumSGPRsForWavesPerEU: 18
; NumVGPRsForWavesPerEU: 7
; Occupancy: 16
; WaveLimiterHint : 0
; COMPUTE_PGM_RSRC2:SCRATCH_EN: 0
; COMPUTE_PGM_RSRC2:USER_SGPR: 14
; COMPUTE_PGM_RSRC2:TRAP_HANDLER: 0
; COMPUTE_PGM_RSRC2:TGID_X_EN: 1
; COMPUTE_PGM_RSRC2:TGID_Y_EN: 1
; COMPUTE_PGM_RSRC2:TGID_Z_EN: 0
; COMPUTE_PGM_RSRC2:TIDIG_COMP_CNT: 0
	.section	.text._ZL33flash_attn_stream_k_fixup_uniformILi64ELi2ELi8EEvPfPK15HIP_vector_typeIfLj2EEiiiiiiS1_IjLj3EES5_S5_,"axG",@progbits,_ZL33flash_attn_stream_k_fixup_uniformILi64ELi2ELi8EEvPfPK15HIP_vector_typeIfLj2EEiiiiiiS1_IjLj3EES5_S5_,comdat
	.globl	_ZL33flash_attn_stream_k_fixup_uniformILi64ELi2ELi8EEvPfPK15HIP_vector_typeIfLj2EEiiiiiiS1_IjLj3EES5_S5_ ; -- Begin function _ZL33flash_attn_stream_k_fixup_uniformILi64ELi2ELi8EEvPfPK15HIP_vector_typeIfLj2EEiiiiiiS1_IjLj3EES5_S5_
	.p2align	8
	.type	_ZL33flash_attn_stream_k_fixup_uniformILi64ELi2ELi8EEvPfPK15HIP_vector_typeIfLj2EEiiiiiiS1_IjLj3EES5_S5_,@function
_ZL33flash_attn_stream_k_fixup_uniformILi64ELi2ELi8EEvPfPK15HIP_vector_typeIfLj2EEiiiiiiS1_IjLj3EES5_S5_: ; @_ZL33flash_attn_stream_k_fixup_uniformILi64ELi2ELi8EEvPfPK15HIP_vector_typeIfLj2EEiiiiiiS1_IjLj3EES5_S5_
; %bb.0:
	s_clause 0x1
	s_load_b256 s[4:11], s[0:1], 0x1c
	s_load_b128 s[16:19], s[0:1], 0x3c
	s_waitcnt lgkmcnt(0)
	s_mul_hi_u32 s2, s7, s13
	s_delay_alu instid0(SALU_CYCLE_1) | instskip(NEXT) | instid1(SALU_CYCLE_1)
	s_add_i32 s2, s13, s2
	s_lshr_b32 s2, s2, s8
	s_delay_alu instid0(SALU_CYCLE_1) | instskip(SKIP_2) | instid1(SALU_CYCLE_1)
	s_mul_i32 s3, s2, s9
	s_load_b64 s[8:9], s[0:1], 0x10
	s_sub_i32 s7, s13, s3
	s_mul_hi_u32 s3, s7, s10
	s_delay_alu instid0(SALU_CYCLE_1) | instskip(NEXT) | instid1(SALU_CYCLE_1)
	s_add_i32 s3, s7, s3
	s_lshr_b32 s3, s3, s11
	s_delay_alu instid0(SALU_CYCLE_1) | instskip(NEXT) | instid1(SALU_CYCLE_1)
	s_mul_i32 s10, s3, s16
	s_sub_i32 s7, s7, s10
	s_delay_alu instid0(SALU_CYCLE_1) | instskip(NEXT) | instid1(SALU_CYCLE_1)
	s_mul_hi_u32 s10, s7, s17
	s_add_i32 s10, s7, s10
	s_delay_alu instid0(SALU_CYCLE_1) | instskip(NEXT) | instid1(SALU_CYCLE_1)
	s_lshr_b32 s10, s10, s18
	s_mul_i32 s11, s10, s19
	s_lshl_b32 s10, s10, 3
	s_sub_i32 s7, s7, s11
	s_delay_alu instid0(SALU_CYCLE_1) | instskip(NEXT) | instid1(SALU_CYCLE_1)
	s_lshl_b32 s11, s7, 1
	s_add_i32 s11, s11, s14
	s_waitcnt lgkmcnt(0)
	s_cmp_lt_i32 s11, s8
	s_cselect_b32 s11, -1, 0
	s_add_i32 s12, s10, s15
	s_delay_alu instid0(SALU_CYCLE_1) | instskip(SKIP_1) | instid1(SALU_CYCLE_1)
	s_cmp_lt_i32 s12, s5
	s_cselect_b32 s12, -1, 0
	s_and_b32 s11, s11, s12
	s_delay_alu instid0(SALU_CYCLE_1)
	s_and_not1_b32 vcc_lo, exec_lo, s11
	s_cbranch_vccnz .LBB11_6
; %bb.1:
	s_mul_i32 s2, s2, s8
	s_mul_i32 s5, s3, s5
	s_add_i32 s2, s2, s14
	s_mul_i32 s7, s9, s7
	s_mul_i32 s2, s2, s9
	s_lshl_b32 s7, s7, 7
	s_add_i32 s8, s2, s15
	s_load_b128 s[0:3], s[0:1], 0x0
	s_add_i32 s5, s8, s5
	s_lshl_b32 s9, s14, 3
	s_add_i32 s5, s5, s10
	s_delay_alu instid0(SALU_CYCLE_1) | instskip(NEXT) | instid1(SALU_CYCLE_1)
	s_lshl_b32 s5, s5, 6
	s_add_i32 s7, s7, s5
	s_mul_i32 s5, s13, s6
	v_or_b32_e32 v1, s7, v0
	s_add_i32 s10, s5, s6
	s_delay_alu instid0(VALU_DEP_1) | instskip(NEXT) | instid1(VALU_DEP_1)
	v_ashrrev_i32_e32 v2, 31, v1
	v_lshlrev_b64 v[1:2], 2, v[1:2]
	s_waitcnt lgkmcnt(0)
	s_delay_alu instid0(VALU_DEP_1) | instskip(NEXT) | instid1(VALU_DEP_2)
	v_add_co_u32 v1, vcc_lo, s0, v1
	v_add_co_ci_u32_e32 v2, vcc_lo, s1, v2, vcc_lo
	s_add_i32 s0, s9, s15
	s_lshl_b32 s1, s10, 4
	s_delay_alu instid0(SALU_CYCLE_1) | instskip(SKIP_2) | instid1(SALU_CYCLE_1)
	s_add_i32 s0, s0, s1
	global_load_b32 v5, v[1:2], off
	s_add_i32 s0, s0, -16
	s_ashr_i32 s1, s0, 31
	s_delay_alu instid0(SALU_CYCLE_1) | instskip(NEXT) | instid1(SALU_CYCLE_1)
	s_lshl_b64 s[0:1], s[0:1], 3
	s_add_u32 s0, s2, s0
	s_addc_u32 s1, s3, s1
	s_add_i32 s7, s10, -2
	s_load_b32 s11, s[0:1], 0x4
	s_cmp_lt_i32 s7, s5
	s_cbranch_scc1 .LBB11_4
; %bb.2:
	s_lshl_b32 s16, s4, 6
	s_load_b32 s12, s[0:1], 0x0
	s_ashr_i32 s17, s16, 31
	s_delay_alu instid0(SALU_CYCLE_1) | instskip(NEXT) | instid1(SALU_CYCLE_1)
	s_lshl_b64 s[0:1], s[16:17], 2
	s_add_u32 s7, s2, s0
	s_addc_u32 s8, s3, s1
	s_add_i32 s13, s13, 1
	s_lshl_b32 s0, s14, 9
	s_lshl_b32 s1, s15, 6
	s_mul_i32 s6, s6, s13
	s_add_i32 s0, s1, s0
	s_lshl_b32 s1, s6, 10
	s_delay_alu instid0(SALU_CYCLE_1)
	s_add_i32 s0, s0, s1
	s_lshl_b32 s1, s6, 4
	v_or_b32_e32 v0, s0, v0
	s_lshl_b32 s0, s4, 4
	s_add_i32 s1, s15, s1
	s_waitcnt lgkmcnt(0)
	v_mov_b32_e32 v6, s11
	s_add_i32 s0, s1, s0
	v_dual_mov_b32 v0, s12 :: v_dual_add_nc_u32 v3, 0xfffff800, v0
	s_add_i32 s0, s0, s9
	s_add_i32 s4, s10, -1
	s_sub_i32 s0, s0, 32
.LBB11_3:                               ; =>This Inner Loop Header: Depth=1
	s_delay_alu instid0(VALU_DEP_1) | instskip(SKIP_1) | instid1(SALU_CYCLE_1)
	v_ashrrev_i32_e32 v4, 31, v3
	s_ashr_i32 s1, s0, 31
	s_lshl_b64 s[10:11], s[0:1], 3
	s_delay_alu instid0(SALU_CYCLE_1) | instskip(NEXT) | instid1(VALU_DEP_1)
	s_add_u32 s10, s2, s10
	v_lshlrev_b64 v[7:8], 2, v[3:4]
	s_addc_u32 s11, s3, s11
	s_add_i32 s4, s4, -1
	s_add_i32 s0, s0, -16
	s_cmp_le_i32 s4, s5
	s_load_b64 s[10:11], s[10:11], 0x0
	v_add_co_u32 v7, vcc_lo, s7, v7
	v_add_co_ci_u32_e32 v8, vcc_lo, s8, v8, vcc_lo
	global_load_b32 v4, v[7:8], off
	v_max_f32_e32 v7, v0, v0
	s_waitcnt lgkmcnt(0)
	v_max_f32_e64 v8, s10, s10
	s_delay_alu instid0(VALU_DEP_1) | instskip(NEXT) | instid1(VALU_DEP_1)
	v_max_f32_e32 v7, v7, v8
	v_sub_f32_e32 v8, s10, v7
	s_delay_alu instid0(VALU_DEP_1) | instskip(NEXT) | instid1(VALU_DEP_1)
	v_dual_sub_f32 v0, v0, v7 :: v_dual_mul_f32 v9, 0x3fb8aa3b, v8
	v_fma_f32 v10, 0x3fb8aa3b, v8, -v9
	v_rndne_f32_e32 v11, v9
	s_delay_alu instid0(VALU_DEP_3) | instskip(NEXT) | instid1(VALU_DEP_2)
	v_mul_f32_e32 v12, 0x3fb8aa3b, v0
	v_dual_fmac_f32 v10, 0x32a5705f, v8 :: v_dual_sub_f32 v9, v9, v11
	v_cvt_i32_f32_e32 v11, v11
	s_delay_alu instid0(VALU_DEP_3) | instskip(SKIP_1) | instid1(VALU_DEP_4)
	v_fma_f32 v13, 0x3fb8aa3b, v0, -v12
	v_rndne_f32_e32 v14, v12
	v_add_f32_e32 v9, v9, v10
	v_cmp_ngt_f32_e32 vcc_lo, 0xc2ce8ed0, v8
	s_delay_alu instid0(VALU_DEP_3) | instskip(NEXT) | instid1(VALU_DEP_3)
	v_sub_f32_e32 v10, v12, v14
	v_exp_f32_e32 v9, v9
	s_waitcnt_depctr 0xfff
	v_ldexp_f32 v9, v9, v11
	v_cvt_i32_f32_e32 v11, v14
	s_delay_alu instid0(VALU_DEP_2) | instskip(SKIP_1) | instid1(VALU_DEP_2)
	v_cndmask_b32_e32 v9, 0, v9, vcc_lo
	v_cmp_nlt_f32_e32 vcc_lo, 0x42b17218, v8
	v_cndmask_b32_e32 v9, 0x7f800000, v9, vcc_lo
	v_cmp_ngt_f32_e32 vcc_lo, 0xc2ce8ed0, v0
	v_fmac_f32_e32 v13, 0x32a5705f, v0
	s_delay_alu instid0(VALU_DEP_1) | instskip(NEXT) | instid1(VALU_DEP_1)
	v_add_f32_e32 v10, v10, v13
	v_exp_f32_e32 v10, v10
	s_waitcnt_depctr 0xfff
	v_ldexp_f32 v10, v10, v11
	s_delay_alu instid0(VALU_DEP_1)
	v_dual_mov_b32 v11, v6 :: v_dual_cndmask_b32 v10, 0, v10
	v_cmp_le_f32_e32 vcc_lo, 0xc1a00000, v8
	s_waitcnt vmcnt(1)
	v_dual_cndmask_b32 v8, 0, v9 :: v_dual_mov_b32 v9, v5
	v_cmp_nlt_f32_e32 vcc_lo, 0x42b17218, v0
	v_cndmask_b32_e32 v5, 0x7f800000, v10, vcc_lo
	s_delay_alu instid0(VALU_DEP_3) | instskip(SKIP_2) | instid1(VALU_DEP_3)
	v_mul_f32_e32 v10, s11, v8
	v_cmp_le_f32_e32 vcc_lo, 0xc1a00000, v0
	v_mov_b32_e32 v0, v7
	v_mov_b32_e32 v6, v10
	s_waitcnt vmcnt(0)
	v_dual_cndmask_b32 v12, 0, v5 :: v_dual_mul_f32 v5, v4, v8
	s_delay_alu instid0(VALU_DEP_1) | instskip(NEXT) | instid1(VALU_DEP_2)
	v_dual_fmac_f32 v6, v11, v12 :: v_dual_add_nc_u32 v3, 0xfffffc00, v3
	v_fmac_f32_e32 v5, v9, v12
	s_cbranch_scc0 .LBB11_3
	s_branch .LBB11_5
.LBB11_4:
	s_waitcnt lgkmcnt(0)
	v_mov_b32_e32 v6, s11
.LBB11_5:
	s_waitcnt vmcnt(0)
	s_delay_alu instid0(VALU_DEP_1) | instskip(NEXT) | instid1(VALU_DEP_1)
	v_div_scale_f32 v0, null, v6, v6, v5
	v_rcp_f32_e32 v3, v0
	s_waitcnt_depctr 0xfff
	v_fma_f32 v4, -v0, v3, 1.0
	s_delay_alu instid0(VALU_DEP_1) | instskip(SKIP_1) | instid1(VALU_DEP_1)
	v_fmac_f32_e32 v3, v4, v3
	v_div_scale_f32 v4, vcc_lo, v5, v6, v5
	v_mul_f32_e32 v7, v4, v3
	s_delay_alu instid0(VALU_DEP_1) | instskip(NEXT) | instid1(VALU_DEP_1)
	v_fma_f32 v8, -v0, v7, v4
	v_fmac_f32_e32 v7, v8, v3
	s_delay_alu instid0(VALU_DEP_1) | instskip(NEXT) | instid1(VALU_DEP_1)
	v_fma_f32 v0, -v0, v7, v4
	v_div_fmas_f32 v0, v0, v3, v7
	s_delay_alu instid0(VALU_DEP_1)
	v_div_fixup_f32 v0, v0, v6, v5
	global_store_b32 v[1:2], v0, off
.LBB11_6:
	s_nop 0
	s_sendmsg sendmsg(MSG_DEALLOC_VGPRS)
	s_endpgm
	.section	.rodata,"a",@progbits
	.p2align	6, 0x0
	.amdhsa_kernel _ZL33flash_attn_stream_k_fixup_uniformILi64ELi2ELi8EEvPfPK15HIP_vector_typeIfLj2EEiiiiiiS1_IjLj3EES5_S5_
		.amdhsa_group_segment_fixed_size 0
		.amdhsa_private_segment_fixed_size 0
		.amdhsa_kernarg_size 76
		.amdhsa_user_sgpr_count 13
		.amdhsa_user_sgpr_dispatch_ptr 0
		.amdhsa_user_sgpr_queue_ptr 0
		.amdhsa_user_sgpr_kernarg_segment_ptr 1
		.amdhsa_user_sgpr_dispatch_id 0
		.amdhsa_user_sgpr_private_segment_size 0
		.amdhsa_wavefront_size32 1
		.amdhsa_uses_dynamic_stack 0
		.amdhsa_enable_private_segment 0
		.amdhsa_system_sgpr_workgroup_id_x 1
		.amdhsa_system_sgpr_workgroup_id_y 1
		.amdhsa_system_sgpr_workgroup_id_z 1
		.amdhsa_system_sgpr_workgroup_info 0
		.amdhsa_system_vgpr_workitem_id 0
		.amdhsa_next_free_vgpr 15
		.amdhsa_next_free_sgpr 20
		.amdhsa_reserve_vcc 1
		.amdhsa_float_round_mode_32 0
		.amdhsa_float_round_mode_16_64 0
		.amdhsa_float_denorm_mode_32 3
		.amdhsa_float_denorm_mode_16_64 3
		.amdhsa_dx10_clamp 1
		.amdhsa_ieee_mode 1
		.amdhsa_fp16_overflow 0
		.amdhsa_workgroup_processor_mode 1
		.amdhsa_memory_ordered 1
		.amdhsa_forward_progress 0
		.amdhsa_shared_vgpr_count 0
		.amdhsa_exception_fp_ieee_invalid_op 0
		.amdhsa_exception_fp_denorm_src 0
		.amdhsa_exception_fp_ieee_div_zero 0
		.amdhsa_exception_fp_ieee_overflow 0
		.amdhsa_exception_fp_ieee_underflow 0
		.amdhsa_exception_fp_ieee_inexact 0
		.amdhsa_exception_int_div_zero 0
	.end_amdhsa_kernel
	.section	.text._ZL33flash_attn_stream_k_fixup_uniformILi64ELi2ELi8EEvPfPK15HIP_vector_typeIfLj2EEiiiiiiS1_IjLj3EES5_S5_,"axG",@progbits,_ZL33flash_attn_stream_k_fixup_uniformILi64ELi2ELi8EEvPfPK15HIP_vector_typeIfLj2EEiiiiiiS1_IjLj3EES5_S5_,comdat
.Lfunc_end11:
	.size	_ZL33flash_attn_stream_k_fixup_uniformILi64ELi2ELi8EEvPfPK15HIP_vector_typeIfLj2EEiiiiiiS1_IjLj3EES5_S5_, .Lfunc_end11-_ZL33flash_attn_stream_k_fixup_uniformILi64ELi2ELi8EEvPfPK15HIP_vector_typeIfLj2EEiiiiiiS1_IjLj3EES5_S5_
                                        ; -- End function
	.section	.AMDGPU.csdata,"",@progbits
; Kernel info:
; codeLenInByte = 996
; NumSgprs: 22
; NumVgprs: 15
; ScratchSize: 0
; MemoryBound: 0
; FloatMode: 240
; IeeeMode: 1
; LDSByteSize: 0 bytes/workgroup (compile time only)
; SGPRBlocks: 2
; VGPRBlocks: 1
; NumSGPRsForWavesPerEU: 22
; NumVGPRsForWavesPerEU: 15
; Occupancy: 16
; WaveLimiterHint : 0
; COMPUTE_PGM_RSRC2:SCRATCH_EN: 0
; COMPUTE_PGM_RSRC2:USER_SGPR: 13
; COMPUTE_PGM_RSRC2:TRAP_HANDLER: 0
; COMPUTE_PGM_RSRC2:TGID_X_EN: 1
; COMPUTE_PGM_RSRC2:TGID_Y_EN: 1
; COMPUTE_PGM_RSRC2:TGID_Z_EN: 1
; COMPUTE_PGM_RSRC2:TIDIG_COMP_CNT: 0
	.section	.text._ZL33flash_attn_stream_k_fixup_generalILi64ELi2ELi8EEvPfPK15HIP_vector_typeIfLj2EEiiiiS1_IjLj3EES5_S5_S5_,"axG",@progbits,_ZL33flash_attn_stream_k_fixup_generalILi64ELi2ELi8EEvPfPK15HIP_vector_typeIfLj2EEiiiiS1_IjLj3EES5_S5_S5_,comdat
	.globl	_ZL33flash_attn_stream_k_fixup_generalILi64ELi2ELi8EEvPfPK15HIP_vector_typeIfLj2EEiiiiS1_IjLj3EES5_S5_S5_ ; -- Begin function _ZL33flash_attn_stream_k_fixup_generalILi64ELi2ELi8EEvPfPK15HIP_vector_typeIfLj2EEiiiiS1_IjLj3EES5_S5_S5_
	.p2align	8
	.type	_ZL33flash_attn_stream_k_fixup_generalILi64ELi2ELi8EEvPfPK15HIP_vector_typeIfLj2EEiiiiS1_IjLj3EES5_S5_S5_,@function
_ZL33flash_attn_stream_k_fixup_generalILi64ELi2ELi8EEvPfPK15HIP_vector_typeIfLj2EEiiiiS1_IjLj3EES5_S5_S5_: ; @_ZL33flash_attn_stream_k_fixup_generalILi64ELi2ELi8EEvPfPK15HIP_vector_typeIfLj2EEiiiiS1_IjLj3EES5_S5_S5_
; %bb.0:
	s_clause 0x1
	s_load_b128 s[4:7], s[0:1], 0x10
	s_load_b32 s20, s[0:1], 0x50
	s_mov_b32 s2, 0
	s_waitcnt lgkmcnt(0)
	s_mul_hi_i32 s3, s7, s13
	s_mul_i32 s12, s7, s13
	s_cmp_lg_u64 s[2:3], 0
	s_cbranch_scc0 .LBB12_21
; %bb.1:
	v_cvt_f32_ubyte0_e32 v1, 0
	v_cvt_f32_u32_e32 v2, s20
	s_sub_u32 s10, 0, s20
	s_subb_u32 s11, 0, 0
	s_delay_alu instid0(VALU_DEP_1) | instskip(NEXT) | instid1(VALU_DEP_1)
	v_fmamk_f32 v1, v1, 0x4f800000, v2
	v_rcp_f32_e32 v1, v1
	s_waitcnt_depctr 0xfff
	v_mul_f32_e32 v1, 0x5f7ffffc, v1
	s_delay_alu instid0(VALU_DEP_1) | instskip(NEXT) | instid1(VALU_DEP_1)
	v_mul_f32_e32 v2, 0x2f800000, v1
	v_trunc_f32_e32 v2, v2
	s_delay_alu instid0(VALU_DEP_1) | instskip(SKIP_1) | instid1(VALU_DEP_2)
	v_fmamk_f32 v1, v2, 0xcf800000, v1
	v_cvt_u32_f32_e32 v2, v2
	v_cvt_u32_f32_e32 v1, v1
	s_delay_alu instid0(VALU_DEP_2) | instskip(NEXT) | instid1(VALU_DEP_2)
	v_readfirstlane_b32 s8, v2
	v_readfirstlane_b32 s9, v1
	s_delay_alu instid0(VALU_DEP_2) | instskip(NEXT) | instid1(VALU_DEP_1)
	s_mul_i32 s16, s10, s8
	s_mul_hi_u32 s18, s10, s9
	s_mul_i32 s17, s11, s9
	s_add_i32 s16, s18, s16
	s_mul_i32 s19, s10, s9
	s_add_i32 s16, s16, s17
	s_mul_hi_u32 s18, s9, s19
	s_mul_hi_u32 s21, s8, s19
	s_mul_i32 s17, s8, s19
	s_mul_hi_u32 s19, s9, s16
	s_mul_i32 s9, s9, s16
	s_mul_hi_u32 s22, s8, s16
	s_add_u32 s9, s18, s9
	s_addc_u32 s18, 0, s19
	s_add_u32 s9, s9, s17
	s_mul_i32 s16, s8, s16
	s_addc_u32 s9, s18, s21
	s_addc_u32 s17, s22, 0
	s_add_u32 s9, s9, s16
	s_addc_u32 s16, 0, s17
	v_add_co_u32 v1, s9, v1, s9
	s_delay_alu instid0(VALU_DEP_1) | instskip(SKIP_1) | instid1(VALU_DEP_1)
	s_cmp_lg_u32 s9, 0
	s_addc_u32 s8, s8, s16
	v_readfirstlane_b32 s9, v1
	s_mul_i32 s16, s10, s8
	s_delay_alu instid0(VALU_DEP_1)
	s_mul_hi_u32 s17, s10, s9
	s_mul_i32 s11, s11, s9
	s_add_i32 s16, s17, s16
	s_mul_i32 s10, s10, s9
	s_add_i32 s16, s16, s11
	s_mul_hi_u32 s17, s8, s10
	s_mul_i32 s18, s8, s10
	s_mul_hi_u32 s10, s9, s10
	s_mul_hi_u32 s19, s9, s16
	s_mul_i32 s9, s9, s16
	s_mul_hi_u32 s11, s8, s16
	s_add_u32 s9, s10, s9
	s_addc_u32 s10, 0, s19
	s_add_u32 s9, s9, s18
	s_mul_i32 s16, s8, s16
	s_addc_u32 s9, s10, s17
	s_addc_u32 s10, s11, 0
	s_add_u32 s9, s9, s16
	s_addc_u32 s10, 0, s10
	v_add_co_u32 v1, s9, v1, s9
	s_delay_alu instid0(VALU_DEP_1) | instskip(SKIP_2) | instid1(SALU_CYCLE_1)
	s_cmp_lg_u32 s9, 0
	s_addc_u32 s16, s8, s10
	s_ashr_i32 s8, s3, 31
	s_add_u32 s10, s12, s8
	s_addc_u32 s11, s3, s8
	v_readfirstlane_b32 s3, v1
	s_mov_b32 s9, s8
	s_delay_alu instid0(SALU_CYCLE_1) | instskip(NEXT) | instid1(SALU_CYCLE_1)
	s_xor_b64 s[10:11], s[10:11], s[8:9]
	s_mul_i32 s18, s10, s16
	s_delay_alu instid0(VALU_DEP_1)
	s_mul_hi_u32 s19, s10, s3
	s_mul_hi_u32 s17, s10, s16
	;; [unrolled: 1-line block ×3, first 2 shown]
	s_mul_i32 s3, s11, s3
	s_add_u32 s18, s19, s18
	s_addc_u32 s17, 0, s17
	s_mul_hi_u32 s21, s11, s16
	s_add_u32 s3, s18, s3
	s_mul_i32 s16, s11, s16
	s_addc_u32 s3, s17, s22
	s_addc_u32 s17, s21, 0
	s_add_u32 s3, s3, s16
	s_addc_u32 s16, 0, s17
	s_mul_i32 s18, s20, s3
	s_add_u32 s17, s3, 1
	v_sub_co_u32 v1, s10, s10, s18
	s_mul_hi_u32 s18, s20, s3
	s_addc_u32 s19, s16, 0
	s_mul_i32 s21, s20, s16
	s_delay_alu instid0(VALU_DEP_1)
	v_sub_co_u32 v2, s22, v1, s20
	s_add_u32 s23, s3, 2
	s_addc_u32 s24, s16, 0
	s_add_i32 s18, s18, s21
	s_cmp_lg_u32 s10, 0
	v_readfirstlane_b32 s10, v2
	s_subb_u32 s11, s11, s18
	s_cmp_lg_u32 s22, 0
	s_subb_u32 s18, s11, 0
	s_delay_alu instid0(VALU_DEP_1) | instskip(SKIP_4) | instid1(SALU_CYCLE_1)
	s_cmp_ge_u32 s10, s20
	s_cselect_b32 s10, -1, 0
	s_cmp_eq_u32 s18, 0
	v_readfirstlane_b32 s18, v1
	s_cselect_b32 s10, s10, -1
	s_cmp_lg_u32 s10, 0
	s_cselect_b32 s10, s23, s17
	s_cselect_b32 s17, s24, s19
	s_cmp_ge_u32 s18, s20
	s_cselect_b32 s18, -1, 0
	s_cmp_eq_u32 s11, 0
	s_cselect_b32 s11, s18, -1
	s_delay_alu instid0(SALU_CYCLE_1) | instskip(SKIP_2) | instid1(SALU_CYCLE_1)
	s_cmp_lg_u32 s11, 0
	s_cselect_b32 s11, s17, s16
	s_cselect_b32 s10, s10, s3
	s_xor_b64 s[10:11], s[10:11], s[8:9]
	s_delay_alu instid0(SALU_CYCLE_1)
	s_sub_u32 s16, s10, s8
	s_load_b128 s[8:11], s[0:1], 0x44
	s_and_not1_b32 vcc_lo, exec_lo, s2
	s_cbranch_vccnz .LBB12_3
.LBB12_2:
	v_cvt_f32_u32_e32 v1, s20
	s_sub_i32 s3, 0, s20
	s_delay_alu instid0(VALU_DEP_1) | instskip(SKIP_2) | instid1(VALU_DEP_1)
	v_rcp_iflag_f32_e32 v1, v1
	s_waitcnt_depctr 0xfff
	v_mul_f32_e32 v1, 0x4f7ffffe, v1
	v_cvt_u32_f32_e32 v1, v1
	s_delay_alu instid0(VALU_DEP_1) | instskip(NEXT) | instid1(VALU_DEP_1)
	v_readfirstlane_b32 s2, v1
	s_mul_i32 s3, s3, s2
	s_delay_alu instid0(SALU_CYCLE_1) | instskip(NEXT) | instid1(SALU_CYCLE_1)
	s_mul_hi_u32 s3, s2, s3
	s_add_i32 s2, s2, s3
	s_delay_alu instid0(SALU_CYCLE_1) | instskip(NEXT) | instid1(SALU_CYCLE_1)
	s_mul_hi_u32 s2, s12, s2
	s_mul_i32 s3, s2, s20
	s_waitcnt lgkmcnt(0)
	s_add_i32 s11, s2, 1
	s_sub_i32 s3, s12, s3
	s_delay_alu instid0(SALU_CYCLE_1)
	s_sub_i32 s12, s3, s20
	s_cmp_ge_u32 s3, s20
	s_cselect_b32 s2, s11, s2
	s_cselect_b32 s3, s12, s3
	s_add_i32 s11, s2, 1
	s_cmp_ge_u32 s3, s20
	s_cselect_b32 s16, s11, s2
.LBB12_3:
	s_waitcnt lgkmcnt(0)
	s_add_i32 s11, s13, 1
	s_mov_b32 s2, 0
	s_mul_hi_i32 s3, s7, s11
	s_mul_i32 s11, s7, s11
	s_cmp_lg_u64 s[2:3], 0
	s_cbranch_scc0 .LBB12_22
; %bb.4:
	v_cvt_f32_ubyte0_e32 v1, 0
	v_cvt_f32_u32_e32 v2, s20
	s_sub_u32 s18, 0, s20
	s_subb_u32 s19, 0, 0
	s_delay_alu instid0(VALU_DEP_1) | instskip(NEXT) | instid1(VALU_DEP_1)
	v_fmamk_f32 v1, v1, 0x4f800000, v2
	v_rcp_f32_e32 v1, v1
	s_waitcnt_depctr 0xfff
	v_mul_f32_e32 v1, 0x5f7ffffc, v1
	s_delay_alu instid0(VALU_DEP_1) | instskip(NEXT) | instid1(VALU_DEP_1)
	v_mul_f32_e32 v2, 0x2f800000, v1
	v_trunc_f32_e32 v2, v2
	s_delay_alu instid0(VALU_DEP_1) | instskip(SKIP_1) | instid1(VALU_DEP_2)
	v_fmamk_f32 v1, v2, 0xcf800000, v1
	v_cvt_u32_f32_e32 v2, v2
	v_cvt_u32_f32_e32 v1, v1
	s_delay_alu instid0(VALU_DEP_2) | instskip(NEXT) | instid1(VALU_DEP_2)
	v_readfirstlane_b32 s12, v2
	v_readfirstlane_b32 s17, v1
	s_delay_alu instid0(VALU_DEP_2) | instskip(NEXT) | instid1(VALU_DEP_1)
	s_mul_i32 s21, s18, s12
	s_mul_hi_u32 s23, s18, s17
	s_mul_i32 s22, s19, s17
	s_add_i32 s21, s23, s21
	s_mul_i32 s24, s18, s17
	s_add_i32 s21, s21, s22
	s_mul_hi_u32 s23, s17, s24
	s_mul_hi_u32 s25, s12, s24
	s_mul_i32 s22, s12, s24
	s_mul_hi_u32 s24, s17, s21
	s_mul_i32 s17, s17, s21
	s_mul_hi_u32 s26, s12, s21
	s_add_u32 s17, s23, s17
	s_addc_u32 s23, 0, s24
	s_add_u32 s17, s17, s22
	s_mul_i32 s21, s12, s21
	s_addc_u32 s17, s23, s25
	s_addc_u32 s22, s26, 0
	s_add_u32 s17, s17, s21
	s_addc_u32 s21, 0, s22
	v_add_co_u32 v1, s17, v1, s17
	s_delay_alu instid0(VALU_DEP_1) | instskip(SKIP_1) | instid1(VALU_DEP_1)
	s_cmp_lg_u32 s17, 0
	s_addc_u32 s12, s12, s21
	v_readfirstlane_b32 s17, v1
	s_mul_i32 s21, s18, s12
	s_delay_alu instid0(VALU_DEP_1)
	s_mul_hi_u32 s22, s18, s17
	s_mul_i32 s19, s19, s17
	s_add_i32 s21, s22, s21
	s_mul_i32 s18, s18, s17
	s_add_i32 s21, s21, s19
	s_mul_hi_u32 s22, s12, s18
	s_mul_i32 s23, s12, s18
	s_mul_hi_u32 s18, s17, s18
	s_mul_hi_u32 s24, s17, s21
	s_mul_i32 s17, s17, s21
	s_mul_hi_u32 s19, s12, s21
	s_add_u32 s17, s18, s17
	s_addc_u32 s18, 0, s24
	s_add_u32 s17, s17, s23
	s_mul_i32 s21, s12, s21
	s_addc_u32 s17, s18, s22
	s_addc_u32 s18, s19, 0
	s_add_u32 s17, s17, s21
	s_addc_u32 s18, 0, s18
	v_add_co_u32 v1, s17, v1, s17
	s_delay_alu instid0(VALU_DEP_1) | instskip(SKIP_2) | instid1(SALU_CYCLE_1)
	s_cmp_lg_u32 s17, 0
	s_addc_u32 s12, s12, s18
	s_ashr_i32 s18, s3, 31
	s_add_u32 s22, s11, s18
	s_addc_u32 s23, s3, s18
	v_readfirstlane_b32 s3, v1
	s_mov_b32 s19, s18
	s_delay_alu instid0(SALU_CYCLE_1) | instskip(NEXT) | instid1(SALU_CYCLE_1)
	s_xor_b64 s[22:23], s[22:23], s[18:19]
	s_mul_i32 s21, s22, s12
	s_delay_alu instid0(VALU_DEP_1)
	s_mul_hi_u32 s24, s22, s3
	s_mul_hi_u32 s17, s22, s12
	;; [unrolled: 1-line block ×3, first 2 shown]
	s_mul_i32 s3, s23, s3
	s_add_u32 s21, s24, s21
	s_addc_u32 s17, 0, s17
	s_mul_hi_u32 s25, s23, s12
	s_add_u32 s3, s21, s3
	s_mul_i32 s12, s23, s12
	s_addc_u32 s3, s17, s26
	s_addc_u32 s17, s25, 0
	s_add_u32 s3, s3, s12
	s_addc_u32 s12, 0, s17
	s_mul_i32 s21, s20, s3
	s_add_u32 s17, s3, 1
	v_sub_co_u32 v1, s21, s22, s21
	s_mul_hi_u32 s22, s20, s3
	s_addc_u32 s24, s12, 0
	s_mul_i32 s25, s20, s12
	s_delay_alu instid0(VALU_DEP_1)
	v_sub_co_u32 v2, s26, v1, s20
	s_add_u32 s27, s3, 2
	s_addc_u32 s28, s12, 0
	s_add_i32 s22, s22, s25
	s_cmp_lg_u32 s21, 0
	v_readfirstlane_b32 s21, v2
	s_subb_u32 s22, s23, s22
	s_cmp_lg_u32 s26, 0
	s_subb_u32 s23, s22, 0
	s_delay_alu instid0(VALU_DEP_1) | instskip(SKIP_4) | instid1(SALU_CYCLE_1)
	s_cmp_ge_u32 s21, s20
	s_cselect_b32 s21, -1, 0
	s_cmp_eq_u32 s23, 0
	v_readfirstlane_b32 s23, v1
	s_cselect_b32 s21, s21, -1
	s_cmp_lg_u32 s21, 0
	s_cselect_b32 s17, s27, s17
	s_cselect_b32 s21, s28, s24
	s_cmp_ge_u32 s23, s20
	s_cselect_b32 s23, -1, 0
	s_cmp_eq_u32 s22, 0
	s_cselect_b32 s22, s23, -1
	s_delay_alu instid0(SALU_CYCLE_1) | instskip(SKIP_2) | instid1(SALU_CYCLE_1)
	s_cmp_lg_u32 s22, 0
	s_cselect_b32 s23, s21, s12
	s_cselect_b32 s22, s17, s3
	s_xor_b64 s[22:23], s[22:23], s[18:19]
	s_delay_alu instid0(SALU_CYCLE_1)
	s_sub_u32 s18, s22, s18
	s_and_not1_b32 vcc_lo, exec_lo, s2
	s_cbranch_vccnz .LBB12_6
.LBB12_5:
	v_cvt_f32_u32_e32 v1, s20
	s_sub_i32 s3, 0, s20
	s_delay_alu instid0(VALU_DEP_1) | instskip(SKIP_2) | instid1(VALU_DEP_1)
	v_rcp_iflag_f32_e32 v1, v1
	s_waitcnt_depctr 0xfff
	v_mul_f32_e32 v1, 0x4f7ffffe, v1
	v_cvt_u32_f32_e32 v1, v1
	s_delay_alu instid0(VALU_DEP_1) | instskip(NEXT) | instid1(VALU_DEP_1)
	v_readfirstlane_b32 s2, v1
	s_mul_i32 s3, s3, s2
	s_delay_alu instid0(SALU_CYCLE_1) | instskip(NEXT) | instid1(SALU_CYCLE_1)
	s_mul_hi_u32 s3, s2, s3
	s_add_i32 s2, s2, s3
	s_delay_alu instid0(SALU_CYCLE_1) | instskip(NEXT) | instid1(SALU_CYCLE_1)
	s_mul_hi_u32 s2, s11, s2
	s_mul_i32 s3, s2, s20
	s_delay_alu instid0(SALU_CYCLE_1)
	s_sub_i32 s3, s11, s3
	s_add_i32 s11, s2, 1
	s_sub_i32 s12, s3, s20
	s_cmp_ge_u32 s3, s20
	s_cselect_b32 s2, s11, s2
	s_cselect_b32 s3, s12, s3
	s_add_i32 s11, s2, 1
	s_cmp_ge_u32 s3, s20
	s_cselect_b32 s18, s11, s2
.LBB12_6:
	s_delay_alu instid0(SALU_CYCLE_1) | instskip(SKIP_3) | instid1(SALU_CYCLE_1)
	s_cmp_eq_u32 s16, s18
	s_mul_hi_u32 s2, s16, s8
	s_cselect_b32 s3, -1, 0
	s_add_i32 s2, s2, s16
	s_lshr_b32 s11, s2, s9
	s_delay_alu instid0(SALU_CYCLE_1) | instskip(NEXT) | instid1(SALU_CYCLE_1)
	s_mul_i32 s2, s11, s10
	s_cmp_eq_u32 s2, s16
	s_mul_hi_u32 s2, s18, s8
	s_cselect_b32 s12, -1, 0
	s_add_i32 s2, s2, s18
	s_delay_alu instid0(SALU_CYCLE_1) | instskip(NEXT) | instid1(SALU_CYCLE_1)
	s_lshr_b32 s2, s2, s9
	s_cmp_eq_u32 s11, s2
	s_mul_i32 s2, s2, s10
	s_cselect_b32 s17, -1, 0
	s_cmp_lg_u32 s2, s18
	s_cselect_b32 s2, -1, 0
	s_or_b32 s3, s3, s12
	s_and_b32 s2, s17, s2
	s_delay_alu instid0(SALU_CYCLE_1) | instskip(NEXT) | instid1(SALU_CYCLE_1)
	s_or_b32 s2, s3, s2
	s_and_b32 vcc_lo, exec_lo, s2
	s_cbranch_vccnz .LBB12_24
; %bb.7:
	s_load_b256 s[24:31], s[0:1], 0x20
	s_waitcnt lgkmcnt(0)
	s_mul_hi_u32 s2, s16, s24
	s_delay_alu instid0(SALU_CYCLE_1) | instskip(NEXT) | instid1(SALU_CYCLE_1)
	s_add_i32 s2, s2, s16
	s_lshr_b32 s17, s2, s25
	s_load_b32 s2, s[0:1], 0x40
	s_mul_i32 s3, s17, s26
	s_delay_alu instid0(SALU_CYCLE_1) | instskip(NEXT) | instid1(SALU_CYCLE_1)
	s_sub_i32 s3, s16, s3
	s_mul_hi_u32 s12, s3, s27
	s_delay_alu instid0(SALU_CYCLE_1) | instskip(NEXT) | instid1(SALU_CYCLE_1)
	s_add_i32 s12, s3, s12
	s_lshr_b32 s21, s12, s28
	s_delay_alu instid0(SALU_CYCLE_1) | instskip(NEXT) | instid1(SALU_CYCLE_1)
	s_mul_i32 s12, s21, s29
	s_sub_i32 s3, s3, s12
	s_delay_alu instid0(SALU_CYCLE_1) | instskip(NEXT) | instid1(SALU_CYCLE_1)
	s_mul_hi_u32 s12, s3, s30
	s_add_i32 s12, s3, s12
	s_delay_alu instid0(SALU_CYCLE_1)
	s_lshr_b32 s12, s12, s31
	s_waitcnt lgkmcnt(0)
	s_mul_i32 s2, s12, s2
	s_lshl_b32 s23, s12, 3
	s_sub_i32 s2, s3, s2
	s_mov_b32 s12, 0
	s_mul_hi_u32 s3, s2, s8
	s_delay_alu instid0(SALU_CYCLE_1) | instskip(NEXT) | instid1(SALU_CYCLE_1)
	s_add_i32 s2, s2, s3
	s_lshr_b32 s22, s2, s9
	s_delay_alu instid0(SALU_CYCLE_1) | instskip(NEXT) | instid1(SALU_CYCLE_1)
	s_lshl_b32 s2, s22, 1
	s_add_i32 s2, s2, s14
	s_delay_alu instid0(SALU_CYCLE_1) | instskip(SKIP_2) | instid1(SALU_CYCLE_1)
	s_cmp_lt_i32 s2, s4
	s_cselect_b32 s2, -1, 0
	s_add_i32 s3, s23, s15
	s_cmp_lt_i32 s3, s6
	s_cselect_b32 s3, -1, 0
	s_delay_alu instid0(SALU_CYCLE_1) | instskip(NEXT) | instid1(SALU_CYCLE_1)
	s_and_b32 s2, s2, s3
	s_and_not1_b32 vcc_lo, exec_lo, s2
	s_cbranch_vccnz .LBB12_24
; %bb.8:
	s_load_b128 s[0:3], s[0:1], 0x0
	s_lshl_b32 s18, s20, 6
	s_mov_b32 s19, s12
	s_lshl_b32 s24, s14, 3
	s_lshl_b64 s[18:19], s[18:19], 2
	s_mul_i32 s4, s17, s4
	s_add_i32 s17, s24, s15
	s_mul_i32 s21, s21, s6
	v_cvt_f32_ubyte0_e32 v4, 0
	v_cvt_f32_u32_e32 v5, s20
	s_waitcnt lgkmcnt(0)
	s_add_u32 s18, s2, s18
	s_addc_u32 s19, s3, s19
	s_add_i32 s4, s4, s14
	s_delay_alu instid0(SALU_CYCLE_1) | instskip(SKIP_4) | instid1(SALU_CYCLE_1)
	s_mul_i32 s4, s4, s5
	s_mul_i32 s5, s5, s22
	s_add_i32 s4, s4, s15
	s_lshl_b32 s5, s5, 7
	s_add_i32 s4, s4, s21
	s_add_i32 s4, s4, s23
	s_delay_alu instid0(SALU_CYCLE_1) | instskip(NEXT) | instid1(SALU_CYCLE_1)
	s_lshl_b32 s4, s4, 6
	s_add_i32 s5, s5, s4
	s_delay_alu instid0(SALU_CYCLE_1) | instskip(SKIP_1) | instid1(VALU_DEP_2)
	v_or_b32_e32 v1, s5, v0
	v_lshl_or_b32 v0, s17, 6, v0
	v_ashrrev_i32_e32 v2, 31, v1
	s_delay_alu instid0(VALU_DEP_1) | instskip(NEXT) | instid1(VALU_DEP_1)
	v_lshlrev_b64 v[1:2], 2, v[1:2]
	v_add_co_u32 v1, vcc_lo, s0, v1
	s_delay_alu instid0(VALU_DEP_2) | instskip(SKIP_1) | instid1(SALU_CYCLE_1)
	v_add_co_ci_u32_e32 v2, vcc_lo, s1, v2, vcc_lo
	s_lshl_b32 s0, s13, 4
	s_add_i32 s0, s17, s0
	global_load_b32 v3, v[1:2], off
	s_ashr_i32 s1, s0, 31
	s_delay_alu instid0(SALU_CYCLE_1) | instskip(NEXT) | instid1(SALU_CYCLE_1)
	s_lshl_b64 s[0:1], s[0:1], 3
	s_add_u32 s0, s2, s0
	s_addc_u32 s1, s3, s1
	s_add_i32 s14, s13, -1
	s_load_b64 s[0:1], s[0:1], 0x0
	v_fmac_f32_e32 v5, 0x4f800000, v4
	s_sub_i32 s6, 0, s20
	s_waitcnt lgkmcnt(0)
	v_mov_b32_e32 v8, s0
	s_delay_alu instid0(VALU_DEP_2) | instskip(SKIP_2) | instid1(VALU_DEP_2)
	v_rcp_f32_e32 v4, v5
	v_cvt_f32_u32_e32 v5, s20
	v_mov_b32_e32 v7, s1
	v_rcp_iflag_f32_e32 v5, v5
	s_waitcnt_depctr 0xfff
	v_mul_f32_e32 v4, 0x5f7ffffc, v4
	s_delay_alu instid0(VALU_DEP_1) | instskip(SKIP_1) | instid1(VALU_DEP_2)
	v_mul_f32_e32 v6, 0x2f800000, v4
	v_mul_f32_e32 v9, 0x4f7ffffe, v5
	v_trunc_f32_e32 v6, v6
	s_delay_alu instid0(VALU_DEP_1) | instskip(SKIP_1) | instid1(VALU_DEP_4)
	v_fmac_f32_e32 v4, 0xcf800000, v6
	v_cvt_u32_f32_e32 v5, v6
	v_cvt_u32_f32_e32 v6, v9
	s_delay_alu instid0(VALU_DEP_3)
	v_cvt_u32_f32_e32 v4, v4
.LBB12_9:                               ; =>This Inner Loop Header: Depth=1
	s_mul_hi_i32 s13, s14, s7
	s_mul_i32 s4, s14, s7
	s_cmp_lg_u64 s[12:13], 0
	s_mov_b32 s5, -1
                                        ; implicit-def: $sgpr0_sgpr1
	s_cbranch_scc0 .LBB12_11
; %bb.10:                               ;   in Loop: Header=BB12_9 Depth=1
	v_readfirstlane_b32 s0, v4
	v_readfirstlane_b32 s1, v5
	s_sub_u32 s5, 0, s20
	s_subb_u32 s15, 0, 0
	s_delay_alu instid0(VALU_DEP_2) | instskip(NEXT) | instid1(VALU_DEP_1)
	s_mul_hi_u32 s21, s5, s0
	s_mul_i32 s22, s5, s1
	s_mul_i32 s23, s15, s0
	s_add_i32 s21, s21, s22
	s_mul_i32 s22, s5, s0
	s_add_i32 s21, s21, s23
	s_mul_hi_u32 s23, s0, s22
	s_mul_i32 s24, s0, s21
	s_mul_hi_u32 s0, s0, s21
	s_add_u32 s23, s23, s24
	s_mul_i32 s25, s1, s22
	s_addc_u32 s0, 0, s0
	s_mul_hi_u32 s22, s1, s22
	s_mul_hi_u32 s24, s1, s21
	s_add_u32 s23, s23, s25
	s_addc_u32 s0, s0, s22
	s_mul_i32 s21, s1, s21
	s_addc_u32 s22, s24, 0
	s_add_u32 s0, s0, s21
	s_addc_u32 s21, 0, s22
	v_add_co_u32 v9, s0, v4, s0
	s_delay_alu instid0(VALU_DEP_1) | instskip(SKIP_1) | instid1(VALU_DEP_1)
	s_cmp_lg_u32 s0, 0
	s_addc_u32 s1, s1, s21
	v_readfirstlane_b32 s0, v9
	s_mul_i32 s21, s5, s1
	s_delay_alu instid0(VALU_DEP_1)
	s_mul_hi_u32 s22, s5, s0
	s_mul_i32 s15, s15, s0
	s_add_i32 s21, s22, s21
	s_mul_i32 s5, s5, s0
	s_add_i32 s21, s21, s15
	s_mul_hi_u32 s15, s1, s5
	s_mul_i32 s23, s1, s5
	s_mul_i32 s24, s0, s21
	s_mul_hi_u32 s5, s0, s5
	s_mul_hi_u32 s0, s0, s21
	s_add_u32 s5, s5, s24
	s_addc_u32 s0, 0, s0
	s_mul_hi_u32 s22, s1, s21
	s_add_u32 s5, s5, s23
	s_addc_u32 s0, s0, s15
	s_mul_i32 s5, s1, s21
	s_addc_u32 s15, s22, 0
	s_add_u32 s0, s0, s5
	s_addc_u32 s5, 0, s15
	v_add_co_u32 v9, s0, v9, s0
	s_delay_alu instid0(VALU_DEP_1) | instskip(SKIP_2) | instid1(SALU_CYCLE_1)
	s_cmp_lg_u32 s0, 0
	s_addc_u32 s5, s1, s5
	s_ashr_i32 s0, s13, 31
	s_add_u32 s22, s4, s0
	s_addc_u32 s23, s13, s0
	v_readfirstlane_b32 s13, v9
	s_mov_b32 s1, s0
	s_delay_alu instid0(SALU_CYCLE_1) | instskip(NEXT) | instid1(SALU_CYCLE_1)
	s_xor_b64 s[22:23], s[22:23], s[0:1]
	s_mul_i32 s15, s22, s5
	s_delay_alu instid0(VALU_DEP_1)
	s_mul_hi_u32 s21, s22, s13
	s_mul_hi_u32 s24, s22, s5
	s_add_u32 s15, s21, s15
	s_mul_i32 s25, s23, s13
	s_addc_u32 s21, 0, s24
	s_mul_hi_u32 s13, s23, s13
	s_mul_hi_u32 s24, s23, s5
	s_add_u32 s15, s15, s25
	s_addc_u32 s13, s21, s13
	s_mul_i32 s5, s23, s5
	s_addc_u32 s15, s24, 0
	s_add_u32 s5, s13, s5
	s_addc_u32 s13, 0, s15
	s_mul_i32 s21, s20, s5
	s_add_u32 s15, s5, 1
	v_sub_co_u32 v9, s21, s22, s21
	s_addc_u32 s22, s13, 0
	s_mul_i32 s25, s20, s13
	s_mul_hi_u32 s27, s20, s5
	s_delay_alu instid0(VALU_DEP_1)
	v_sub_co_u32 v10, s26, v9, s20
	s_add_u32 s24, s5, 2
	s_addc_u32 s28, s13, 0
	s_add_i32 s27, s27, s25
	s_cmp_lg_u32 s21, 0
	v_readfirstlane_b32 s21, v10
	s_subb_u32 s23, s23, s27
	s_cmp_lg_u32 s26, 0
	s_subb_u32 s25, s23, 0
	s_delay_alu instid0(VALU_DEP_1) | instskip(SKIP_4) | instid1(SALU_CYCLE_1)
	s_cmp_ge_u32 s21, s20
	s_cselect_b32 s21, -1, 0
	s_cmp_eq_u32 s25, 0
	v_readfirstlane_b32 s25, v9
	s_cselect_b32 s21, s21, -1
	s_cmp_lg_u32 s21, 0
	s_cselect_b32 s15, s24, s15
	s_cselect_b32 s21, s28, s22
	s_cmp_ge_u32 s25, s20
	s_cselect_b32 s22, -1, 0
	s_cmp_eq_u32 s23, 0
	s_cselect_b32 s22, s22, -1
	s_delay_alu instid0(SALU_CYCLE_1) | instskip(SKIP_4) | instid1(SALU_CYCLE_1)
	s_cmp_lg_u32 s22, 0
	s_cselect_b32 s23, s21, s13
	s_cselect_b32 s22, s15, s5
	s_mov_b32 s5, 0
	s_xor_b64 s[22:23], s[22:23], s[0:1]
	s_sub_u32 s0, s22, s0
.LBB12_11:                              ;   in Loop: Header=BB12_9 Depth=1
	s_and_not1_b32 vcc_lo, exec_lo, s5
	s_cbranch_vccnz .LBB12_13
; %bb.12:                               ;   in Loop: Header=BB12_9 Depth=1
	v_readfirstlane_b32 s0, v6
	s_delay_alu instid0(VALU_DEP_1) | instskip(NEXT) | instid1(SALU_CYCLE_1)
	s_mul_i32 s1, s6, s0
	s_mul_hi_u32 s1, s0, s1
	s_delay_alu instid0(SALU_CYCLE_1) | instskip(NEXT) | instid1(SALU_CYCLE_1)
	s_add_i32 s0, s0, s1
	s_mul_hi_u32 s0, s4, s0
	s_delay_alu instid0(SALU_CYCLE_1) | instskip(NEXT) | instid1(SALU_CYCLE_1)
	s_mul_i32 s1, s0, s20
	s_sub_i32 s1, s4, s1
	s_add_i32 s4, s0, 1
	s_sub_i32 s5, s1, s20
	s_cmp_ge_u32 s1, s20
	s_cselect_b32 s0, s4, s0
	s_cselect_b32 s1, s5, s1
	s_add_i32 s4, s0, 1
	s_cmp_ge_u32 s1, s20
	s_cselect_b32 s0, s4, s0
.LBB12_13:                              ;   in Loop: Header=BB12_9 Depth=1
	s_delay_alu instid0(SALU_CYCLE_1)
	s_cmp_lg_u32 s16, s0
	s_cbranch_scc0 .LBB12_17
; %bb.14:                               ;   in Loop: Header=BB12_9 Depth=1
	s_add_i32 s1, s14, s20
	s_mov_b32 s5, s12
	s_lshl_b32 s1, s1, 4
	s_mov_b32 s15, s16
	s_add_i32 s4, s1, s17
	s_mul_hi_u32 s1, s0, s8
	s_lshl_b64 s[4:5], s[4:5], 3
	s_delay_alu instid0(SALU_CYCLE_1) | instskip(SKIP_2) | instid1(SALU_CYCLE_1)
	s_add_u32 s4, s2, s4
	s_addc_u32 s5, s3, s5
	s_add_i32 s1, s1, s0
	s_lshr_b32 s1, s1, s9
	s_delay_alu instid0(SALU_CYCLE_1) | instskip(NEXT) | instid1(SALU_CYCLE_1)
	s_mul_i32 s13, s1, s10
	s_cmp_eq_u32 s13, s0
	s_cselect_b32 s13, -1, 0
	s_cmp_lt_u32 s1, s11
	s_cselect_b32 s1, -1, 0
	s_delay_alu instid0(SALU_CYCLE_1)
	s_or_b32 s1, s1, s13
	s_mov_b32 s13, -1
	s_and_b32 vcc_lo, exec_lo, s1
	s_mov_b32 s1, s14
	s_cbranch_vccnz .LBB12_16
; %bb.15:                               ;   in Loop: Header=BB12_9 Depth=1
	s_add_i32 s1, s14, -1
	s_mov_b32 s13, 0
	s_mov_b32 s15, s0
.LBB12_16:                              ;   in Loop: Header=BB12_9 Depth=1
	v_lshl_add_u32 v9, s14, 10, v0
	s_load_b64 s[4:5], s[4:5], 0x0
	s_delay_alu instid0(VALU_DEP_1) | instskip(NEXT) | instid1(VALU_DEP_1)
	v_ashrrev_i32_e32 v10, 31, v9
	v_lshlrev_b64 v[9:10], 2, v[9:10]
	s_delay_alu instid0(VALU_DEP_1) | instskip(NEXT) | instid1(VALU_DEP_2)
	v_add_co_u32 v9, vcc_lo, s18, v9
	v_add_co_ci_u32_e32 v10, vcc_lo, s19, v10, vcc_lo
	s_waitcnt lgkmcnt(0)
	v_max_f32_e64 v11, s4, s4
	global_load_b32 v10, v[9:10], off
	v_max_f32_e32 v9, v8, v8
	s_delay_alu instid0(VALU_DEP_1) | instskip(NEXT) | instid1(VALU_DEP_1)
	v_max_f32_e32 v9, v9, v11
	v_sub_f32_e32 v12, v8, v9
	s_delay_alu instid0(VALU_DEP_1) | instskip(NEXT) | instid1(VALU_DEP_1)
	v_dual_mul_f32 v14, 0x3fb8aa3b, v12 :: v_dual_sub_f32 v11, s4, v9
	v_rndne_f32_e32 v18, v14
	s_delay_alu instid0(VALU_DEP_2) | instskip(SKIP_2) | instid1(VALU_DEP_4)
	v_mul_f32_e32 v13, 0x3fb8aa3b, v11
	v_fma_f32 v17, 0x3fb8aa3b, v12, -v14
	v_cmp_ngt_f32_e32 vcc_lo, 0xc2ce8ed0, v11
	v_sub_f32_e32 v14, v14, v18
	s_delay_alu instid0(VALU_DEP_4) | instskip(SKIP_2) | instid1(VALU_DEP_3)
	v_fma_f32 v15, 0x3fb8aa3b, v11, -v13
	v_rndne_f32_e32 v16, v13
	v_fmac_f32_e32 v17, 0x32a5705f, v12
	v_fmac_f32_e32 v15, 0x32a5705f, v11
	s_delay_alu instid0(VALU_DEP_2) | instskip(NEXT) | instid1(VALU_DEP_1)
	v_dual_sub_f32 v13, v13, v16 :: v_dual_add_f32 v14, v14, v17
	v_add_f32_e32 v13, v13, v15
	s_delay_alu instid0(VALU_DEP_2) | instskip(SKIP_2) | instid1(VALU_DEP_3)
	v_exp_f32_e32 v14, v14
	v_cvt_i32_f32_e32 v15, v16
	v_cvt_i32_f32_e32 v16, v18
	v_exp_f32_e32 v13, v13
	s_waitcnt_depctr 0xfff
	v_ldexp_f32 v14, v14, v16
	v_ldexp_f32 v13, v13, v15
	s_delay_alu instid0(VALU_DEP_1) | instskip(SKIP_1) | instid1(VALU_DEP_4)
	v_cndmask_b32_e32 v13, 0, v13, vcc_lo
	v_cmp_ngt_f32_e32 vcc_lo, 0xc2ce8ed0, v12
	v_cndmask_b32_e32 v14, 0, v14, vcc_lo
	v_cmp_nlt_f32_e32 vcc_lo, 0x42b17218, v11
	s_delay_alu instid0(VALU_DEP_4) | instskip(SKIP_1) | instid1(VALU_DEP_4)
	v_cndmask_b32_e32 v13, 0x7f800000, v13, vcc_lo
	v_cmp_nlt_f32_e32 vcc_lo, 0x42b17218, v12
	v_cndmask_b32_e32 v14, 0x7f800000, v14, vcc_lo
	v_cmp_le_f32_e32 vcc_lo, 0xc1a00000, v11
	s_delay_alu instid0(VALU_DEP_4) | instskip(SKIP_1) | instid1(VALU_DEP_4)
	v_cndmask_b32_e32 v11, 0, v13, vcc_lo
	v_cmp_le_f32_e32 vcc_lo, 0xc1a00000, v12
	v_cndmask_b32_e32 v12, 0, v14, vcc_lo
	s_waitcnt vmcnt(0)
	s_delay_alu instid0(VALU_DEP_3) | instskip(NEXT) | instid1(VALU_DEP_1)
	v_mul_f32_e32 v10, v10, v11
	v_dual_mul_f32 v11, s5, v11 :: v_dual_fmac_f32 v10, v3, v12
	s_delay_alu instid0(VALU_DEP_1)
	v_fmac_f32_e32 v11, v7, v12
	s_cbranch_execz .LBB12_18
	s_branch .LBB12_19
.LBB12_17:                              ;   in Loop: Header=BB12_9 Depth=1
                                        ; implicit-def: $sgpr13
                                        ; implicit-def: $vgpr10
                                        ; implicit-def: $vgpr9
                                        ; implicit-def: $vgpr11
                                        ; implicit-def: $sgpr1
                                        ; implicit-def: $sgpr15
.LBB12_18:                              ;   in Loop: Header=BB12_9 Depth=1
	v_mov_b32_e32 v11, v7
	s_waitcnt vmcnt(0)
	v_dual_mov_b32 v9, v8 :: v_dual_mov_b32 v10, v3
	s_add_i32 s1, s14, -1
	s_mov_b32 s13, 0
	s_mov_b32 s15, s16
.LBB12_19:                              ;   in Loop: Header=BB12_9 Depth=1
	s_and_not1_b32 vcc_lo, exec_lo, s13
	s_cbranch_vccz .LBB12_23
; %bb.20:                               ;   in Loop: Header=BB12_9 Depth=1
	v_dual_mov_b32 v7, v11 :: v_dual_mov_b32 v8, v9
	s_waitcnt vmcnt(0)
	v_mov_b32_e32 v3, v10
	s_mov_b32 s16, s15
	s_mov_b32 s14, s1
	s_branch .LBB12_9
.LBB12_21:
                                        ; implicit-def: $sgpr16_sgpr17
	s_load_b128 s[8:11], s[0:1], 0x44
	s_branch .LBB12_2
.LBB12_22:
                                        ; implicit-def: $sgpr18_sgpr19
	s_branch .LBB12_5
.LBB12_23:
	v_div_scale_f32 v0, null, v11, v11, v10
	s_waitcnt vmcnt(0)
	s_delay_alu instid0(VALU_DEP_1) | instskip(SKIP_2) | instid1(VALU_DEP_1)
	v_rcp_f32_e32 v3, v0
	s_waitcnt_depctr 0xfff
	v_fma_f32 v4, -v0, v3, 1.0
	v_fmac_f32_e32 v3, v4, v3
	v_div_scale_f32 v4, vcc_lo, v10, v11, v10
	s_delay_alu instid0(VALU_DEP_1) | instskip(NEXT) | instid1(VALU_DEP_1)
	v_mul_f32_e32 v5, v4, v3
	v_fma_f32 v6, -v0, v5, v4
	s_delay_alu instid0(VALU_DEP_1) | instskip(NEXT) | instid1(VALU_DEP_1)
	v_fmac_f32_e32 v5, v6, v3
	v_fma_f32 v0, -v0, v5, v4
	s_delay_alu instid0(VALU_DEP_1) | instskip(NEXT) | instid1(VALU_DEP_1)
	v_div_fmas_f32 v0, v0, v3, v5
	v_div_fixup_f32 v0, v0, v11, v10
	global_store_b32 v[1:2], v0, off
.LBB12_24:
	s_nop 0
	s_sendmsg sendmsg(MSG_DEALLOC_VGPRS)
	s_endpgm
	.section	.rodata,"a",@progbits
	.p2align	6, 0x0
	.amdhsa_kernel _ZL33flash_attn_stream_k_fixup_generalILi64ELi2ELi8EEvPfPK15HIP_vector_typeIfLj2EEiiiiS1_IjLj3EES5_S5_S5_
		.amdhsa_group_segment_fixed_size 0
		.amdhsa_private_segment_fixed_size 0
		.amdhsa_kernarg_size 336
		.amdhsa_user_sgpr_count 13
		.amdhsa_user_sgpr_dispatch_ptr 0
		.amdhsa_user_sgpr_queue_ptr 0
		.amdhsa_user_sgpr_kernarg_segment_ptr 1
		.amdhsa_user_sgpr_dispatch_id 0
		.amdhsa_user_sgpr_private_segment_size 0
		.amdhsa_wavefront_size32 1
		.amdhsa_uses_dynamic_stack 0
		.amdhsa_enable_private_segment 0
		.amdhsa_system_sgpr_workgroup_id_x 1
		.amdhsa_system_sgpr_workgroup_id_y 1
		.amdhsa_system_sgpr_workgroup_id_z 1
		.amdhsa_system_sgpr_workgroup_info 0
		.amdhsa_system_vgpr_workitem_id 0
		.amdhsa_next_free_vgpr 19
		.amdhsa_next_free_sgpr 32
		.amdhsa_reserve_vcc 1
		.amdhsa_float_round_mode_32 0
		.amdhsa_float_round_mode_16_64 0
		.amdhsa_float_denorm_mode_32 3
		.amdhsa_float_denorm_mode_16_64 3
		.amdhsa_dx10_clamp 1
		.amdhsa_ieee_mode 1
		.amdhsa_fp16_overflow 0
		.amdhsa_workgroup_processor_mode 1
		.amdhsa_memory_ordered 1
		.amdhsa_forward_progress 0
		.amdhsa_shared_vgpr_count 0
		.amdhsa_exception_fp_ieee_invalid_op 0
		.amdhsa_exception_fp_denorm_src 0
		.amdhsa_exception_fp_ieee_div_zero 0
		.amdhsa_exception_fp_ieee_overflow 0
		.amdhsa_exception_fp_ieee_underflow 0
		.amdhsa_exception_fp_ieee_inexact 0
		.amdhsa_exception_int_div_zero 0
	.end_amdhsa_kernel
	.section	.text._ZL33flash_attn_stream_k_fixup_generalILi64ELi2ELi8EEvPfPK15HIP_vector_typeIfLj2EEiiiiS1_IjLj3EES5_S5_S5_,"axG",@progbits,_ZL33flash_attn_stream_k_fixup_generalILi64ELi2ELi8EEvPfPK15HIP_vector_typeIfLj2EEiiiiS1_IjLj3EES5_S5_S5_,comdat
.Lfunc_end12:
	.size	_ZL33flash_attn_stream_k_fixup_generalILi64ELi2ELi8EEvPfPK15HIP_vector_typeIfLj2EEiiiiS1_IjLj3EES5_S5_S5_, .Lfunc_end12-_ZL33flash_attn_stream_k_fixup_generalILi64ELi2ELi8EEvPfPK15HIP_vector_typeIfLj2EEiiiiS1_IjLj3EES5_S5_S5_
                                        ; -- End function
	.section	.AMDGPU.csdata,"",@progbits
; Kernel info:
; codeLenInByte = 3224
; NumSgprs: 34
; NumVgprs: 19
; ScratchSize: 0
; MemoryBound: 0
; FloatMode: 240
; IeeeMode: 1
; LDSByteSize: 0 bytes/workgroup (compile time only)
; SGPRBlocks: 4
; VGPRBlocks: 2
; NumSGPRsForWavesPerEU: 34
; NumVGPRsForWavesPerEU: 19
; Occupancy: 16
; WaveLimiterHint : 0
; COMPUTE_PGM_RSRC2:SCRATCH_EN: 0
; COMPUTE_PGM_RSRC2:USER_SGPR: 13
; COMPUTE_PGM_RSRC2:TRAP_HANDLER: 0
; COMPUTE_PGM_RSRC2:TGID_X_EN: 1
; COMPUTE_PGM_RSRC2:TGID_Y_EN: 1
; COMPUTE_PGM_RSRC2:TGID_Z_EN: 1
; COMPUTE_PGM_RSRC2:TIDIG_COMP_CNT: 0
	.section	.text._ZL15flash_attn_tileILi64ELi64ELi1ELi8ELb0EEvPKcS1_S1_S1_S1_PKiPfP15HIP_vector_typeIfLj2EEffffjfiS5_IjLj3EEiiiiiiiiiiiliiliiiiil,"axG",@progbits,_ZL15flash_attn_tileILi64ELi64ELi1ELi8ELb0EEvPKcS1_S1_S1_S1_PKiPfP15HIP_vector_typeIfLj2EEffffjfiS5_IjLj3EEiiiiiiiiiiiliiliiiiil,comdat
	.globl	_ZL15flash_attn_tileILi64ELi64ELi1ELi8ELb0EEvPKcS1_S1_S1_S1_PKiPfP15HIP_vector_typeIfLj2EEffffjfiS5_IjLj3EEiiiiiiiiiiiliiliiiiil ; -- Begin function _ZL15flash_attn_tileILi64ELi64ELi1ELi8ELb0EEvPKcS1_S1_S1_S1_PKiPfP15HIP_vector_typeIfLj2EEffffjfiS5_IjLj3EEiiiiiiiiiiiliiliiiiil
	.p2align	8
	.type	_ZL15flash_attn_tileILi64ELi64ELi1ELi8ELb0EEvPKcS1_S1_S1_S1_PKiPfP15HIP_vector_typeIfLj2EEffffjfiS5_IjLj3EEiiiiiiiiiiiliiliiiiil,@function
_ZL15flash_attn_tileILi64ELi64ELi1ELi8ELb0EEvPKcS1_S1_S1_S1_PKiPfP15HIP_vector_typeIfLj2EEffffjfiS5_IjLj3EEiiiiiiiiiiiliiliiiiil: ; @_ZL15flash_attn_tileILi64ELi64ELi1ELi8ELb0EEvPKcS1_S1_S1_S1_PKiPfP15HIP_vector_typeIfLj2EEffffjfiS5_IjLj3EEiiiiiiiiiiiliiliiiiil
; %bb.0:
	s_clause 0x1
	s_load_b128 s[36:39], s[0:1], 0x5c
	s_load_b64 s[34:35], s[0:1], 0x80
	s_mov_b64 s[40:41], 0
	s_waitcnt lgkmcnt(0)
	s_ashr_i32 s2, s39, 31
	s_delay_alu instid0(SALU_CYCLE_1) | instskip(NEXT) | instid1(SALU_CYCLE_1)
	s_lshr_b32 s2, s2, 29
	s_add_i32 s2, s39, s2
	s_delay_alu instid0(SALU_CYCLE_1) | instskip(NEXT) | instid1(SALU_CYCLE_1)
	s_ashr_i32 s2, s2, 3
	v_cvt_f32_u32_e32 v1, s2
	s_sub_i32 s4, 0, s2
	s_delay_alu instid0(VALU_DEP_1) | instskip(SKIP_2) | instid1(VALU_DEP_1)
	v_rcp_iflag_f32_e32 v1, v1
	s_waitcnt_depctr 0xfff
	v_mul_f32_e32 v1, 0x4f7ffffe, v1
	v_cvt_u32_f32_e32 v1, v1
	s_delay_alu instid0(VALU_DEP_1) | instskip(NEXT) | instid1(VALU_DEP_1)
	v_readfirstlane_b32 s3, v1
	s_mul_i32 s4, s4, s3
	s_delay_alu instid0(SALU_CYCLE_1) | instskip(NEXT) | instid1(SALU_CYCLE_1)
	s_mul_hi_u32 s4, s3, s4
	s_add_i32 s3, s3, s4
	s_delay_alu instid0(SALU_CYCLE_1) | instskip(NEXT) | instid1(SALU_CYCLE_1)
	s_mul_hi_u32 s3, s15, s3
	s_mul_i32 s4, s3, s2
	s_add_i32 s5, s3, 1
	s_sub_i32 s4, s15, s4
	s_delay_alu instid0(SALU_CYCLE_1)
	s_sub_i32 s6, s4, s2
	s_cmp_ge_u32 s4, s2
	s_cselect_b32 s3, s5, s3
	s_cselect_b32 s4, s6, s4
	s_add_i32 s5, s3, 1
	s_cmp_ge_u32 s4, s2
	s_cselect_b32 s33, s5, s3
	s_abs_i32 s2, s35
	s_abs_i32 s7, s39
	v_cvt_f32_u32_e32 v1, s2
	s_sub_i32 s4, 0, s2
	s_lshl_b32 s5, s15, 3
	s_mul_i32 s6, s33, s39
	s_delay_alu instid0(VALU_DEP_1) | instskip(SKIP_3) | instid1(VALU_DEP_1)
	v_rcp_iflag_f32_e32 v1, v1
	s_sub_i32 s42, s5, s6
	s_waitcnt_depctr 0xfff
	v_mul_f32_e32 v1, 0x4f7ffffe, v1
	v_cvt_u32_f32_e32 v1, v1
	s_delay_alu instid0(VALU_DEP_1) | instskip(NEXT) | instid1(VALU_DEP_1)
	v_readfirstlane_b32 s3, v1
	s_mul_i32 s4, s4, s3
	s_delay_alu instid0(SALU_CYCLE_1) | instskip(NEXT) | instid1(SALU_CYCLE_1)
	s_mul_hi_u32 s4, s3, s4
	s_add_i32 s3, s3, s4
	s_xor_b32 s4, s39, s35
	s_mul_hi_u32 s3, s7, s3
	s_ashr_i32 s4, s4, 31
	s_mul_i32 s5, s3, s2
	s_add_i32 s6, s3, 1
	s_sub_i32 s5, s7, s5
	s_delay_alu instid0(SALU_CYCLE_1)
	s_sub_i32 s7, s5, s2
	s_cmp_ge_u32 s5, s2
	s_cselect_b32 s3, s6, s3
	s_cselect_b32 s5, s7, s5
	s_add_i32 s6, s3, 1
	s_cmp_ge_u32 s5, s2
	s_cselect_b32 s2, s6, s3
	s_delay_alu instid0(SALU_CYCLE_1) | instskip(NEXT) | instid1(SALU_CYCLE_1)
	s_xor_b32 s2, s2, s4
	s_sub_i32 s9, s2, s4
	s_clause 0x1
	s_load_b512 s[16:31], s[0:1], 0x0
	s_load_b64 s[2:3], s[0:1], 0xb8
	s_abs_i32 s8, s9
	s_delay_alu instid0(SALU_CYCLE_1) | instskip(NEXT) | instid1(VALU_DEP_1)
	v_cvt_f32_u32_e32 v1, s8
	v_rcp_iflag_f32_e32 v1, v1
	s_waitcnt_depctr 0xfff
	v_mul_f32_e32 v1, 0x4f7ffffe, v1
	s_waitcnt lgkmcnt(0)
	s_cmp_eq_u64 s[22:23], 0
	s_delay_alu instid0(VALU_DEP_1) | instskip(NEXT) | instid1(VALU_DEP_1)
	v_cvt_u32_f32_e32 v1, v1
	v_readfirstlane_b32 s10, v1
	s_cbranch_scc1 .LBB13_2
; %bb.1:
	s_abs_i32 s2, s2
	s_abs_i32 s6, s33
	v_cvt_f32_u32_e32 v1, s2
	s_sub_i32 s5, 0, s2
	s_delay_alu instid0(VALU_DEP_1) | instskip(SKIP_2) | instid1(VALU_DEP_1)
	v_rcp_iflag_f32_e32 v1, v1
	s_waitcnt_depctr 0xfff
	v_mul_f32_e32 v1, 0x4f7ffffe, v1
	v_cvt_u32_f32_e32 v1, v1
	s_delay_alu instid0(VALU_DEP_1) | instskip(NEXT) | instid1(VALU_DEP_1)
	v_readfirstlane_b32 s4, v1
	s_mul_i32 s5, s5, s4
	s_delay_alu instid0(SALU_CYCLE_1) | instskip(NEXT) | instid1(SALU_CYCLE_1)
	s_mul_hi_u32 s5, s4, s5
	s_add_i32 s7, s4, s5
	s_load_b64 s[4:5], s[0:1], 0xc8
	s_mul_hi_u32 s7, s6, s7
	s_delay_alu instid0(SALU_CYCLE_1) | instskip(NEXT) | instid1(SALU_CYCLE_1)
	s_mul_i32 s7, s7, s2
	s_sub_i32 s6, s6, s7
	s_ashr_i32 s7, s33, 31
	s_sub_i32 s11, s6, s2
	s_cmp_ge_u32 s6, s2
	s_cselect_b32 s6, s11, s6
	s_delay_alu instid0(SALU_CYCLE_1) | instskip(SKIP_2) | instid1(SALU_CYCLE_1)
	s_sub_i32 s11, s6, s2
	s_cmp_ge_u32 s6, s2
	s_cselect_b32 s2, s11, s6
	s_xor_b32 s2, s2, s7
	s_delay_alu instid0(SALU_CYCLE_1)
	s_sub_i32 s2, s2, s7
	s_waitcnt lgkmcnt(0)
	s_mul_i32 s5, s2, s5
	s_mul_hi_u32 s6, s2, s4
	s_ashr_i32 s7, s2, 31
	s_add_i32 s5, s6, s5
	s_mul_i32 s7, s7, s4
	s_mul_i32 s2, s2, s4
	s_add_i32 s5, s5, s7
	s_add_u32 s40, s22, s2
	s_addc_u32 s41, s23, s5
.LBB13_2:
	v_bfe_u32 v1, v0, 10, 10
	s_load_b128 s[4:7], s[0:1], 0x70
	s_delay_alu instid0(VALU_DEP_1) | instskip(SKIP_1) | instid1(VALU_DEP_2)
	v_lshrrev_b32_e32 v2, 2, v1
	v_lshlrev_b32_e32 v5, 1, v1
	v_add_nc_u32_e32 v32, s13, v2
	s_delay_alu instid0(VALU_DEP_2) | instskip(NEXT) | instid1(VALU_DEP_2)
	v_or_b32_e32 v12, 1, v5
	v_mul_hi_u32 v2, s36, v32
	s_delay_alu instid0(VALU_DEP_2) | instskip(SKIP_3) | instid1(VALU_DEP_2)
	v_and_b32_e32 v13, 7, v12
	s_waitcnt lgkmcnt(0)
	s_mul_i32 s2, s33, s6
	s_mul_i32 s6, s42, s5
	v_add_nc_u32_e32 v2, v32, v2
	s_ashr_i32 s7, s2, 31
	s_add_u32 s2, s16, s2
	s_addc_u32 s7, s17, s7
	s_ashr_i32 s11, s6, 31
	v_lshrrev_b32_e32 v2, s37, v2
	s_add_u32 s2, s2, s6
	s_addc_u32 s6, s7, s11
	s_ashr_i32 s7, s4, 31
	s_delay_alu instid0(SALU_CYCLE_1) | instskip(SKIP_2) | instid1(SALU_CYCLE_1)
	v_alignbit_b32 v6, s7, s4, 2
	v_mul_lo_u32 v2, v2, s38
	s_ashr_i32 s4, s5, 31
	v_alignbit_b32 v9, s4, s5, 2
	s_lshr_b32 s5, s7, 2
	s_lshr_b32 s4, s4, 2
	s_cmp_eq_u64 s[26:27], 0
	s_delay_alu instid0(VALU_DEP_2) | instskip(SKIP_2) | instid1(VALU_DEP_3)
	v_sub_nc_u32_e32 v2, v32, v2
	v_mad_u64_u32 v[7:8], null, v9, v13, 0
	v_and_b32_e32 v69, 6, v5
	v_mad_u64_u32 v[3:4], null, v6, v2, 0
	s_delay_alu instid0(VALU_DEP_2) | instskip(NEXT) | instid1(VALU_DEP_1)
	v_mad_u64_u32 v[5:6], null, v9, v69, 0
	v_mad_u64_u32 v[9:10], null, s5, v2, v[4:5]
	s_delay_alu instid0(VALU_DEP_2) | instskip(SKIP_1) | instid1(VALU_DEP_2)
	v_mov_b32_e32 v4, v6
	v_mov_b32_e32 v6, v8
	v_mad_u64_u32 v[10:11], null, s4, v69, v[4:5]
	s_delay_alu instid0(VALU_DEP_4) | instskip(NEXT) | instid1(VALU_DEP_3)
	v_dual_mov_b32 v4, v9 :: v_dual_and_b32 v33, 0x3ff, v0
	v_mad_u64_u32 v[8:9], null, s4, v13, v[6:7]
	s_delay_alu instid0(VALU_DEP_2) | instskip(NEXT) | instid1(VALU_DEP_4)
	v_lshlrev_b64 v[3:4], 2, v[3:4]
	v_mov_b32_e32 v6, v10
	s_delay_alu instid0(VALU_DEP_4) | instskip(NEXT) | instid1(VALU_DEP_3)
	v_lshlrev_b32_e32 v0, 3, v33
	v_add_co_u32 v9, vcc_lo, s2, v3
	s_delay_alu instid0(VALU_DEP_4) | instskip(NEXT) | instid1(VALU_DEP_4)
	v_add_co_ci_u32_e32 v10, vcc_lo, s6, v4, vcc_lo
	v_lshlrev_b64 v[3:4], 2, v[5:6]
	s_delay_alu instid0(VALU_DEP_3) | instskip(NEXT) | instid1(VALU_DEP_3)
	v_add_co_u32 v0, vcc_lo, v9, v0
	v_add_co_ci_u32_e32 v9, vcc_lo, 0, v10, vcc_lo
	v_lshlrev_b64 v[5:6], 2, v[7:8]
	s_delay_alu instid0(VALU_DEP_3) | instskip(NEXT) | instid1(VALU_DEP_3)
	v_add_co_u32 v3, vcc_lo, v0, v3
	v_add_co_ci_u32_e32 v4, vcc_lo, v9, v4, vcc_lo
	s_load_b32 s2, s[0:1], 0x40
	s_delay_alu instid0(VALU_DEP_3) | instskip(NEXT) | instid1(VALU_DEP_4)
	v_add_co_u32 v5, vcc_lo, v0, v5
	v_add_co_ci_u32_e32 v6, vcc_lo, v9, v6, vcc_lo
	s_clause 0x1
	global_load_b64 v[3:4], v[3:4], off
	global_load_b64 v[5:6], v[5:6], off
	v_lshlrev_b32_e32 v0, 6, v1
	v_lshlrev_b32_e32 v7, 5, v12
	s_delay_alu instid0(VALU_DEP_2) | instskip(NEXT) | instid1(VALU_DEP_2)
	v_add_lshl_u32 v0, v0, v33, 2
	v_add_lshl_u32 v7, v7, v33, 2
	s_waitcnt vmcnt(1) lgkmcnt(0)
	v_fma_mixlo_f16 v3, v3, s2, 0
	s_waitcnt vmcnt(0)
	v_fma_mixlo_f16 v5, v5, s2, 0
	s_delay_alu instid0(VALU_DEP_2) | instskip(NEXT) | instid1(VALU_DEP_2)
	v_fma_mixhi_f16 v3, v4, s2, 0
	v_fma_mixhi_f16 v5, v6, s2, 0
	ds_store_b32 v0, v3 offset:20480
	ds_store_b32 v7, v5 offset:20480
	s_waitcnt lgkmcnt(0)
	s_barrier
	buffer_gl0_inv
	s_cbranch_scc1 .LBB13_4
; %bb.3:
	s_load_b32 s2, s[0:1], 0xd0
	s_mov_b32 s5, 0
	s_waitcnt lgkmcnt(0)
	s_mul_i32 s2, s2, s33
	s_delay_alu instid0(SALU_CYCLE_1) | instskip(NEXT) | instid1(SALU_CYCLE_1)
	s_add_i32 s4, s2, s13
	s_lshl_b64 s[4:5], s[4:5], 2
	s_delay_alu instid0(SALU_CYCLE_1)
	s_add_u32 s4, s26, s4
	s_addc_u32 s5, s27, s5
	s_load_b32 s34, s[4:5], 0x0
.LBB13_4:
	v_mbcnt_lo_u32_b32 v70, -1, 0
	s_lshl_b32 s26, s14, 7
	s_waitcnt lgkmcnt(0)
	s_cmp_lt_i32 s26, s34
	s_cbranch_scc1 .LBB13_6
; %bb.5:
	v_mbcnt_lo_u32_b32 v0, -1, 0
	v_mov_b32_e32 v72, 32
	s_mov_b32 s2, 0
	s_mov_b32 s4, 0xfeffffff
	s_delay_alu instid0(VALU_DEP_2)
	v_xor_b32_e32 v80, 16, v0
	v_xor_b32_e32 v77, 8, v0
	;; [unrolled: 1-line block ×5, first 2 shown]
	s_branch .LBB13_7
.LBB13_6:
	s_mov_b32 s2, -1
                                        ; implicit-def: $sgpr4
                                        ; implicit-def: $vgpr0
                                        ; implicit-def: $vgpr72
                                        ; implicit-def: $vgpr80
                                        ; implicit-def: $vgpr77
                                        ; implicit-def: $vgpr76
                                        ; implicit-def: $vgpr75
                                        ; implicit-def: $vgpr73
.LBB13_7:
	s_delay_alu instid0(SALU_CYCLE_1) | instskip(SKIP_2) | instid1(VALU_DEP_3)
	v_cndmask_b32_e64 v3, 0, 1, s2
	v_dual_mov_b32 v52, s4 :: v_dual_mov_b32 v117, s2
	v_dual_mov_b32 v115, s2 :: v_dual_mov_b32 v116, s2
	v_cmp_ne_u32_e32 vcc_lo, 1, v3
	v_dual_mov_b32 v51, s4 :: v_dual_mov_b32 v78, s2
	s_cbranch_vccnz .LBB13_11
; %bb.8:
	s_clause 0x1
	s_load_b128 s[4:7], s[0:1], 0x98
	s_load_b64 s[12:13], s[0:1], 0x8c
	s_sub_i32 s2, 0, s8
	s_abs_i32 s11, s42
	s_mul_i32 s2, s2, s10
	s_ashr_i32 s15, s42, 31
	s_mul_hi_u32 s2, s10, s2
	s_ashr_i32 s9, s9, 31
	s_add_i32 s10, s10, s2
	s_ashr_i32 s2, s3, 1
	s_mul_hi_u32 s3, s11, s10
	s_ashr_i32 s10, s33, 31
	s_load_b64 s[16:17], s[0:1], 0xa8
	s_mul_i32 s22, s3, s8
	v_lshrrev_b32_e32 v0, 3, v33
	v_dual_mov_b32 v78, 0 :: v_dual_lshlrev_b32 v71, 2, v33
	v_mov_b32_e32 v72, 32
	v_lshl_add_u32 v81, v1, 8, 0x5000
	s_delay_alu instid0(VALU_DEP_4)
	v_lshl_add_u32 v14, v1, 2, v0
	s_waitcnt lgkmcnt(0)
	s_ashr_i32 s27, s6, 2
	s_mul_i32 s5, s33, s5
	s_mul_hi_u32 s6, s33, s4
	s_ashr_i32 s35, s12, 2
	s_mul_i32 s12, s10, s4
	s_add_i32 s5, s6, s5
	s_mul_i32 s4, s33, s4
	s_add_i32 s5, s5, s12
	s_add_u32 s4, s18, s4
	s_addc_u32 s5, s19, s5
	s_xor_b32 s6, s15, s9
	s_sub_i32 s9, s11, s22
	s_add_i32 s11, s3, 1
	s_sub_i32 s12, s9, s8
	s_cmp_ge_u32 s9, s8
	s_mul_i32 s10, s10, s16
	s_cselect_b32 s3, s11, s3
	s_cselect_b32 s9, s12, s9
	s_add_i32 s11, s3, 1
	s_cmp_ge_u32 s9, s8
	s_mul_i32 s8, s33, s17
	s_cselect_b32 s3, s11, s3
	s_mul_hi_u32 s9, s33, s16
	s_xor_b32 s3, s3, s6
	v_mul_lo_u32 v3, s35, v14
	s_sub_i32 s3, s3, s6
	v_mul_lo_u32 v0, s27, v14
	s_mul_i32 s6, s3, s13
	s_mul_i32 s11, s33, s16
	s_ashr_i32 s12, s6, 31
	s_add_u32 s36, s4, s6
	s_addc_u32 s37, s5, s12
	s_add_i32 s4, s9, s8
	s_mul_i32 s3, s3, s7
	s_add_i32 s4, s4, s10
	s_add_u32 s5, s20, s11
	s_addc_u32 s4, s21, s4
	s_ashr_i32 s6, s3, 31
	s_add_u32 s43, s5, s3
	s_addc_u32 s44, s4, s6
	s_lshl_b32 s3, s35, 4
	s_lshl_b32 s4, s27, 4
	v_dual_mov_b32 v52, 0xfeffffff :: v_dual_add_nc_u32 v5, s3, v3
	v_dual_mov_b32 v116, 0 :: v_dual_add_nc_u32 v13, s4, v0
	v_and_b32_e32 v31, 28, v71
	s_delay_alu instid0(VALU_DEP_3) | instskip(SKIP_1) | instid1(VALU_DEP_4)
	v_add_nc_u32_e32 v7, s3, v5
	v_ashrrev_i32_e32 v4, 31, v3
	v_add_nc_u32_e32 v17, s4, v13
	v_ashrrev_i32_e32 v6, 31, v5
	v_dual_mov_b32 v51, 0xfeffffff :: v_dual_lshlrev_b32 v18, 2, v31
	v_add_nc_u32_e32 v9, s3, v7
	s_delay_alu instid0(VALU_DEP_4) | instskip(SKIP_1) | instid1(VALU_DEP_4)
	v_add_nc_u32_e32 v21, s4, v17
	v_ashrrev_i32_e32 v8, 31, v7
	v_mad_u32_u24 v74, 0x90, v14, v18
	v_lshl_or_b32 v89, v14, 7, v18
	v_add_nc_u32_e32 v11, s3, v9
	v_add_nc_u32_e32 v25, s4, v21
	v_ashrrev_i32_e32 v10, 31, v9
	v_lshl_add_u32 v90, v1, 9, 0x4800
	v_ashrrev_i32_e32 v1, 31, v0
	v_add_nc_u32_e32 v15, s3, v11
	v_add_nc_u32_e32 v27, s4, v25
	v_ashrrev_i32_e32 v12, 31, v11
	v_ashrrev_i32_e32 v14, 31, v13
	v_ashrrev_i32_e32 v18, 31, v17
	v_add_nc_u32_e32 v19, s3, v15
	v_add_nc_u32_e32 v29, s4, v27
	v_ashrrev_i32_e32 v16, 31, v15
	v_ashrrev_i32_e32 v22, 31, v21
	;; [unrolled: 5-line block ×3, first 2 shown]
	v_ashrrev_i32_e32 v30, 31, v29
	v_ashrrev_i32_e32 v24, 31, v23
	;; [unrolled: 1-line block ×3, first 2 shown]
	v_mad_u64_u32 v[34:35], null, v2, s2, v[33:34]
	v_lshlrev_b64 v[35:36], 2, v[3:4]
	v_lshlrev_b64 v[37:38], 2, v[5:6]
	;; [unrolled: 1-line block ×16, first 2 shown]
	v_mul_u32_u24_e32 v79, 0x90, v33
	v_dual_mov_b32 v115, 0 :: v_dual_add_nc_u32 v82, 0x900, v74
	v_add_nc_u32_e32 v83, 0x1200, v74
	v_dual_mov_b32 v117, 0 :: v_dual_add_nc_u32 v84, 0x1b00, v74
	v_add_nc_u32_e32 v85, 0x2400, v74
	v_add_nc_u32_e32 v86, 0x2d00, v74
	;; [unrolled: 1-line block ×11, first 2 shown]
	v_lshlrev_b32_e32 v98, 2, v31
	v_xor_b32_e32 v80, 16, v70
	v_xor_b32_e32 v77, 8, v70
	;; [unrolled: 1-line block ×5, first 2 shown]
	v_add_nc_u32_e32 v99, v90, v71
	v_add_nc_u32_e32 v100, 0x400, v71
	v_add_nc_u32_e32 v101, 0x800, v71
	v_add_nc_u32_e32 v102, 0xc00, v71
	v_add_nc_u32_e32 v103, 0x1000, v71
	v_add_nc_u32_e32 v104, 0x1400, v71
	v_add_nc_u32_e32 v105, 0x1800, v71
	v_add_nc_u32_e32 v106, 0x1c00, v71
	v_add_nc_u32_e32 v107, 0x2000, v71
	v_add_nc_u32_e32 v108, 0x2400, v71
	v_add_nc_u32_e32 v109, 0x2800, v71
	v_add_nc_u32_e32 v110, 0x2c00, v71
	v_add_nc_u32_e32 v111, 0x3000, v71
	v_add_nc_u32_e32 v112, 0x3400, v71
	v_add_nc_u32_e32 v113, 0x3800, v71
	v_add_nc_u32_e32 v114, 0x3c00, v71
	s_add_u32 s22, s0, 0xd0
	s_addc_u32 s23, s1, 0
.LBB13_9:                               ; =>This Inner Loop Header: Depth=1
	s_mul_hi_i32 s3, s26, s35
	s_mul_i32 s2, s26, s35
	v_dual_mov_b32 v118, 0 :: v_dual_mov_b32 v119, 0
	s_lshl_b64 s[2:3], s[2:3], 2
	v_dual_mov_b32 v120, 0 :: v_dual_mov_b32 v121, 0
	s_add_u32 s8, s36, s2
	s_addc_u32 s9, s37, s3
	v_add_co_u32 v0, vcc_lo, s8, v37
	v_add_co_u32 v1, s2, s8, v39
	v_add_co_u32 v2, s3, s8, v41
	;; [unrolled: 1-line block ×7, first 2 shown]
	s_delay_alu instid0(VALU_DEP_1)
	v_add_co_ci_u32_e64 v10, s8, s9, v36, s8
	v_add_co_ci_u32_e32 v11, vcc_lo, s9, v38, vcc_lo
	v_add_co_ci_u32_e64 v13, vcc_lo, s9, v40, s2
	v_add_co_ci_u32_e64 v14, vcc_lo, s9, v42, s3
	;; [unrolled: 1-line block ×6, first 2 shown]
	v_add_co_u32 v4, vcc_lo, v0, v98
	v_add_co_u32 v0, s8, v9, v98
	v_add_co_u32 v8, s2, v1, v98
	v_add_co_ci_u32_e64 v1, s8, 0, v10, s8
	v_add_co_u32 v12, s3, v2, v98
	v_add_co_u32 v20, s5, v5, v98
	v_add_co_ci_u32_e32 v5, vcc_lo, 0, v11, vcc_lo
	v_add_co_u32 v16, s4, v3, v98
	v_add_co_u32 v24, s6, v6, v98
	;; [unrolled: 1-line block ×3, first 2 shown]
	v_add_co_ci_u32_e64 v9, vcc_lo, 0, v13, s2
	v_add_co_ci_u32_e64 v13, vcc_lo, 0, v14, s3
	;; [unrolled: 1-line block ×6, first 2 shown]
	s_clause 0x7
	global_load_b128 v[0:3], v[0:1], off
	global_load_b128 v[4:7], v[4:5], off
	;; [unrolled: 1-line block ×8, first 2 shown]
	v_dual_mov_b32 v125, 0 :: v_dual_add_nc_u32 v126, s26, v34
	v_dual_mov_b32 v124, 0 :: v_dual_mov_b32 v123, 0
	v_mov_b32_e32 v122, 0
	s_delay_alu instid0(VALU_DEP_3)
	v_ashrrev_i32_e32 v127, 31, v126
	v_cmp_gt_i32_e64 s2, 32, v80
	v_cmp_gt_i32_e64 s3, 32, v77
	s_mul_hi_i32 s7, s26, s27
	s_mul_i32 s6, s26, s27
	v_lshlrev_b64 v[126:127], 1, v[126:127]
	v_cmp_gt_i32_e64 s4, 32, v76
	v_cmp_gt_i32_e64 s5, 32, v75
	s_waitcnt vmcnt(7)
	ds_store_b128 v74, v[0:3]
	s_waitcnt vmcnt(6)
	ds_store_b128 v82, v[4:7]
	;; [unrolled: 2-line block ×8, first 2 shown]
	s_waitcnt lgkmcnt(0)
	s_barrier
	buffer_gl0_inv
	ds_load_b128 v[0:3], v79
	ds_load_b128 v[4:7], v81
	ds_load_b128 v[8:11], v81 offset:128
	ds_load_b128 v[12:15], v79 offset:4608
	;; [unrolled: 1-line block ×4, first 2 shown]
	s_waitcnt lgkmcnt(4)
	;;#ASMSTART
	v_dot2_f32_f16 v118, v0, v4, v118
	;;#ASMEND
	;;#ASMSTART
	v_dot2_f32_f16 v118, v1, v5, v118
	;;#ASMEND
	;;#ASMSTART
	v_dot2_f32_f16 v118, v2, v6, v118
	;;#ASMEND
	;;#ASMSTART
	v_dot2_f32_f16 v118, v3, v7, v118
	;;#ASMEND
	s_waitcnt lgkmcnt(3)
	;;#ASMSTART
	v_dot2_f32_f16 v119, v0, v8, v119
	;;#ASMEND
	;;#ASMSTART
	v_dot2_f32_f16 v119, v1, v9, v119
	;;#ASMEND
	;;#ASMSTART
	v_dot2_f32_f16 v119, v2, v10, v119
	;;#ASMEND
	;;#ASMSTART
	v_dot2_f32_f16 v119, v3, v11, v119
	;;#ASMEND
	;; [unrolled: 13-line block ×3, first 2 shown]
	;;#ASMSTART
	v_dot2_f32_f16 v121, v12, v8, v121
	;;#ASMEND
	;;#ASMSTART
	v_dot2_f32_f16 v121, v13, v9, v121
	;;#ASMEND
	;; [unrolled: 3-line block ×4, first 2 shown]
	s_waitcnt lgkmcnt(1)
	;;#ASMSTART
	v_dot2_f32_f16 v125, v16, v4, v125
	;;#ASMEND
	;;#ASMSTART
	v_dot2_f32_f16 v125, v17, v5, v125
	;;#ASMEND
	;; [unrolled: 3-line block ×8, first 2 shown]
	s_waitcnt lgkmcnt(0)
	;;#ASMSTART
	v_dot2_f32_f16 v122, v20, v4, v122
	;;#ASMEND
	;;#ASMSTART
	v_dot2_f32_f16 v122, v21, v5, v122
	;;#ASMEND
	;;#ASMSTART
	v_dot2_f32_f16 v122, v22, v6, v122
	;;#ASMEND
	;;#ASMSTART
	v_dot2_f32_f16 v122, v23, v7, v122
	;;#ASMEND
	;;#ASMSTART
	v_dot2_f32_f16 v123, v20, v8, v123
	;;#ASMEND
	;;#ASMSTART
	v_dot2_f32_f16 v123, v21, v9, v123
	;;#ASMEND
	;;#ASMSTART
	v_dot2_f32_f16 v123, v22, v10, v123
	;;#ASMEND
	;;#ASMSTART
	v_dot2_f32_f16 v123, v23, v11, v123
	;;#ASMEND
	ds_load_b128 v[0:3], v79 offset:16
	ds_load_b128 v[4:7], v81 offset:16
	;; [unrolled: 1-line block ×6, first 2 shown]
	s_waitcnt lgkmcnt(4)
	;;#ASMSTART
	v_dot2_f32_f16 v118, v0, v4, v118
	;;#ASMEND
	;;#ASMSTART
	v_dot2_f32_f16 v118, v1, v5, v118
	;;#ASMEND
	;;#ASMSTART
	v_dot2_f32_f16 v118, v2, v6, v118
	;;#ASMEND
	;;#ASMSTART
	v_dot2_f32_f16 v118, v3, v7, v118
	;;#ASMEND
	s_waitcnt lgkmcnt(3)
	;;#ASMSTART
	v_dot2_f32_f16 v119, v0, v8, v119
	;;#ASMEND
	;;#ASMSTART
	v_dot2_f32_f16 v119, v1, v9, v119
	;;#ASMEND
	;;#ASMSTART
	v_dot2_f32_f16 v119, v2, v10, v119
	;;#ASMEND
	;;#ASMSTART
	v_dot2_f32_f16 v119, v3, v11, v119
	;;#ASMEND
	;; [unrolled: 13-line block ×3, first 2 shown]
	;;#ASMSTART
	v_dot2_f32_f16 v121, v12, v8, v121
	;;#ASMEND
	;;#ASMSTART
	v_dot2_f32_f16 v121, v13, v9, v121
	;;#ASMEND
	;; [unrolled: 3-line block ×4, first 2 shown]
	s_waitcnt lgkmcnt(1)
	;;#ASMSTART
	v_dot2_f32_f16 v125, v16, v4, v125
	;;#ASMEND
	;;#ASMSTART
	v_dot2_f32_f16 v125, v17, v5, v125
	;;#ASMEND
	;; [unrolled: 3-line block ×8, first 2 shown]
	s_waitcnt lgkmcnt(0)
	;;#ASMSTART
	v_dot2_f32_f16 v122, v20, v4, v122
	;;#ASMEND
	;;#ASMSTART
	v_dot2_f32_f16 v122, v21, v5, v122
	;;#ASMEND
	;; [unrolled: 3-line block ×8, first 2 shown]
	ds_load_b128 v[0:3], v79 offset:32
	ds_load_b128 v[4:7], v81 offset:32
	;; [unrolled: 1-line block ×6, first 2 shown]
	s_waitcnt lgkmcnt(4)
	;;#ASMSTART
	v_dot2_f32_f16 v118, v0, v4, v118
	;;#ASMEND
	;;#ASMSTART
	v_dot2_f32_f16 v118, v1, v5, v118
	;;#ASMEND
	;;#ASMSTART
	v_dot2_f32_f16 v118, v2, v6, v118
	;;#ASMEND
	;;#ASMSTART
	v_dot2_f32_f16 v118, v3, v7, v118
	;;#ASMEND
	s_waitcnt lgkmcnt(3)
	;;#ASMSTART
	v_dot2_f32_f16 v119, v0, v8, v119
	;;#ASMEND
	;;#ASMSTART
	v_dot2_f32_f16 v119, v1, v9, v119
	;;#ASMEND
	;;#ASMSTART
	v_dot2_f32_f16 v119, v2, v10, v119
	;;#ASMEND
	;;#ASMSTART
	v_dot2_f32_f16 v119, v3, v11, v119
	;;#ASMEND
	s_waitcnt lgkmcnt(2)
	;;#ASMSTART
	v_dot2_f32_f16 v120, v12, v4, v120
	;;#ASMEND
	;;#ASMSTART
	v_dot2_f32_f16 v120, v13, v5, v120
	;;#ASMEND
	;;#ASMSTART
	v_dot2_f32_f16 v120, v14, v6, v120
	;;#ASMEND
	;;#ASMSTART
	v_dot2_f32_f16 v120, v15, v7, v120
	;;#ASMEND
	;;#ASMSTART
	v_dot2_f32_f16 v121, v12, v8, v121
	;;#ASMEND
	;;#ASMSTART
	v_dot2_f32_f16 v121, v13, v9, v121
	;;#ASMEND
	;; [unrolled: 3-line block ×4, first 2 shown]
	s_waitcnt lgkmcnt(1)
	;;#ASMSTART
	v_dot2_f32_f16 v125, v16, v4, v125
	;;#ASMEND
	;;#ASMSTART
	v_dot2_f32_f16 v125, v17, v5, v125
	;;#ASMEND
	;;#ASMSTART
	v_dot2_f32_f16 v125, v18, v6, v125
	;;#ASMEND
	;;#ASMSTART
	v_dot2_f32_f16 v125, v19, v7, v125
	;;#ASMEND
	;;#ASMSTART
	v_dot2_f32_f16 v124, v16, v8, v124
	;;#ASMEND
	;;#ASMSTART
	v_dot2_f32_f16 v124, v17, v9, v124
	;;#ASMEND
	;;#ASMSTART
	v_dot2_f32_f16 v124, v18, v10, v124
	;;#ASMEND
	;;#ASMSTART
	v_dot2_f32_f16 v124, v19, v11, v124
	;;#ASMEND
	s_waitcnt lgkmcnt(0)
	;;#ASMSTART
	v_dot2_f32_f16 v122, v20, v4, v122
	;;#ASMEND
	;;#ASMSTART
	v_dot2_f32_f16 v122, v21, v5, v122
	;;#ASMEND
	;; [unrolled: 3-line block ×8, first 2 shown]
	ds_load_b128 v[0:3], v79 offset:48
	ds_load_b128 v[4:7], v81 offset:48
	;; [unrolled: 1-line block ×6, first 2 shown]
	s_waitcnt lgkmcnt(4)
	;;#ASMSTART
	v_dot2_f32_f16 v118, v0, v4, v118
	;;#ASMEND
	;;#ASMSTART
	v_dot2_f32_f16 v118, v1, v5, v118
	;;#ASMEND
	;;#ASMSTART
	v_dot2_f32_f16 v118, v2, v6, v118
	;;#ASMEND
	;;#ASMSTART
	v_dot2_f32_f16 v118, v3, v7, v118
	;;#ASMEND
	s_waitcnt lgkmcnt(3)
	;;#ASMSTART
	v_dot2_f32_f16 v119, v0, v8, v119
	;;#ASMEND
	;;#ASMSTART
	v_dot2_f32_f16 v119, v1, v9, v119
	;;#ASMEND
	;;#ASMSTART
	v_dot2_f32_f16 v119, v2, v10, v119
	;;#ASMEND
	;;#ASMSTART
	v_dot2_f32_f16 v119, v3, v11, v119
	;;#ASMEND
	s_waitcnt lgkmcnt(2)
	;;#ASMSTART
	v_dot2_f32_f16 v120, v12, v4, v120
	;;#ASMEND
	;;#ASMSTART
	v_dot2_f32_f16 v120, v13, v5, v120
	;;#ASMEND
	;;#ASMSTART
	v_dot2_f32_f16 v120, v14, v6, v120
	;;#ASMEND
	;;#ASMSTART
	v_dot2_f32_f16 v120, v15, v7, v120
	;;#ASMEND
	;;#ASMSTART
	v_dot2_f32_f16 v121, v12, v8, v121
	;;#ASMEND
	;;#ASMSTART
	v_dot2_f32_f16 v121, v13, v9, v121
	;;#ASMEND
	;; [unrolled: 3-line block ×4, first 2 shown]
	s_waitcnt lgkmcnt(1)
	;;#ASMSTART
	v_dot2_f32_f16 v125, v16, v4, v125
	;;#ASMEND
	;;#ASMSTART
	v_dot2_f32_f16 v125, v17, v5, v125
	;;#ASMEND
	;; [unrolled: 3-line block ×8, first 2 shown]
	s_waitcnt lgkmcnt(0)
	;;#ASMSTART
	v_dot2_f32_f16 v122, v20, v4, v122
	;;#ASMEND
	;;#ASMSTART
	v_dot2_f32_f16 v122, v21, v5, v122
	;;#ASMEND
	;; [unrolled: 3-line block ×8, first 2 shown]
	ds_load_b128 v[0:3], v79 offset:64
	ds_load_b128 v[4:7], v81 offset:64
	;; [unrolled: 1-line block ×6, first 2 shown]
	s_waitcnt lgkmcnt(4)
	;;#ASMSTART
	v_dot2_f32_f16 v118, v0, v4, v118
	;;#ASMEND
	;;#ASMSTART
	v_dot2_f32_f16 v118, v1, v5, v118
	;;#ASMEND
	;;#ASMSTART
	v_dot2_f32_f16 v118, v2, v6, v118
	;;#ASMEND
	;;#ASMSTART
	v_dot2_f32_f16 v118, v3, v7, v118
	;;#ASMEND
	s_waitcnt lgkmcnt(3)
	;;#ASMSTART
	v_dot2_f32_f16 v119, v0, v8, v119
	;;#ASMEND
	;;#ASMSTART
	v_dot2_f32_f16 v119, v1, v9, v119
	;;#ASMEND
	;;#ASMSTART
	v_dot2_f32_f16 v119, v2, v10, v119
	;;#ASMEND
	;;#ASMSTART
	v_dot2_f32_f16 v119, v3, v11, v119
	;;#ASMEND
	;; [unrolled: 13-line block ×3, first 2 shown]
	;;#ASMSTART
	v_dot2_f32_f16 v121, v12, v8, v121
	;;#ASMEND
	;;#ASMSTART
	v_dot2_f32_f16 v121, v13, v9, v121
	;;#ASMEND
	;; [unrolled: 3-line block ×4, first 2 shown]
	s_waitcnt lgkmcnt(1)
	;;#ASMSTART
	v_dot2_f32_f16 v125, v16, v4, v125
	;;#ASMEND
	;;#ASMSTART
	v_dot2_f32_f16 v125, v17, v5, v125
	;;#ASMEND
	;; [unrolled: 3-line block ×8, first 2 shown]
	s_waitcnt lgkmcnt(0)
	;;#ASMSTART
	v_dot2_f32_f16 v122, v20, v4, v122
	;;#ASMEND
	;;#ASMSTART
	v_dot2_f32_f16 v122, v21, v5, v122
	;;#ASMEND
	;; [unrolled: 3-line block ×8, first 2 shown]
	ds_load_b128 v[0:3], v79 offset:80
	ds_load_b128 v[4:7], v81 offset:80
	;; [unrolled: 1-line block ×6, first 2 shown]
	s_waitcnt lgkmcnt(4)
	;;#ASMSTART
	v_dot2_f32_f16 v118, v0, v4, v118
	;;#ASMEND
	;;#ASMSTART
	v_dot2_f32_f16 v118, v1, v5, v118
	;;#ASMEND
	;;#ASMSTART
	v_dot2_f32_f16 v118, v2, v6, v118
	;;#ASMEND
	;;#ASMSTART
	v_dot2_f32_f16 v118, v3, v7, v118
	;;#ASMEND
	s_waitcnt lgkmcnt(3)
	;;#ASMSTART
	v_dot2_f32_f16 v119, v0, v8, v119
	;;#ASMEND
	;;#ASMSTART
	v_dot2_f32_f16 v119, v1, v9, v119
	;;#ASMEND
	;;#ASMSTART
	v_dot2_f32_f16 v119, v2, v10, v119
	;;#ASMEND
	;;#ASMSTART
	v_dot2_f32_f16 v119, v3, v11, v119
	;;#ASMEND
	;; [unrolled: 13-line block ×3, first 2 shown]
	;;#ASMSTART
	v_dot2_f32_f16 v121, v12, v8, v121
	;;#ASMEND
	;;#ASMSTART
	v_dot2_f32_f16 v121, v13, v9, v121
	;;#ASMEND
	;; [unrolled: 3-line block ×4, first 2 shown]
	s_waitcnt lgkmcnt(1)
	;;#ASMSTART
	v_dot2_f32_f16 v125, v16, v4, v125
	;;#ASMEND
	;;#ASMSTART
	v_dot2_f32_f16 v125, v17, v5, v125
	;;#ASMEND
	;; [unrolled: 3-line block ×8, first 2 shown]
	s_waitcnt lgkmcnt(0)
	;;#ASMSTART
	v_dot2_f32_f16 v122, v20, v4, v122
	;;#ASMEND
	;;#ASMSTART
	v_dot2_f32_f16 v122, v21, v5, v122
	;;#ASMEND
	;; [unrolled: 3-line block ×8, first 2 shown]
	ds_load_b128 v[0:3], v79 offset:96
	ds_load_b128 v[4:7], v81 offset:96
	;; [unrolled: 1-line block ×6, first 2 shown]
	s_waitcnt lgkmcnt(4)
	;;#ASMSTART
	v_dot2_f32_f16 v118, v0, v4, v118
	;;#ASMEND
	;;#ASMSTART
	v_dot2_f32_f16 v118, v1, v5, v118
	;;#ASMEND
	;;#ASMSTART
	v_dot2_f32_f16 v118, v2, v6, v118
	;;#ASMEND
	;;#ASMSTART
	v_dot2_f32_f16 v118, v3, v7, v118
	;;#ASMEND
	s_waitcnt lgkmcnt(3)
	;;#ASMSTART
	v_dot2_f32_f16 v119, v0, v8, v119
	;;#ASMEND
	;;#ASMSTART
	v_dot2_f32_f16 v119, v1, v9, v119
	;;#ASMEND
	;;#ASMSTART
	v_dot2_f32_f16 v119, v2, v10, v119
	;;#ASMEND
	;;#ASMSTART
	v_dot2_f32_f16 v119, v3, v11, v119
	;;#ASMEND
	;; [unrolled: 13-line block ×3, first 2 shown]
	;;#ASMSTART
	v_dot2_f32_f16 v121, v12, v8, v121
	;;#ASMEND
	;;#ASMSTART
	v_dot2_f32_f16 v121, v13, v9, v121
	;;#ASMEND
	;;#ASMSTART
	v_dot2_f32_f16 v121, v14, v10, v121
	;;#ASMEND
	;;#ASMSTART
	v_dot2_f32_f16 v121, v15, v11, v121
	;;#ASMEND
	s_waitcnt lgkmcnt(1)
	;;#ASMSTART
	v_dot2_f32_f16 v125, v16, v4, v125
	;;#ASMEND
	;;#ASMSTART
	v_dot2_f32_f16 v125, v17, v5, v125
	;;#ASMEND
	;; [unrolled: 3-line block ×8, first 2 shown]
	s_waitcnt lgkmcnt(0)
	;;#ASMSTART
	v_dot2_f32_f16 v122, v20, v4, v122
	;;#ASMEND
	;;#ASMSTART
	v_dot2_f32_f16 v122, v21, v5, v122
	;;#ASMEND
	;; [unrolled: 3-line block ×8, first 2 shown]
	ds_load_b128 v[0:3], v79 offset:112
	ds_load_b128 v[4:7], v81 offset:112
	;; [unrolled: 1-line block ×6, first 2 shown]
	s_waitcnt lgkmcnt(4)
	;;#ASMSTART
	v_dot2_f32_f16 v118, v0, v4, v118
	;;#ASMEND
	;;#ASMSTART
	v_dot2_f32_f16 v118, v1, v5, v118
	;;#ASMEND
	;; [unrolled: 3-line block ×4, first 2 shown]
	s_waitcnt lgkmcnt(3)
	;;#ASMSTART
	v_dot2_f32_f16 v119, v0, v8, v119
	;;#ASMEND
	;;#ASMSTART
	v_dot2_f32_f16 v119, v1, v9, v119
	;;#ASMEND
	v_mov_b32_e32 v1, v117
	;;#ASMSTART
	v_dot2_f32_f16 v119, v2, v10, v119
	;;#ASMEND
	;;#ASMSTART
	v_dot2_f32_f16 v119, v3, v11, v119
	;;#ASMEND
	s_waitcnt lgkmcnt(2)
	;;#ASMSTART
	v_dot2_f32_f16 v120, v12, v4, v120
	;;#ASMEND
	;;#ASMSTART
	v_dot2_f32_f16 v120, v13, v5, v120
	;;#ASMEND
	;; [unrolled: 3-line block ×8, first 2 shown]
	s_waitcnt lgkmcnt(1)
	;;#ASMSTART
	v_dot2_f32_f16 v125, v16, v4, v125
	;;#ASMEND
	;;#ASMSTART
	v_dot2_f32_f16 v125, v17, v5, v125
	;;#ASMEND
	;; [unrolled: 3-line block ×6, first 2 shown]
	v_add_co_u32 v126, vcc_lo, s40, v126
	;;#ASMSTART
	v_dot2_f32_f16 v124, v18, v10, v124
	;;#ASMEND
	;;#ASMSTART
	v_dot2_f32_f16 v124, v19, v11, v124
	;;#ASMEND
	s_waitcnt lgkmcnt(0)
	;;#ASMSTART
	v_dot2_f32_f16 v122, v20, v4, v122
	;;#ASMEND
	v_add_co_ci_u32_e32 v127, vcc_lo, s41, v127, vcc_lo
	;;#ASMSTART
	v_dot2_f32_f16 v122, v21, v5, v122
	;;#ASMEND
	;;#ASMSTART
	v_dot2_f32_f16 v122, v22, v6, v122
	;;#ASMEND
	;; [unrolled: 3-line block ×7, first 2 shown]
	s_clause 0x3
	flat_load_u16 v130, v[126:127] offset:64
	flat_load_u16 v131, v[126:127] offset:128
	flat_load_u16 v132, v[126:127]
	flat_load_u16 v133, v[126:127] offset:192
	v_cmp_gt_i32_e32 vcc_lo, 32, v73
	v_cndmask_b32_e64 v2, v70, v80, s2
	v_cndmask_b32_e64 v3, v70, v77, s3
	s_lshl_b64 s[2:3], s[6:7], 2
	v_cndmask_b32_e64 v4, v70, v76, s4
	v_cndmask_b32_e32 v6, v70, v73, vcc_lo
	s_add_u32 s8, s43, s2
	v_cndmask_b32_e64 v5, v70, v75, s5
	s_addc_u32 s9, s44, s3
	v_add_co_u32 v7, vcc_lo, s8, v55
	v_add_co_u32 v8, s2, s8, v57
	v_add_co_u32 v9, s3, s8, v59
	;; [unrolled: 1-line block ×7, first 2 shown]
	v_dual_mov_b32 v0, v116 :: v_dual_lshlrev_b32 v117, 2, v2
	v_dual_mov_b32 v116, v52 :: v_dual_lshlrev_b32 v135, 2, v3
	v_add_co_ci_u32_e64 v3, s8, s9, v54, s8
	v_lshlrev_b32_e32 v138, 2, v6
	v_add_co_ci_u32_e32 v6, vcc_lo, s9, v56, vcc_lo
	v_add_co_ci_u32_e64 v17, vcc_lo, s9, v58, s2
	v_lshlrev_b32_e32 v136, 2, v4
	v_add_co_ci_u32_e64 v18, vcc_lo, s9, v60, s3
	v_add_co_ci_u32_e64 v19, vcc_lo, s9, v62, s4
	;; [unrolled: 1-line block ×5, first 2 shown]
	v_add_co_u32 v4, s8, v15, v98
	v_add_co_u32 v2, vcc_lo, v7, v98
	v_dual_mov_b32 v134, v51 :: v_dual_lshlrev_b32 v137, 2, v5
	v_add_co_u32 v12, s2, v8, v98
	v_add_co_ci_u32_e64 v5, s8, 0, v3, s8
	v_add_co_u32 v16, s3, v9, v98
	v_add_co_ci_u32_e32 v3, vcc_lo, 0, v6, vcc_lo
	v_add_co_u32 v20, s4, v10, v98
	v_add_co_u32 v24, s5, v11, v98
	;; [unrolled: 1-line block ×4, first 2 shown]
	v_add_co_ci_u32_e64 v13, vcc_lo, 0, v17, s2
	v_add_co_ci_u32_e64 v17, vcc_lo, 0, v18, s3
	;; [unrolled: 1-line block ×6, first 2 shown]
	s_waitcnt vmcnt(0) lgkmcnt(0)
	s_barrier
	buffer_gl0_inv
	s_clause 0x7
	global_load_b128 v[4:7], v[4:5], off
	global_load_b128 v[8:11], v[2:3], off
	;; [unrolled: 1-line block ×8, first 2 shown]
	v_cvt_f32_f16_e64 v2, v130
	v_cvt_f32_f16_e64 v3, v131
	;; [unrolled: 1-line block ×4, first 2 shown]
	s_delay_alu instid0(VALU_DEP_4) | instskip(NEXT) | instid1(VALU_DEP_3)
	v_add_f32_e32 v120, v120, v2
	v_dual_add_f32 v2, v121, v2 :: v_dual_add_f32 v119, v119, v51
	s_delay_alu instid0(VALU_DEP_3) | instskip(SKIP_3) | instid1(VALU_DEP_4)
	v_dual_add_f32 v121, v123, v52 :: v_dual_add_f32 v118, v118, v51
	v_add_f32_e32 v125, v125, v3
	v_add_f32_e32 v3, v124, v3
	;; [unrolled: 1-line block ×3, first 2 shown]
	v_dual_add_f32 v133, 0x40051340, v121 :: v_dual_add_f32 v122, v122, v52
	v_add_f32_e32 v123, 0x40051340, v118
	s_delay_alu instid0(VALU_DEP_4) | instskip(SKIP_4) | instid1(VALU_DEP_4)
	v_dual_add_f32 v52, 0x40051340, v2 :: v_dual_add_f32 v131, 0x40051340, v3
	v_add_f32_e32 v124, 0x40051340, v119
	v_add_f32_e32 v130, 0x40051340, v125
	;; [unrolled: 1-line block ×3, first 2 shown]
	v_max3_f32 v51, v134, v123, v51
	v_max3_f32 v52, v116, v124, v52
	s_delay_alu instid0(VALU_DEP_2) | instskip(NEXT) | instid1(VALU_DEP_2)
	v_max3_f32 v51, v51, v130, v132
	v_max3_f32 v52, v52, v131, v133
	ds_bpermute_b32 v123, v117, v51
	ds_bpermute_b32 v117, v117, v52
	s_waitcnt lgkmcnt(1)
	v_max_f32_e32 v123, v123, v123
	s_waitcnt lgkmcnt(0)
	v_max_f32_e32 v117, v117, v117
	s_delay_alu instid0(VALU_DEP_1) | instskip(SKIP_4) | instid1(VALU_DEP_1)
	v_dual_max_f32 v51, v51, v123 :: v_dual_max_f32 v52, v52, v117
	ds_bpermute_b32 v117, v135, v51
	ds_bpermute_b32 v123, v135, v52
	s_waitcnt lgkmcnt(0)
	v_max_f32_e32 v123, v123, v123
	v_dual_max_f32 v117, v117, v117 :: v_dual_max_f32 v52, v52, v123
	ds_bpermute_b32 v123, v136, v52
	s_waitcnt lgkmcnt(0)
	v_max_f32_e32 v123, v123, v123
	s_delay_alu instid0(VALU_DEP_1) | instskip(SKIP_4) | instid1(VALU_DEP_1)
	v_dual_max_f32 v51, v51, v117 :: v_dual_max_f32 v52, v52, v123
	ds_bpermute_b32 v117, v136, v51
	ds_bpermute_b32 v123, v137, v52
	s_waitcnt lgkmcnt(0)
	v_max_f32_e32 v123, v123, v123
	v_dual_max_f32 v117, v117, v117 :: v_dual_max_f32 v52, v52, v123
	ds_bpermute_b32 v123, v138, v52
	s_waitcnt lgkmcnt(0)
	v_max_f32_e32 v123, v123, v123
	s_delay_alu instid0(VALU_DEP_1) | instskip(SKIP_3) | instid1(VALU_DEP_2)
	v_dual_max_f32 v51, v51, v117 :: v_dual_max_f32 v52, v52, v123
	ds_bpermute_b32 v117, v137, v51
	v_sub_f32_e32 v116, v116, v52
	v_sub_f32_e32 v2, v2, v52
	v_cmp_ngt_f32_e64 s9, 0xc2ce8ed0, v116
	v_cmp_nlt_f32_e64 s20, 0x42b17218, v116
	s_delay_alu instid0(VALU_DEP_3) | instskip(SKIP_3) | instid1(VALU_DEP_1)
	v_cmp_ngt_f32_e64 s6, 0xc2ce8ed0, v2
	v_cmp_nlt_f32_e64 s17, 0x42b17218, v2
	s_waitcnt lgkmcnt(0)
	v_max_f32_e32 v117, v117, v117
	v_max_f32_e32 v51, v51, v117
	ds_bpermute_b32 v117, v138, v51
	s_waitcnt lgkmcnt(0)
	v_max_f32_e32 v117, v117, v117
	s_delay_alu instid0(VALU_DEP_1) | instskip(NEXT) | instid1(VALU_DEP_1)
	v_max_f32_e32 v51, v51, v117
	v_dual_sub_f32 v119, v119, v52 :: v_dual_sub_f32 v122, v122, v51
	v_sub_f32_e32 v121, v121, v52
	s_delay_alu instid0(VALU_DEP_2) | instskip(SKIP_1) | instid1(VALU_DEP_4)
	v_cmp_ngt_f32_e32 vcc_lo, 0xc2ce8ed0, v119
	v_cmp_nlt_f32_e64 s11, 0x42b17218, v119
	v_mul_f32_e32 v132, 0x3fb8aa3b, v122
	v_sub_f32_e32 v120, v120, v51
	v_sub_f32_e32 v123, v125, v51
	v_cmp_ngt_f32_e64 s4, 0xc2ce8ed0, v122
	v_cmp_nlt_f32_e64 s15, 0x42b17218, v122
	v_fma_f32 v146, 0x3fb8aa3b, v122, -v132
	v_rndne_f32_e32 v147, v132
	v_mul_f32_e32 v137, 0x3fb8aa3b, v116
	v_dual_mul_f32 v124, 0x3fb8aa3b, v120 :: v_dual_sub_f32 v117, v134, v51
	v_mul_f32_e32 v134, 0x3fb8aa3b, v2
	v_fmac_f32_e32 v146, 0x32a5705f, v122
	v_sub_f32_e32 v122, v132, v147
	v_fma_f32 v156, 0x3fb8aa3b, v116, -v137
	v_rndne_f32_e32 v157, v137
	v_mul_f32_e32 v125, 0x3fb8aa3b, v119
	v_fma_f32 v138, 0x3fb8aa3b, v120, -v124
	v_sub_f32_e32 v118, v118, v51
	v_fmac_f32_e32 v156, 0x32a5705f, v116
	v_sub_f32_e32 v116, v137, v157
	v_fma_f32 v140, 0x3fb8aa3b, v119, -v125
	v_rndne_f32_e32 v141, v125
	v_rndne_f32_e32 v139, v124
	v_fma_f32 v150, 0x3fb8aa3b, v2, -v134
	v_fmac_f32_e32 v138, 0x32a5705f, v120
	s_delay_alu instid0(VALU_DEP_4)
	v_dual_fmac_f32 v140, 0x32a5705f, v119 :: v_dual_sub_f32 v119, v125, v141
	v_dual_sub_f32 v3, v3, v52 :: v_dual_mul_f32 v130, 0x3fb8aa3b, v118
	v_mul_f32_e32 v136, 0x3fb8aa3b, v121
	v_cmp_ngt_f32_e64 s10, 0xc2ce8ed0, v120
	v_cmp_nlt_f32_e64 s21, 0x42b17218, v120
	v_sub_f32_e32 v120, v124, v139
	v_mul_f32_e32 v131, 0x3fb8aa3b, v123
	v_dual_fmac_f32 v150, 0x32a5705f, v2 :: v_dual_add_f32 v119, v119, v140
	v_fma_f32 v142, 0x3fb8aa3b, v118, -v130
	v_rndne_f32_e32 v143, v130
	v_dual_mul_f32 v133, 0x3fb8aa3b, v117 :: v_dual_add_f32 v120, v120, v138
	v_fma_f32 v144, 0x3fb8aa3b, v123, -v131
	v_rndne_f32_e32 v145, v131
	v_exp_f32_e32 v119, v119
	v_cmp_ngt_f32_e64 s2, 0xc2ce8ed0, v118
	v_cmp_ngt_f32_e64 s3, 0xc2ce8ed0, v123
	v_cmp_nlt_f32_e64 s12, 0x42b17218, v118
	v_cmp_nlt_f32_e64 s13, 0x42b17218, v123
	v_cvt_i32_f32_e32 v125, v141
	v_fmac_f32_e32 v142, 0x32a5705f, v118
	v_sub_f32_e32 v118, v130, v143
	v_rndne_f32_e32 v149, v133
	v_dual_fmac_f32 v144, 0x32a5705f, v123 :: v_dual_sub_f32 v123, v131, v145
	s_delay_alu instid0(VALU_DEP_3) | instskip(SKIP_3) | instid1(VALU_DEP_4)
	v_dual_mul_f32 v135, 0x3fb8aa3b, v3 :: v_dual_add_f32 v118, v118, v142
	v_fma_f32 v148, 0x3fb8aa3b, v117, -v133
	v_rndne_f32_e32 v151, v134
	v_fma_f32 v154, 0x3fb8aa3b, v121, -v136
	v_fma_f32 v152, 0x3fb8aa3b, v3, -v135
	v_rndne_f32_e32 v153, v135
	v_rndne_f32_e32 v155, v136
	v_ldexp_f32 v119, v119, v125
	v_cmp_ngt_f32_e64 s5, 0xc2ce8ed0, v117
	v_cmp_ngt_f32_e64 s7, 0xc2ce8ed0, v3
	v_cmp_ngt_f32_e64 s8, 0xc2ce8ed0, v121
	v_cmp_nlt_f32_e64 s16, 0x42b17218, v117
	v_cmp_nlt_f32_e64 s18, 0x42b17218, v3
	;; [unrolled: 1-line block ×3, first 2 shown]
	v_fmac_f32_e32 v148, 0x32a5705f, v117
	v_dual_sub_f32 v117, v133, v149 :: v_dual_sub_f32 v2, v134, v151
	v_dual_add_f32 v123, v123, v144 :: v_dual_fmac_f32 v154, 0x32a5705f, v121
	v_sub_f32_e32 v121, v136, v155
	s_delay_alu instid0(VALU_DEP_3) | instskip(SKIP_3) | instid1(VALU_DEP_4)
	v_dual_fmac_f32 v152, 0x32a5705f, v3 :: v_dual_add_f32 v117, v117, v148
	v_dual_sub_f32 v3, v135, v153 :: v_dual_add_f32 v122, v122, v146
	v_cndmask_b32_e32 v119, 0, v119, vcc_lo
	v_cvt_i32_f32_e32 v133, v149
	v_exp_f32_e32 v117, v117
	s_delay_alu instid0(VALU_DEP_3)
	v_add_f32_e32 v3, v3, v152
	v_cvt_i32_f32_e32 v134, v151
	v_cndmask_b32_e64 v119, 0x7f800000, v119, s11
	v_add_f32_e32 v2, v2, v150
	v_add_f32_e32 v121, v121, v154
	v_exp_f32_e32 v120, v120
	v_exp_f32_e32 v3, v3
	v_cvt_i32_f32_e32 v124, v139
	v_exp_f32_e32 v2, v2
	v_cvt_i32_f32_e32 v135, v153
	v_exp_f32_e32 v122, v122
	v_exp_f32_e32 v121, v121
	v_ldexp_f32 v117, v117, v133
	v_cvt_i32_f32_e32 v132, v147
	v_cvt_i32_f32_e32 v136, v155
	v_exp_f32_e32 v123, v123
	v_ldexp_f32 v120, v120, v124
	v_ldexp_f32 v3, v3, v135
	;; [unrolled: 1-line block ×3, first 2 shown]
	v_cndmask_b32_e64 v117, 0, v117, s5
	v_cvt_i32_f32_e32 v131, v145
	v_ldexp_f32 v122, v122, v132
	v_ldexp_f32 v121, v121, v136
	v_cndmask_b32_e64 v124, 0, v2, s6
	v_cndmask_b32_e64 v3, 0, v3, s7
	;; [unrolled: 1-line block ×3, first 2 shown]
	v_ldexp_f32 v123, v123, v131
	v_cndmask_b32_e64 v122, 0, v122, s4
	v_cndmask_b32_e64 v117, 0x7f800000, v124, s17
	;; [unrolled: 1-line block ×4, first 2 shown]
	v_cvt_f16_f32_e64 v131, v119
	v_exp_f32_e32 v118, v118
	v_add_f32_e32 v119, v119, v117
	v_cndmask_b32_e64 v122, 0x7f800000, v122, s15
	v_cndmask_b32_e64 v121, 0x7f800000, v121, s19
	v_cvt_i32_f32_e32 v130, v143
	v_cvt_i32_f32_e32 v137, v157
	v_add_f32_e32 v119, v124, v119
	v_add_f32_e32 v116, v116, v156
	v_cndmask_b32_e64 v120, 0, v120, s10
	v_cndmask_b32_e64 v123, 0, v123, s3
	v_ldexp_f32 v118, v118, v130
	v_cvt_f16_f32_e32 v117, v117
	v_exp_f32_e32 v116, v116
	v_cndmask_b32_e64 v120, 0x7f800000, v120, s21
	v_cndmask_b32_e64 v123, 0x7f800000, v123, s13
	;; [unrolled: 1-line block ×3, first 2 shown]
	v_cvt_f16_f32_e64 v130, v122
	v_cvt_f16_f32_e64 v132, v124
	;; [unrolled: 1-line block ×3, first 2 shown]
	v_cvt_f16_f32_e32 v125, v123
	v_cndmask_b32_e64 v118, 0x7f800000, v118, s12
	v_cvt_f16_f32_e64 v158, v2
	v_ldexp_f32 v116, v116, v137
	v_pack_b32_f16 v124, v130, v133
	s_delay_alu instid0(VALU_DEP_2) | instskip(NEXT) | instid1(VALU_DEP_1)
	v_cndmask_b32_e64 v116, 0, v116, s9
	v_cndmask_b32_e64 v3, 0x7f800000, v116, s20
	v_add_f32_e32 v116, v118, v120
	v_cvt_f16_f32_e32 v120, v120
	v_cvt_f16_f32_e32 v118, v118
	s_delay_alu instid0(VALU_DEP_4) | instskip(NEXT) | instid1(VALU_DEP_3)
	v_cvt_f16_f32_e64 v159, v3
	v_pack_b32_f16 v120, v120, v117
	v_add_f32_e32 v117, v121, v119
	s_delay_alu instid0(VALU_DEP_4) | instskip(NEXT) | instid1(VALU_DEP_2)
	v_pack_b32_f16 v118, v118, v131
	v_dual_fmac_f32 v117, v1, v3 :: v_dual_add_f32 v116, v123, v116
	v_pack_b32_f16 v123, v125, v132
	ds_store_2addr_b32 v99, v118, v120 offset1:32
	ds_store_2addr_b32 v99, v123, v124 offset0:64 offset1:96
	s_waitcnt vmcnt(7)
	ds_store_b128 v89, v[4:7]
	s_waitcnt vmcnt(6)
	ds_store_b128 v91, v[8:11]
	;; [unrolled: 2-line block ×8, first 2 shown]
	v_add_f32_e32 v116, v122, v116
	s_waitcnt lgkmcnt(0)
	s_barrier
	buffer_gl0_inv
	ds_load_2addr_b32 v[161:162], v71 offset1:32
	ds_load_2addr_b32 v[163:164], v71 offset0:64 offset1:96
	ds_load_2addr_b32 v[165:166], v71 offset0:128 offset1:160
	ds_load_b128 v[4:7], v90
	ds_load_b128 v[8:11], v90 offset:16
	ds_load_2addr_b32 v[167:168], v71 offset0:192 offset1:224
	ds_load_2addr_b32 v[169:170], v100 offset1:32
	ds_load_2addr_b32 v[171:172], v100 offset0:64 offset1:96
	ds_load_2addr_b32 v[173:174], v100 offset0:128 offset1:160
	ds_load_b128 v[12:15], v90 offset:32
	ds_load_b128 v[16:19], v90 offset:48
	ds_load_2addr_b32 v[175:176], v100 offset0:192 offset1:224
	ds_load_2addr_b32 v[177:178], v101 offset1:32
	ds_load_2addr_b32 v[179:180], v101 offset0:64 offset1:96
	ds_load_2addr_b32 v[181:182], v101 offset0:128 offset1:160
	ds_load_b128 v[20:23], v90 offset:64
	;; [unrolled: 6-line block ×8, first 2 shown]
	s_waitcnt lgkmcnt(48)
	v_pk_mul_f16 v160, v161, v4 op_sel_hi:[1,0]
	v_pk_mul_f16 v4, v161, v4 op_sel:[0,1]
	ds_load_2addr_b32 v[231:232], v107 offset0:192 offset1:224
	v_fmac_f32_e32 v116, v0, v2
	v_pk_fma_f16 v115, v158, v115, v160 op_sel_hi:[0,1,1]
	v_pk_fma_f16 v4, v78, v159, v4 op_sel_hi:[1,0,1]
	ds_load_b128 v[158:161], v90 offset:272
	v_pk_fma_f16 v78, v162, v5, v115 op_sel_hi:[1,0,1]
	v_pk_fma_f16 v4, v162, v5, v4 op_sel:[0,1,0]
	s_delay_alu instid0(VALU_DEP_2) | instskip(NEXT) | instid1(VALU_DEP_2)
	v_pk_fma_f16 v5, v163, v6, v78 op_sel_hi:[1,0,1]
	v_pk_fma_f16 v4, v163, v6, v4 op_sel:[0,1,0]
	ds_load_2addr_b32 v[162:163], v108 offset1:32
	ds_load_2addr_b32 v[233:234], v108 offset0:64 offset1:96
	ds_load_2addr_b32 v[235:236], v108 offset0:128 offset1:160
	v_pk_fma_f16 v5, v164, v7, v5 op_sel_hi:[1,0,1]
	v_pk_fma_f16 v4, v164, v7, v4 op_sel:[0,1,0]
	s_waitcnt lgkmcnt(52)
	s_delay_alu instid0(VALU_DEP_2) | instskip(NEXT) | instid1(VALU_DEP_2)
	v_pk_fma_f16 v5, v165, v8, v5 op_sel_hi:[1,0,1]
	v_pk_fma_f16 v4, v165, v8, v4 op_sel:[0,1,0]
	s_delay_alu instid0(VALU_DEP_2) | instskip(NEXT) | instid1(VALU_DEP_2)
	v_pk_fma_f16 v5, v166, v9, v5 op_sel_hi:[1,0,1]
	v_pk_fma_f16 v4, v166, v9, v4 op_sel:[0,1,0]
	s_waitcnt lgkmcnt(51)
	s_delay_alu instid0(VALU_DEP_2) | instskip(NEXT) | instid1(VALU_DEP_2)
	v_pk_fma_f16 v5, v167, v10, v5 op_sel_hi:[1,0,1]
	v_pk_fma_f16 v4, v167, v10, v4 op_sel:[0,1,0]
	s_delay_alu instid0(VALU_DEP_2) | instskip(NEXT) | instid1(VALU_DEP_2)
	v_pk_fma_f16 v78, v168, v11, v5 op_sel_hi:[1,0,1]
	v_pk_fma_f16 v115, v168, v11, v4 op_sel:[0,1,0]
	ds_load_b128 v[4:7], v90 offset:288
	ds_load_b128 v[8:11], v90 offset:304
	ds_load_2addr_b32 v[164:165], v108 offset0:192 offset1:224
	s_waitcnt lgkmcnt(50)
	v_pk_fma_f16 v78, v169, v12, v78 op_sel_hi:[1,0,1]
	v_pk_fma_f16 v12, v169, v12, v115 op_sel:[0,1,0]
	s_delay_alu instid0(VALU_DEP_2) | instskip(NEXT) | instid1(VALU_DEP_2)
	v_pk_fma_f16 v78, v170, v13, v78 op_sel_hi:[1,0,1]
	v_pk_fma_f16 v12, v170, v13, v12 op_sel:[0,1,0]
	s_delay_alu instid0(VALU_DEP_2) | instskip(NEXT) | instid1(VALU_DEP_2)
	v_pk_fma_f16 v13, v171, v14, v78 op_sel_hi:[1,0,1]
	v_pk_fma_f16 v12, v171, v14, v12 op_sel:[0,1,0]
	ds_load_2addr_b32 v[166:167], v109 offset1:32
	ds_load_2addr_b32 v[168:169], v109 offset0:64 offset1:96
	ds_load_2addr_b32 v[170:171], v109 offset0:128 offset1:160
	v_pk_fma_f16 v13, v172, v15, v13 op_sel_hi:[1,0,1]
	v_pk_fma_f16 v12, v172, v15, v12 op_sel:[0,1,0]
	s_waitcnt lgkmcnt(52)
	s_delay_alu instid0(VALU_DEP_2) | instskip(NEXT) | instid1(VALU_DEP_2)
	v_pk_fma_f16 v13, v173, v16, v13 op_sel_hi:[1,0,1]
	v_pk_fma_f16 v12, v173, v16, v12 op_sel:[0,1,0]
	s_delay_alu instid0(VALU_DEP_2) | instskip(NEXT) | instid1(VALU_DEP_2)
	v_pk_fma_f16 v13, v174, v17, v13 op_sel_hi:[1,0,1]
	v_pk_fma_f16 v12, v174, v17, v12 op_sel:[0,1,0]
	s_waitcnt lgkmcnt(51)
	s_delay_alu instid0(VALU_DEP_2) | instskip(NEXT) | instid1(VALU_DEP_2)
	v_pk_fma_f16 v13, v175, v18, v13 op_sel_hi:[1,0,1]
	v_pk_fma_f16 v12, v175, v18, v12 op_sel:[0,1,0]
	s_delay_alu instid0(VALU_DEP_2) | instskip(NEXT) | instid1(VALU_DEP_2)
	v_pk_fma_f16 v78, v176, v19, v13 op_sel_hi:[1,0,1]
	v_pk_fma_f16 v115, v176, v19, v12 op_sel:[0,1,0]
	ds_load_b128 v[12:15], v90 offset:320
	ds_load_b128 v[16:19], v90 offset:336
	ds_load_2addr_b32 v[172:173], v109 offset0:192 offset1:224
	s_waitcnt lgkmcnt(50)
	v_pk_fma_f16 v78, v177, v20, v78 op_sel_hi:[1,0,1]
	v_pk_fma_f16 v20, v177, v20, v115 op_sel:[0,1,0]
	s_delay_alu instid0(VALU_DEP_2) | instskip(NEXT) | instid1(VALU_DEP_2)
	;; [unrolled: 31-line block ×6, first 2 shown]
	v_pk_fma_f16 v78, v210, v139, v78 op_sel_hi:[1,0,1]
	v_pk_fma_f16 v115, v210, v139, v115 op_sel:[0,1,0]
	s_delay_alu instid0(VALU_DEP_2) | instskip(NEXT) | instid1(VALU_DEP_2)
	v_pk_fma_f16 v78, v211, v140, v78 op_sel_hi:[1,0,1]
	v_pk_fma_f16 v115, v211, v140, v115 op_sel:[0,1,0]
	ds_load_2addr_b32 v[206:207], v114 offset1:32
	ds_load_2addr_b32 v[208:209], v114 offset0:64 offset1:96
	ds_load_2addr_b32 v[210:211], v114 offset0:128 offset1:160
	v_pk_fma_f16 v78, v212, v141, v78 op_sel_hi:[1,0,1]
	v_pk_fma_f16 v115, v212, v141, v115 op_sel:[0,1,0]
	s_waitcnt lgkmcnt(52)
	s_delay_alu instid0(VALU_DEP_2) | instskip(NEXT) | instid1(VALU_DEP_2)
	v_pk_fma_f16 v78, v213, v142, v78 op_sel_hi:[1,0,1]
	v_pk_fma_f16 v115, v213, v142, v115 op_sel:[0,1,0]
	s_delay_alu instid0(VALU_DEP_2) | instskip(NEXT) | instid1(VALU_DEP_2)
	v_pk_fma_f16 v78, v214, v143, v78 op_sel_hi:[1,0,1]
	v_pk_fma_f16 v115, v214, v143, v115 op_sel:[0,1,0]
	s_waitcnt lgkmcnt(51)
	s_delay_alu instid0(VALU_DEP_2) | instskip(NEXT) | instid1(VALU_DEP_2)
	v_pk_fma_f16 v78, v215, v144, v78 op_sel_hi:[1,0,1]
	v_pk_fma_f16 v115, v215, v144, v115 op_sel:[0,1,0]
	s_delay_alu instid0(VALU_DEP_2) | instskip(NEXT) | instid1(VALU_DEP_2)
	v_pk_fma_f16 v78, v216, v145, v78 op_sel_hi:[1,0,1]
	v_pk_fma_f16 v115, v216, v145, v115 op_sel:[0,1,0]
	ds_load_b128 v[138:141], v90 offset:480
	ds_load_b128 v[142:145], v90 offset:496
	s_waitcnt lgkmcnt(49)
	v_pk_fma_f16 v78, v217, v146, v78 op_sel_hi:[1,0,1]
	v_pk_fma_f16 v115, v217, v146, v115 op_sel:[0,1,0]
	s_delay_alu instid0(VALU_DEP_2) | instskip(NEXT) | instid1(VALU_DEP_2)
	v_pk_fma_f16 v78, v218, v147, v78 op_sel_hi:[1,0,1]
	v_pk_fma_f16 v115, v218, v147, v115 op_sel:[0,1,0]
	ds_load_2addr_b32 v[146:147], v114 offset0:192 offset1:224
	s_waitcnt lgkmcnt(0)
	s_barrier
	v_pk_fma_f16 v78, v219, v148, v78 op_sel_hi:[1,0,1]
	v_pk_fma_f16 v115, v219, v148, v115 op_sel:[0,1,0]
	buffer_gl0_inv
	s_load_b32 s2, s[22:23], 0x4
	v_pk_fma_f16 v78, v220, v149, v78 op_sel_hi:[1,0,1]
	v_pk_fma_f16 v115, v220, v149, v115 op_sel:[0,1,0]
	s_delay_alu instid0(VALU_DEP_2) | instskip(NEXT) | instid1(VALU_DEP_2)
	v_pk_fma_f16 v78, v221, v150, v78 op_sel_hi:[1,0,1]
	v_pk_fma_f16 v115, v221, v150, v115 op_sel:[0,1,0]
	s_delay_alu instid0(VALU_DEP_2) | instskip(NEXT) | instid1(VALU_DEP_2)
	;; [unrolled: 3-line block ×3, first 2 shown]
	v_pk_fma_f16 v78, v223, v152, v78 op_sel_hi:[1,0,1]
	v_pk_fma_f16 v115, v223, v152, v115 op_sel:[0,1,0]
	s_waitcnt lgkmcnt(0)
	s_lshl_b32 s2, s2, 7
	s_delay_alu instid0(VALU_DEP_2) | instskip(NEXT) | instid1(VALU_DEP_2)
	v_pk_fma_f16 v78, v224, v153, v78 op_sel_hi:[1,0,1]
	v_pk_fma_f16 v115, v224, v153, v115 op_sel:[0,1,0]
	s_add_i32 s26, s2, s26
	s_delay_alu instid0(SALU_CYCLE_1) | instskip(NEXT) | instid1(VALU_DEP_2)
	s_cmp_ge_i32 s26, s34
	v_pk_fma_f16 v78, v225, v154, v78 op_sel_hi:[1,0,1]
	s_delay_alu instid0(VALU_DEP_2) | instskip(NEXT) | instid1(VALU_DEP_2)
	v_pk_fma_f16 v115, v225, v154, v115 op_sel:[0,1,0]
	v_pk_fma_f16 v78, v226, v155, v78 op_sel_hi:[1,0,1]
	s_delay_alu instid0(VALU_DEP_2) | instskip(NEXT) | instid1(VALU_DEP_2)
	v_pk_fma_f16 v115, v226, v155, v115 op_sel:[0,1,0]
	;; [unrolled: 3-line block ×63, first 2 shown]
	v_pk_fma_f16 v115, v147, v145, v0 op_sel_hi:[1,0,1]
	s_delay_alu instid0(VALU_DEP_2)
	v_pk_fma_f16 v78, v147, v145, v1 op_sel:[0,1,0]
	s_cbranch_scc0 .LBB13_9
; %bb.10:
	v_mov_b32_e32 v0, v70
.LBB13_11:
	v_cmp_lt_i32_e32 vcc_lo, v80, v72
	v_lshlrev_b32_e32 v6, 1, v33
	s_cmp_lg_u64 s[24:25], 0
	s_cselect_b32 s2, -1, 0
	v_cndmask_b32_e32 v1, v0, v80, vcc_lo
	v_cmp_lt_i32_e32 vcc_lo, v77, v72
	s_cmp_eq_u32 s14, 0
	s_cselect_b32 s3, -1, 0
	s_delay_alu instid0(VALU_DEP_2)
	v_lshlrev_b32_e32 v1, 2, v1
	s_and_b32 s2, s3, s2
	ds_bpermute_b32 v2, v1, v116
	s_waitcnt lgkmcnt(0)
	v_add_f32_e32 v2, v116, v2
	v_cndmask_b32_e32 v3, v0, v77, vcc_lo
	ds_bpermute_b32 v1, v1, v117
	v_cmp_lt_i32_e32 vcc_lo, v76, v72
	v_lshlrev_b32_e32 v3, 2, v3
	v_cndmask_b32_e32 v5, v0, v76, vcc_lo
	v_cmp_lt_i32_e32 vcc_lo, v75, v72
	ds_bpermute_b32 v4, v3, v2
	s_waitcnt lgkmcnt(0)
	v_dual_add_f32 v2, v2, v4 :: v_dual_lshlrev_b32 v5, 2, v5
	v_add_f32_e32 v1, v117, v1
	ds_bpermute_b32 v3, v3, v1
	s_waitcnt lgkmcnt(0)
	v_add_f32_e32 v1, v1, v3
	ds_bpermute_b32 v3, v5, v2
	ds_bpermute_b32 v4, v5, v1
	v_cndmask_b32_e32 v5, v0, v75, vcc_lo
	v_cmp_lt_i32_e32 vcc_lo, v73, v72
	s_delay_alu instid0(VALU_DEP_2) | instskip(SKIP_3) | instid1(VALU_DEP_1)
	v_lshlrev_b32_e32 v5, 2, v5
	v_cndmask_b32_e32 v0, v0, v73, vcc_lo
	s_and_b32 vcc_lo, exec_lo, s2
	s_mov_b32 s2, 0
	v_lshlrev_b32_e32 v0, 2, v0
	s_waitcnt lgkmcnt(0)
	v_dual_add_f32 v2, v2, v3 :: v_dual_add_f32 v1, v1, v4
	ds_bpermute_b32 v3, v5, v2
	ds_bpermute_b32 v4, v5, v1
	s_waitcnt lgkmcnt(0)
	v_dual_add_f32 v2, v2, v3 :: v_dual_add_f32 v1, v1, v4
	ds_bpermute_b32 v3, v0, v2
	ds_bpermute_b32 v4, v0, v1
	s_waitcnt lgkmcnt(0)
	v_dual_add_f32 v0, v2, v3 :: v_dual_add_f32 v1, v1, v4
	v_add_nc_u32_e32 v4, s42, v69
	s_cbranch_vccnz .LBB13_13
; %bb.12:
	s_delay_alu instid0(VALU_DEP_2) | instskip(NEXT) | instid1(VALU_DEP_3)
	v_mov_b32_e32 v3, v1
	v_dual_mov_b32 v2, v0 :: v_dual_add_nc_u32 v5, s42, v69
	s_and_not1_b32 vcc_lo, exec_lo, s2
	s_cbranch_vccz .LBB13_14
	s_branch .LBB13_15
.LBB13_13:
                                        ; implicit-def: $vgpr5
                                        ; implicit-def: $vgpr2_vgpr3
.LBB13_14:
	s_delay_alu instid0(VALU_DEP_1) | instskip(SKIP_1) | instid1(VALU_DEP_2)
	v_ashrrev_i32_e32 v5, 31, v4
	v_max_f32_e32 v8, v52, v52
	v_lshlrev_b64 v[2:3], 2, v[4:5]
	v_max_f32_e32 v5, v51, v51
	s_delay_alu instid0(VALU_DEP_2) | instskip(NEXT) | instid1(VALU_DEP_3)
	v_add_co_u32 v2, vcc_lo, s24, v2
	v_add_co_ci_u32_e32 v3, vcc_lo, s25, v3, vcc_lo
	global_load_b64 v[2:3], v[2:3], off
	s_waitcnt vmcnt(0)
	v_max_f32_e32 v9, v3, v3
	s_delay_alu instid0(VALU_DEP_1) | instskip(NEXT) | instid1(VALU_DEP_1)
	v_dual_max_f32 v7, v2, v2 :: v_dual_max_f32 v8, v8, v9
	v_sub_f32_e32 v9, v52, v8
	s_delay_alu instid0(VALU_DEP_2) | instskip(NEXT) | instid1(VALU_DEP_2)
	v_max_f32_e32 v7, v5, v7
	v_dual_sub_f32 v3, v3, v8 :: v_dual_mul_f32 v12, 0x3fb8aa3b, v9
	s_delay_alu instid0(VALU_DEP_2) | instskip(NEXT) | instid1(VALU_DEP_2)
	v_sub_f32_e32 v2, v2, v7
	v_rndne_f32_e32 v19, v12
	s_delay_alu instid0(VALU_DEP_2) | instskip(NEXT) | instid1(VALU_DEP_1)
	v_mul_f32_e32 v11, 0x3fb8aa3b, v2
	v_fma_f32 v16, 0x3fb8aa3b, v2, -v11
	v_dual_sub_f32 v5, v51, v7 :: v_dual_mov_b32 v52, v8
	s_delay_alu instid0(VALU_DEP_2) | instskip(NEXT) | instid1(VALU_DEP_2)
	v_fmac_f32_e32 v16, 0x32a5705f, v2
	v_mul_f32_e32 v10, 0x3fb8aa3b, v5
	v_cmp_ngt_f32_e32 vcc_lo, 0xc2ce8ed0, v5
	s_delay_alu instid0(VALU_DEP_2) | instskip(SKIP_1) | instid1(VALU_DEP_2)
	v_fma_f32 v14, 0x3fb8aa3b, v5, -v10
	v_rndne_f32_e32 v15, v10
	v_fmac_f32_e32 v14, 0x32a5705f, v5
	s_delay_alu instid0(VALU_DEP_2) | instskip(SKIP_4) | instid1(VALU_DEP_4)
	v_sub_f32_e32 v10, v10, v15
	v_rndne_f32_e32 v17, v11
	v_mul_f32_e32 v13, 0x3fb8aa3b, v3
	v_fma_f32 v18, 0x3fb8aa3b, v9, -v12
	v_sub_f32_e32 v12, v12, v19
	v_dual_add_f32 v10, v10, v14 :: v_dual_sub_f32 v11, v11, v17
	s_delay_alu instid0(VALU_DEP_4) | instskip(SKIP_2) | instid1(VALU_DEP_4)
	v_fma_f32 v20, 0x3fb8aa3b, v3, -v13
	v_rndne_f32_e32 v21, v13
	v_fmac_f32_e32 v18, 0x32a5705f, v9
	v_exp_f32_e32 v10, v10
	s_delay_alu instid0(VALU_DEP_3) | instskip(NEXT) | instid1(VALU_DEP_2)
	v_dual_add_f32 v11, v11, v16 :: v_dual_fmac_f32 v20, 0x32a5705f, v3
	v_dual_sub_f32 v13, v13, v21 :: v_dual_add_f32 v12, v12, v18
	v_cvt_i32_f32_e32 v14, v15
	s_delay_alu instid0(VALU_DEP_3) | instskip(SKIP_1) | instid1(VALU_DEP_3)
	v_exp_f32_e32 v11, v11
	v_cvt_i32_f32_e32 v15, v17
	v_add_f32_e32 v13, v13, v20
	v_exp_f32_e32 v12, v12
	s_delay_alu instid0(TRANS32_DEP_3) | instskip(SKIP_3) | instid1(TRANS32_DEP_3)
	v_ldexp_f32 v10, v10, v14
	v_cvt_i32_f32_e32 v16, v19
	v_cvt_i32_f32_e32 v17, v21
	v_exp_f32_e32 v13, v13
	v_ldexp_f32 v11, v11, v15
	v_cndmask_b32_e32 v10, 0, v10, vcc_lo
	v_cmp_ngt_f32_e32 vcc_lo, 0xc2ce8ed0, v2
	s_delay_alu instid0(TRANS32_DEP_2) | instskip(NEXT) | instid1(VALU_DEP_4)
	v_ldexp_f32 v12, v12, v16
	v_cndmask_b32_e32 v11, 0, v11, vcc_lo
	v_cmp_ngt_f32_e32 vcc_lo, 0xc2ce8ed0, v9
	s_delay_alu instid0(TRANS32_DEP_1) | instskip(NEXT) | instid1(VALU_DEP_4)
	v_ldexp_f32 v13, v13, v17
	v_cndmask_b32_e32 v12, 0, v12, vcc_lo
	v_cmp_ngt_f32_e32 vcc_lo, 0xc2ce8ed0, v3
	s_delay_alu instid0(VALU_DEP_3) | instskip(SKIP_3) | instid1(VALU_DEP_2)
	v_cndmask_b32_e32 v13, 0, v13, vcc_lo
	v_cmp_nlt_f32_e32 vcc_lo, 0x42b17218, v5
	v_dual_mov_b32 v5, v4 :: v_dual_cndmask_b32 v10, 0x7f800000, v10
	v_cmp_nlt_f32_e32 vcc_lo, 0x42b17218, v2
	v_cvt_f16_f32_e32 v4, v10
	v_cndmask_b32_e32 v2, 0x7f800000, v11, vcc_lo
	v_cmp_nlt_f32_e32 vcc_lo, 0x42b17218, v9
	s_delay_alu instid0(VALU_DEP_3) | instskip(SKIP_3) | instid1(VALU_DEP_1)
	v_pk_mul_f16 v115, v115, v4 op_sel_hi:[1,0]
	v_cndmask_b32_e32 v9, 0x7f800000, v12, vcc_lo
	v_cmp_nlt_f32_e32 vcc_lo, 0x42b17218, v3
	v_cndmask_b32_e32 v3, 0x7f800000, v13, vcc_lo
	v_dual_fmac_f32 v3, v1, v9 :: v_dual_fmac_f32 v2, v0, v10
	v_cvt_f16_f32_e32 v11, v9
	v_mov_b32_e32 v51, v7
	s_delay_alu instid0(VALU_DEP_3) | instskip(NEXT) | instid1(VALU_DEP_3)
	v_dual_mov_b32 v1, v3 :: v_dual_mov_b32 v0, v2
	v_pk_mul_f16 v78, v78, v11 op_sel_hi:[1,0]
.LBB13_15:
	s_load_b32 s1, s[0:1], 0xd4
	v_mov_b32_e32 v7, 1.0
	s_waitcnt lgkmcnt(0)
	s_cmp_lg_u32 s1, 1
	s_cselect_b32 s3, -1, 0
	s_cmp_eq_u32 s1, 1
	s_cselect_b32 s2, -1, 0
	s_and_b32 vcc_lo, exec_lo, s3
	s_cbranch_vccnz .LBB13_17
; %bb.16:
	v_div_scale_f32 v4, null, v0, v0, 1.0
	s_delay_alu instid0(VALU_DEP_1) | instskip(SKIP_2) | instid1(VALU_DEP_1)
	v_rcp_f32_e32 v7, v4
	s_waitcnt_depctr 0xfff
	v_fma_f32 v8, -v4, v7, 1.0
	v_fmac_f32_e32 v7, v8, v7
	v_div_scale_f32 v8, vcc_lo, 1.0, v0, 1.0
	s_delay_alu instid0(VALU_DEP_1) | instskip(NEXT) | instid1(VALU_DEP_1)
	v_mul_f32_e32 v9, v8, v7
	v_fma_f32 v10, -v4, v9, v8
	s_delay_alu instid0(VALU_DEP_1) | instskip(NEXT) | instid1(VALU_DEP_1)
	v_fmac_f32_e32 v9, v10, v7
	v_fma_f32 v4, -v4, v9, v8
	s_delay_alu instid0(VALU_DEP_1) | instskip(NEXT) | instid1(VALU_DEP_1)
	v_div_fmas_f32 v4, v4, v7, v9
	v_div_fixup_f32 v7, v4, v0, 1.0
.LBB13_17:
	v_mad_u64_u32 v[8:9], null, s33, s38, v[32:33]
	v_lshrrev_b32_e32 v0, 16, v115
	v_cmp_eq_u32_e32 vcc_lo, 0, v33
	s_delay_alu instid0(VALU_DEP_2) | instskip(NEXT) | instid1(VALU_DEP_4)
	v_cvt_f32_f16_e32 v0, v0
	v_mad_u64_u32 v[9:10], null, v8, s39, v[5:6]
	s_delay_alu instid0(VALU_DEP_2) | instskip(NEXT) | instid1(VALU_DEP_2)
	v_mul_f32_e32 v11, v7, v0
	v_mad_u64_u32 v[4:5], null, s1, v9, s[14:15]
	v_cvt_f32_f16_e32 v5, v115
	s_delay_alu instid0(VALU_DEP_1) | instskip(NEXT) | instid1(VALU_DEP_3)
	v_dual_mov_b32 v9, 0 :: v_dual_mul_f32 v10, v7, v5
	v_lshl_add_u32 v8, v4, 6, v6
	s_delay_alu instid0(VALU_DEP_1) | instskip(NEXT) | instid1(VALU_DEP_1)
	v_lshlrev_b64 v[8:9], 2, v[8:9]
	v_add_co_u32 v7, s0, s28, v8
	s_delay_alu instid0(VALU_DEP_1)
	v_add_co_ci_u32_e64 v8, s0, s29, v9, s0
	s_and_b32 s0, vcc_lo, s3
	global_store_b64 v[7:8], v[10:11], off
	s_and_saveexec_b32 s3, s0
	s_cbranch_execz .LBB13_19
; %bb.18:
	v_ashrrev_i32_e32 v5, 31, v4
	v_dual_mov_b32 v9, v51 :: v_dual_mov_b32 v10, v2
	s_delay_alu instid0(VALU_DEP_2) | instskip(NEXT) | instid1(VALU_DEP_1)
	v_lshlrev_b64 v[7:8], 3, v[4:5]
	v_add_co_u32 v7, vcc_lo, s30, v7
	s_delay_alu instid0(VALU_DEP_2)
	v_add_co_ci_u32_e32 v8, vcc_lo, s31, v8, vcc_lo
	global_store_b64 v[7:8], v[9:10], off
.LBB13_19:
	s_or_b32 exec_lo, exec_lo, s3
	v_mov_b32_e32 v2, 1.0
	s_and_not1_b32 vcc_lo, exec_lo, s2
	s_cbranch_vccnz .LBB13_21
; %bb.20:
	v_div_scale_f32 v0, null, v1, v1, 1.0
	s_delay_alu instid0(VALU_DEP_1) | instskip(SKIP_2) | instid1(VALU_DEP_1)
	v_rcp_f32_e32 v2, v0
	s_waitcnt_depctr 0xfff
	v_fma_f32 v5, -v0, v2, 1.0
	v_fmac_f32_e32 v2, v5, v2
	v_div_scale_f32 v5, vcc_lo, 1.0, v1, 1.0
	s_delay_alu instid0(VALU_DEP_1) | instskip(NEXT) | instid1(VALU_DEP_1)
	v_mul_f32_e32 v7, v5, v2
	v_fma_f32 v8, -v0, v7, v5
	s_delay_alu instid0(VALU_DEP_1) | instskip(NEXT) | instid1(VALU_DEP_1)
	v_fmac_f32_e32 v7, v8, v2
	v_fma_f32 v0, -v0, v7, v5
	s_delay_alu instid0(VALU_DEP_1) | instskip(NEXT) | instid1(VALU_DEP_1)
	v_div_fmas_f32 v0, v0, v2, v7
	v_div_fixup_f32 v2, v0, v1, 1.0
.LBB13_21:
	v_dual_mov_b32 v5, 0 :: v_dual_add_nc_u32 v0, s1, v4
	v_lshrrev_b32_e32 v1, 16, v78
	s_delay_alu instid0(VALU_DEP_2) | instskip(SKIP_1) | instid1(VALU_DEP_3)
	v_lshl_add_u32 v4, v0, 6, v6
	v_cvt_f32_f16_e32 v6, v78
	v_cvt_f32_f16_e32 v7, v1
	s_delay_alu instid0(VALU_DEP_3) | instskip(NEXT) | instid1(VALU_DEP_3)
	v_lshlrev_b64 v[4:5], 2, v[4:5]
	v_mul_f32_e32 v1, v2, v6
	s_delay_alu instid0(VALU_DEP_3) | instskip(NEXT) | instid1(VALU_DEP_3)
	v_mul_f32_e32 v2, v2, v7
	v_add_co_u32 v4, vcc_lo, s28, v4
	s_delay_alu instid0(VALU_DEP_4)
	v_add_co_ci_u32_e32 v5, vcc_lo, s29, v5, vcc_lo
	global_store_b64 v[4:5], v[1:2], off
	s_and_saveexec_b32 s1, s0
	s_cbranch_execz .LBB13_23
; %bb.22:
	v_ashrrev_i32_e32 v1, 31, v0
	v_mov_b32_e32 v2, v52
	s_delay_alu instid0(VALU_DEP_2) | instskip(NEXT) | instid1(VALU_DEP_1)
	v_lshlrev_b64 v[0:1], 3, v[0:1]
	v_add_co_u32 v0, vcc_lo, s30, v0
	s_delay_alu instid0(VALU_DEP_2)
	v_add_co_ci_u32_e32 v1, vcc_lo, s31, v1, vcc_lo
	global_store_b64 v[0:1], v[2:3], off
.LBB13_23:
	s_nop 0
	s_sendmsg sendmsg(MSG_DEALLOC_VGPRS)
	s_endpgm
	.section	.rodata,"a",@progbits
	.p2align	6, 0x0
	.amdhsa_kernel _ZL15flash_attn_tileILi64ELi64ELi1ELi8ELb0EEvPKcS1_S1_S1_S1_PKiPfP15HIP_vector_typeIfLj2EEffffjfiS5_IjLj3EEiiiiiiiiiiiliiliiiiil
		.amdhsa_group_segment_fixed_size 21504
		.amdhsa_private_segment_fixed_size 0
		.amdhsa_kernarg_size 464
		.amdhsa_user_sgpr_count 13
		.amdhsa_user_sgpr_dispatch_ptr 0
		.amdhsa_user_sgpr_queue_ptr 0
		.amdhsa_user_sgpr_kernarg_segment_ptr 1
		.amdhsa_user_sgpr_dispatch_id 0
		.amdhsa_user_sgpr_private_segment_size 0
		.amdhsa_wavefront_size32 1
		.amdhsa_uses_dynamic_stack 0
		.amdhsa_enable_private_segment 0
		.amdhsa_system_sgpr_workgroup_id_x 1
		.amdhsa_system_sgpr_workgroup_id_y 1
		.amdhsa_system_sgpr_workgroup_id_z 1
		.amdhsa_system_sgpr_workgroup_info 0
		.amdhsa_system_vgpr_workitem_id 1
		.amdhsa_next_free_vgpr 237
		.amdhsa_next_free_sgpr 45
		.amdhsa_reserve_vcc 1
		.amdhsa_float_round_mode_32 0
		.amdhsa_float_round_mode_16_64 0
		.amdhsa_float_denorm_mode_32 3
		.amdhsa_float_denorm_mode_16_64 3
		.amdhsa_dx10_clamp 1
		.amdhsa_ieee_mode 1
		.amdhsa_fp16_overflow 0
		.amdhsa_workgroup_processor_mode 1
		.amdhsa_memory_ordered 1
		.amdhsa_forward_progress 0
		.amdhsa_shared_vgpr_count 0
		.amdhsa_exception_fp_ieee_invalid_op 0
		.amdhsa_exception_fp_denorm_src 0
		.amdhsa_exception_fp_ieee_div_zero 0
		.amdhsa_exception_fp_ieee_overflow 0
		.amdhsa_exception_fp_ieee_underflow 0
		.amdhsa_exception_fp_ieee_inexact 0
		.amdhsa_exception_int_div_zero 0
	.end_amdhsa_kernel
	.section	.text._ZL15flash_attn_tileILi64ELi64ELi1ELi8ELb0EEvPKcS1_S1_S1_S1_PKiPfP15HIP_vector_typeIfLj2EEffffjfiS5_IjLj3EEiiiiiiiiiiiliiliiiiil,"axG",@progbits,_ZL15flash_attn_tileILi64ELi64ELi1ELi8ELb0EEvPKcS1_S1_S1_S1_PKiPfP15HIP_vector_typeIfLj2EEffffjfiS5_IjLj3EEiiiiiiiiiiiliiliiiiil,comdat
.Lfunc_end13:
	.size	_ZL15flash_attn_tileILi64ELi64ELi1ELi8ELb0EEvPKcS1_S1_S1_S1_PKiPfP15HIP_vector_typeIfLj2EEffffjfiS5_IjLj3EEiiiiiiiiiiiliiliiiiil, .Lfunc_end13-_ZL15flash_attn_tileILi64ELi64ELi1ELi8ELb0EEvPKcS1_S1_S1_S1_PKiPfP15HIP_vector_typeIfLj2EEffffjfiS5_IjLj3EEiiiiiiiiiiiliiliiiiil
                                        ; -- End function
	.section	.AMDGPU.csdata,"",@progbits
; Kernel info:
; codeLenInByte = 15272
; NumSgprs: 47
; NumVgprs: 237
; ScratchSize: 0
; MemoryBound: 0
; FloatMode: 240
; IeeeMode: 1
; LDSByteSize: 21504 bytes/workgroup (compile time only)
; SGPRBlocks: 5
; VGPRBlocks: 29
; NumSGPRsForWavesPerEU: 47
; NumVGPRsForWavesPerEU: 237
; Occupancy: 6
; WaveLimiterHint : 1
; COMPUTE_PGM_RSRC2:SCRATCH_EN: 0
; COMPUTE_PGM_RSRC2:USER_SGPR: 13
; COMPUTE_PGM_RSRC2:TRAP_HANDLER: 0
; COMPUTE_PGM_RSRC2:TGID_X_EN: 1
; COMPUTE_PGM_RSRC2:TGID_Y_EN: 1
; COMPUTE_PGM_RSRC2:TGID_Z_EN: 1
; COMPUTE_PGM_RSRC2:TIDIG_COMP_CNT: 1
	.section	.text._ZL25flash_attn_mask_to_KV_maxILi1EEvPK7__half2Piiii,"axG",@progbits,_ZL25flash_attn_mask_to_KV_maxILi1EEvPK7__half2Piiii,comdat
	.globl	_ZL25flash_attn_mask_to_KV_maxILi1EEvPK7__half2Piiii ; -- Begin function _ZL25flash_attn_mask_to_KV_maxILi1EEvPK7__half2Piiii
	.p2align	8
	.type	_ZL25flash_attn_mask_to_KV_maxILi1EEvPK7__half2Piiii,@function
_ZL25flash_attn_mask_to_KV_maxILi1EEvPK7__half2Piiii: ; @_ZL25flash_attn_mask_to_KV_maxILi1EEvPK7__half2Piiii
; %bb.0:
	s_load_b128 s[4:7], s[0:1], 0x0
	s_mov_b32 s2, exec_lo
	v_cmpx_gt_u32_e32 32, v0
	s_cbranch_execz .LBB14_2
; %bb.1:
	v_dual_mov_b32 v2, 1 :: v_dual_lshlrev_b32 v1, 2, v0
	ds_store_b32 v1, v2
.LBB14_2:
	s_or_b32 exec_lo, exec_lo, s2
	s_clause 0x1
	s_load_b128 s[8:11], s[0:1], 0x10
	s_load_b32 s1, s[0:1], 0x20
	v_dual_mov_b32 v2, 0 :: v_dual_and_b32 v1, 31, v0
	v_lshrrev_b32_e32 v3, 3, v0
	s_waitcnt lgkmcnt(0)
	s_barrier
	s_delay_alu instid0(VALU_DEP_2) | instskip(SKIP_3) | instid1(SALU_CYCLE_1)
	v_lshlrev_b32_e32 v4, 2, v1
	buffer_gl0_inv
	s_mul_i32 s0, s15, s10
	s_mul_i32 s2, s14, s9
	s_add_i32 s2, s0, s2
	v_cmp_eq_u32_e64 s0, 0, v1
	s_ashr_i32 s3, s2, 31
	s_delay_alu instid0(SALU_CYCLE_1) | instskip(NEXT) | instid1(SALU_CYCLE_1)
	s_lshl_b64 s[10:11], s[2:3], 2
	s_add_u32 s3, s4, s10
	s_addc_u32 s4, s5, s11
	s_lshl_b32 s5, s8, 8
	s_branch .LBB14_4
	.p2align	6
.LBB14_3:                               ;   in Loop: Header=BB14_4 Depth=1
	s_or_b32 exec_lo, exec_lo, s9
	s_waitcnt lgkmcnt(0)
	s_barrier
	buffer_gl0_inv
	ds_load_b32 v1, v4
	s_waitcnt lgkmcnt(0)
	s_barrier
	buffer_gl0_inv
	;;#ASMSTART
	;;#ASMEND
	v_cmp_ne_u32_e32 vcc_lo, 0, v1
	s_cmp_lg_u32 vcc_lo, exec_lo
	s_cselect_b32 s8, -1, 0
	s_delay_alu instid0(SALU_CYCLE_1)
	s_and_b32 vcc_lo, exec_lo, s8
	s_cbranch_vccnz .LBB14_8
.LBB14_4:                               ; =>This Inner Loop Header: Depth=1
	s_mov_b32 s2, s5
	s_addk_i32 s5, 0xff00
	s_delay_alu instid0(SALU_CYCLE_1)
	s_cmp_lt_i32 s5, 0
	s_cbranch_scc1 .LBB14_7
; %bb.5:                                ;   in Loop: Header=BB14_4 Depth=1
	s_lshr_b32 s9, s5, 1
	s_mov_b32 s8, exec_lo
	v_add_nc_u32_e32 v1, s9, v0
	s_delay_alu instid0(VALU_DEP_1) | instskip(NEXT) | instid1(VALU_DEP_1)
	v_lshlrev_b64 v[5:6], 2, v[1:2]
	v_add_co_u32 v5, vcc_lo, s3, v5
	s_delay_alu instid0(VALU_DEP_2) | instskip(SKIP_4) | instid1(VALU_DEP_2)
	v_add_co_ci_u32_e32 v6, vcc_lo, s4, v6, vcc_lo
	global_load_b32 v1, v[5:6], off
	s_waitcnt vmcnt(0)
	v_lshrrev_b32_e32 v5, 16, v1
	v_cmp_class_f16_e64 s9, v1, 0x204
	v_and_b32_e32 v5, 0x7fff, v5
	s_delay_alu instid0(VALU_DEP_1) | instskip(NEXT) | instid1(VALU_DEP_3)
	v_cmp_eq_f16_e32 vcc_lo, 0x7c00, v5
	s_and_b32 s9, s9, vcc_lo
	s_delay_alu instid0(SALU_CYCLE_1) | instskip(SKIP_1) | instid1(VALU_DEP_1)
	v_cndmask_b32_e64 v1, 0, 1, s9
	;;#ASMSTART
	;;#ASMEND
	v_cmp_ne_u32_e32 vcc_lo, 0, v1
	s_and_saveexec_b32 s9, s0
	s_cbranch_execz .LBB14_3
; %bb.6:                                ;   in Loop: Header=BB14_4 Depth=1
	s_cmp_eq_u32 vcc_lo, s8
	s_cselect_b32 s8, -1, 0
	s_delay_alu instid0(SALU_CYCLE_1)
	v_cndmask_b32_e64 v1, 0, 1, s8
	ds_store_b32 v3, v1
	s_branch .LBB14_3
.LBB14_7:                               ;   in Loop: Header=BB14_4 Depth=1
                                        ; implicit-def: $sgpr5
	s_cbranch_execz .LBB14_4
.LBB14_8:
	s_mov_b32 s0, exec_lo
	v_cmpx_eq_u32_e32 0, v0
	s_cbranch_execz .LBB14_10
; %bb.9:
	s_mul_i32 s0, s1, s15
	v_dual_mov_b32 v0, 0 :: v_dual_mov_b32 v1, s2
	s_add_i32 s0, s0, s14
	s_delay_alu instid0(SALU_CYCLE_1) | instskip(NEXT) | instid1(SALU_CYCLE_1)
	s_ashr_i32 s1, s0, 31
	s_lshl_b64 s[0:1], s[0:1], 2
	s_delay_alu instid0(SALU_CYCLE_1)
	s_add_u32 s0, s6, s0
	s_addc_u32 s1, s7, s1
	global_store_b32 v0, v1, s[0:1]
.LBB14_10:
	s_nop 0
	s_sendmsg sendmsg(MSG_DEALLOC_VGPRS)
	s_endpgm
	.section	.rodata,"a",@progbits
	.p2align	6, 0x0
	.amdhsa_kernel _ZL25flash_attn_mask_to_KV_maxILi1EEvPK7__half2Piiii
		.amdhsa_group_segment_fixed_size 128
		.amdhsa_private_segment_fixed_size 0
		.amdhsa_kernarg_size 288
		.amdhsa_user_sgpr_count 14
		.amdhsa_user_sgpr_dispatch_ptr 0
		.amdhsa_user_sgpr_queue_ptr 0
		.amdhsa_user_sgpr_kernarg_segment_ptr 1
		.amdhsa_user_sgpr_dispatch_id 0
		.amdhsa_user_sgpr_private_segment_size 0
		.amdhsa_wavefront_size32 1
		.amdhsa_uses_dynamic_stack 0
		.amdhsa_enable_private_segment 0
		.amdhsa_system_sgpr_workgroup_id_x 1
		.amdhsa_system_sgpr_workgroup_id_y 1
		.amdhsa_system_sgpr_workgroup_id_z 0
		.amdhsa_system_sgpr_workgroup_info 0
		.amdhsa_system_vgpr_workitem_id 0
		.amdhsa_next_free_vgpr 7
		.amdhsa_next_free_sgpr 16
		.amdhsa_reserve_vcc 1
		.amdhsa_float_round_mode_32 0
		.amdhsa_float_round_mode_16_64 0
		.amdhsa_float_denorm_mode_32 3
		.amdhsa_float_denorm_mode_16_64 3
		.amdhsa_dx10_clamp 1
		.amdhsa_ieee_mode 1
		.amdhsa_fp16_overflow 0
		.amdhsa_workgroup_processor_mode 1
		.amdhsa_memory_ordered 1
		.amdhsa_forward_progress 0
		.amdhsa_shared_vgpr_count 0
		.amdhsa_exception_fp_ieee_invalid_op 0
		.amdhsa_exception_fp_denorm_src 0
		.amdhsa_exception_fp_ieee_div_zero 0
		.amdhsa_exception_fp_ieee_overflow 0
		.amdhsa_exception_fp_ieee_underflow 0
		.amdhsa_exception_fp_ieee_inexact 0
		.amdhsa_exception_int_div_zero 0
	.end_amdhsa_kernel
	.section	.text._ZL25flash_attn_mask_to_KV_maxILi1EEvPK7__half2Piiii,"axG",@progbits,_ZL25flash_attn_mask_to_KV_maxILi1EEvPK7__half2Piiii,comdat
.Lfunc_end14:
	.size	_ZL25flash_attn_mask_to_KV_maxILi1EEvPK7__half2Piiii, .Lfunc_end14-_ZL25flash_attn_mask_to_KV_maxILi1EEvPK7__half2Piiii
                                        ; -- End function
	.section	.AMDGPU.csdata,"",@progbits
; Kernel info:
; codeLenInByte = 456
; NumSgprs: 18
; NumVgprs: 7
; ScratchSize: 0
; MemoryBound: 0
; FloatMode: 240
; IeeeMode: 1
; LDSByteSize: 128 bytes/workgroup (compile time only)
; SGPRBlocks: 2
; VGPRBlocks: 0
; NumSGPRsForWavesPerEU: 18
; NumVGPRsForWavesPerEU: 7
; Occupancy: 16
; WaveLimiterHint : 0
; COMPUTE_PGM_RSRC2:SCRATCH_EN: 0
; COMPUTE_PGM_RSRC2:USER_SGPR: 14
; COMPUTE_PGM_RSRC2:TRAP_HANDLER: 0
; COMPUTE_PGM_RSRC2:TGID_X_EN: 1
; COMPUTE_PGM_RSRC2:TGID_Y_EN: 1
; COMPUTE_PGM_RSRC2:TGID_Z_EN: 0
; COMPUTE_PGM_RSRC2:TIDIG_COMP_CNT: 0
	.section	.text._ZL33flash_attn_stream_k_fixup_uniformILi64ELi1ELi8EEvPfPK15HIP_vector_typeIfLj2EEiiiiiiS1_IjLj3EES5_S5_,"axG",@progbits,_ZL33flash_attn_stream_k_fixup_uniformILi64ELi1ELi8EEvPfPK15HIP_vector_typeIfLj2EEiiiiiiS1_IjLj3EES5_S5_,comdat
	.globl	_ZL33flash_attn_stream_k_fixup_uniformILi64ELi1ELi8EEvPfPK15HIP_vector_typeIfLj2EEiiiiiiS1_IjLj3EES5_S5_ ; -- Begin function _ZL33flash_attn_stream_k_fixup_uniformILi64ELi1ELi8EEvPfPK15HIP_vector_typeIfLj2EEiiiiiiS1_IjLj3EES5_S5_
	.p2align	8
	.type	_ZL33flash_attn_stream_k_fixup_uniformILi64ELi1ELi8EEvPfPK15HIP_vector_typeIfLj2EEiiiiiiS1_IjLj3EES5_S5_,@function
_ZL33flash_attn_stream_k_fixup_uniformILi64ELi1ELi8EEvPfPK15HIP_vector_typeIfLj2EEiiiiiiS1_IjLj3EES5_S5_: ; @_ZL33flash_attn_stream_k_fixup_uniformILi64ELi1ELi8EEvPfPK15HIP_vector_typeIfLj2EEiiiiiiS1_IjLj3EES5_S5_
; %bb.0:
	s_clause 0x1
	s_load_b256 s[4:11], s[0:1], 0x1c
	s_load_b128 s[16:19], s[0:1], 0x3c
	s_waitcnt lgkmcnt(0)
	s_mul_hi_u32 s2, s7, s13
	s_delay_alu instid0(SALU_CYCLE_1) | instskip(NEXT) | instid1(SALU_CYCLE_1)
	s_add_i32 s2, s13, s2
	s_lshr_b32 s7, s2, s8
	s_delay_alu instid0(SALU_CYCLE_1) | instskip(SKIP_2) | instid1(SALU_CYCLE_1)
	s_mul_i32 s2, s7, s9
	s_load_b64 s[8:9], s[0:1], 0x10
	s_sub_i32 s2, s13, s2
	s_mul_hi_u32 s3, s2, s10
	s_delay_alu instid0(SALU_CYCLE_1) | instskip(NEXT) | instid1(SALU_CYCLE_1)
	s_add_i32 s3, s2, s3
	s_lshr_b32 s10, s3, s11
	s_delay_alu instid0(SALU_CYCLE_1) | instskip(NEXT) | instid1(SALU_CYCLE_1)
	s_mul_i32 s3, s10, s16
	s_sub_i32 s2, s2, s3
	s_delay_alu instid0(SALU_CYCLE_1) | instskip(NEXT) | instid1(SALU_CYCLE_1)
	s_mul_hi_u32 s3, s2, s17
	s_add_i32 s3, s2, s3
	s_delay_alu instid0(SALU_CYCLE_1) | instskip(NEXT) | instid1(SALU_CYCLE_1)
	s_lshr_b32 s3, s3, s18
	s_mul_i32 s11, s3, s19
	s_lshl_b32 s12, s3, 3
	s_sub_i32 s11, s2, s11
	s_delay_alu instid0(SALU_CYCLE_1) | instskip(SKIP_4) | instid1(SALU_CYCLE_1)
	s_add_i32 s11, s11, s14
	s_waitcnt lgkmcnt(0)
	s_cmp_lt_i32 s11, s8
	s_cselect_b32 s2, -1, 0
	s_add_i32 s12, s12, s15
	s_cmp_lt_i32 s12, s5
	s_cselect_b32 s3, -1, 0
	s_delay_alu instid0(SALU_CYCLE_1) | instskip(NEXT) | instid1(SALU_CYCLE_1)
	s_and_b32 s2, s2, s3
	s_and_not1_b32 vcc_lo, exec_lo, s2
	s_cbranch_vccnz .LBB15_6
; %bb.1:
	s_mul_i32 s7, s7, s8
	s_mul_i32 s10, s10, s5
	s_add_i32 s5, s11, s7
	s_load_b128 s[0:3], s[0:1], 0x0
	s_add_i32 s7, s12, s10
	s_mul_i32 s5, s5, s9
	s_delay_alu instid0(SALU_CYCLE_1) | instskip(SKIP_3) | instid1(VALU_DEP_1)
	s_add_i32 s7, s7, s5
	s_mul_i32 s5, s13, s6
	v_lshl_or_b32 v1, s7, 6, v0
	s_add_i32 s9, s5, s6
	v_ashrrev_i32_e32 v2, 31, v1
	s_delay_alu instid0(VALU_DEP_1) | instskip(SKIP_1) | instid1(VALU_DEP_1)
	v_lshlrev_b64 v[1:2], 2, v[1:2]
	s_waitcnt lgkmcnt(0)
	v_add_co_u32 v1, vcc_lo, s0, v1
	s_delay_alu instid0(VALU_DEP_2) | instskip(SKIP_1) | instid1(SALU_CYCLE_1)
	v_add_co_ci_u32_e32 v2, vcc_lo, s1, v2, vcc_lo
	s_add_i32 s0, s14, s9
	s_lshl_b32 s0, s0, 3
	global_load_b32 v5, v[1:2], off
	s_add_i32 s0, s0, s15
	s_delay_alu instid0(SALU_CYCLE_1) | instskip(NEXT) | instid1(SALU_CYCLE_1)
	s_add_i32 s0, s0, -8
	s_ashr_i32 s1, s0, 31
	s_delay_alu instid0(SALU_CYCLE_1) | instskip(NEXT) | instid1(SALU_CYCLE_1)
	s_lshl_b64 s[0:1], s[0:1], 3
	s_add_u32 s0, s2, s0
	s_addc_u32 s1, s3, s1
	s_add_i32 s7, s9, -2
	s_load_b32 s10, s[0:1], 0x4
	s_cmp_lt_i32 s7, s5
	s_cbranch_scc1 .LBB15_4
; %bb.2:
	s_lshl_b32 s16, s4, 5
	s_load_b32 s11, s[0:1], 0x0
	s_ashr_i32 s17, s16, 31
	s_delay_alu instid0(SALU_CYCLE_1) | instskip(NEXT) | instid1(SALU_CYCLE_1)
	s_lshl_b64 s[0:1], s[16:17], 2
	s_add_u32 s7, s2, s0
	s_addc_u32 s8, s3, s1
	s_add_i32 s13, s13, 1
	s_lshl_b32 s0, s15, 6
	s_lshl_b32 s1, s14, 9
	s_mul_i32 s6, s6, s13
	s_add_i32 s0, s0, s1
	s_lshl_b32 s1, s6, 9
	s_delay_alu instid0(SALU_CYCLE_1)
	s_add_i32 s0, s0, s1
	s_add_i32 s1, s14, s4
	v_or_b32_e32 v0, s0, v0
	s_add_i32 s1, s1, s9
	s_waitcnt lgkmcnt(0)
	v_mov_b32_e32 v6, s10
	s_lshl_b32 s0, s1, 3
	s_add_i32 s4, s9, -1
	v_dual_mov_b32 v0, s11 :: v_dual_add_nc_u32 v3, 0xfffffc00, v0
	s_add_i32 s0, s15, s0
	s_delay_alu instid0(SALU_CYCLE_1)
	s_add_i32 s0, s0, -16
.LBB15_3:                               ; =>This Inner Loop Header: Depth=1
	s_delay_alu instid0(VALU_DEP_1) | instskip(SKIP_1) | instid1(SALU_CYCLE_1)
	v_ashrrev_i32_e32 v4, 31, v3
	s_ashr_i32 s1, s0, 31
	s_lshl_b64 s[10:11], s[0:1], 3
	s_delay_alu instid0(SALU_CYCLE_1) | instskip(NEXT) | instid1(VALU_DEP_1)
	s_add_u32 s10, s2, s10
	v_lshlrev_b64 v[7:8], 2, v[3:4]
	s_addc_u32 s11, s3, s11
	s_add_i32 s4, s4, -1
	s_add_i32 s0, s0, -8
	s_cmp_le_i32 s4, s5
	s_load_b64 s[10:11], s[10:11], 0x0
	v_add_co_u32 v7, vcc_lo, s7, v7
	v_add_co_ci_u32_e32 v8, vcc_lo, s8, v8, vcc_lo
	global_load_b32 v4, v[7:8], off
	v_max_f32_e32 v7, v0, v0
	s_waitcnt lgkmcnt(0)
	v_max_f32_e64 v8, s10, s10
	s_delay_alu instid0(VALU_DEP_1) | instskip(NEXT) | instid1(VALU_DEP_1)
	v_max_f32_e32 v7, v7, v8
	v_sub_f32_e32 v8, s10, v7
	s_delay_alu instid0(VALU_DEP_1) | instskip(NEXT) | instid1(VALU_DEP_1)
	v_dual_sub_f32 v0, v0, v7 :: v_dual_mul_f32 v9, 0x3fb8aa3b, v8
	v_fma_f32 v10, 0x3fb8aa3b, v8, -v9
	v_rndne_f32_e32 v11, v9
	s_delay_alu instid0(VALU_DEP_3) | instskip(NEXT) | instid1(VALU_DEP_2)
	v_mul_f32_e32 v12, 0x3fb8aa3b, v0
	v_dual_fmac_f32 v10, 0x32a5705f, v8 :: v_dual_sub_f32 v9, v9, v11
	v_cvt_i32_f32_e32 v11, v11
	s_delay_alu instid0(VALU_DEP_3) | instskip(SKIP_1) | instid1(VALU_DEP_4)
	v_fma_f32 v13, 0x3fb8aa3b, v0, -v12
	v_rndne_f32_e32 v14, v12
	v_add_f32_e32 v9, v9, v10
	v_cmp_ngt_f32_e32 vcc_lo, 0xc2ce8ed0, v8
	s_delay_alu instid0(VALU_DEP_3) | instskip(NEXT) | instid1(VALU_DEP_3)
	v_sub_f32_e32 v10, v12, v14
	v_exp_f32_e32 v9, v9
	s_waitcnt_depctr 0xfff
	v_ldexp_f32 v9, v9, v11
	v_cvt_i32_f32_e32 v11, v14
	s_delay_alu instid0(VALU_DEP_2) | instskip(SKIP_1) | instid1(VALU_DEP_2)
	v_cndmask_b32_e32 v9, 0, v9, vcc_lo
	v_cmp_nlt_f32_e32 vcc_lo, 0x42b17218, v8
	v_cndmask_b32_e32 v9, 0x7f800000, v9, vcc_lo
	v_cmp_ngt_f32_e32 vcc_lo, 0xc2ce8ed0, v0
	v_fmac_f32_e32 v13, 0x32a5705f, v0
	s_delay_alu instid0(VALU_DEP_1) | instskip(NEXT) | instid1(VALU_DEP_1)
	v_add_f32_e32 v10, v10, v13
	v_exp_f32_e32 v10, v10
	s_waitcnt_depctr 0xfff
	v_ldexp_f32 v10, v10, v11
	s_delay_alu instid0(VALU_DEP_1)
	v_dual_mov_b32 v11, v6 :: v_dual_cndmask_b32 v10, 0, v10
	v_cmp_le_f32_e32 vcc_lo, 0xc1a00000, v8
	s_waitcnt vmcnt(1)
	v_dual_cndmask_b32 v8, 0, v9 :: v_dual_mov_b32 v9, v5
	v_cmp_nlt_f32_e32 vcc_lo, 0x42b17218, v0
	v_cndmask_b32_e32 v5, 0x7f800000, v10, vcc_lo
	s_delay_alu instid0(VALU_DEP_3) | instskip(SKIP_2) | instid1(VALU_DEP_3)
	v_mul_f32_e32 v10, s11, v8
	v_cmp_le_f32_e32 vcc_lo, 0xc1a00000, v0
	v_mov_b32_e32 v0, v7
	v_mov_b32_e32 v6, v10
	s_waitcnt vmcnt(0)
	v_dual_cndmask_b32 v12, 0, v5 :: v_dual_mul_f32 v5, v4, v8
	s_delay_alu instid0(VALU_DEP_1) | instskip(NEXT) | instid1(VALU_DEP_2)
	v_dual_fmac_f32 v6, v11, v12 :: v_dual_add_nc_u32 v3, 0xfffffe00, v3
	v_fmac_f32_e32 v5, v9, v12
	s_cbranch_scc0 .LBB15_3
	s_branch .LBB15_5
.LBB15_4:
	s_waitcnt lgkmcnt(0)
	v_mov_b32_e32 v6, s10
.LBB15_5:
	s_waitcnt vmcnt(0)
	s_delay_alu instid0(VALU_DEP_1) | instskip(NEXT) | instid1(VALU_DEP_1)
	v_div_scale_f32 v0, null, v6, v6, v5
	v_rcp_f32_e32 v3, v0
	s_waitcnt_depctr 0xfff
	v_fma_f32 v4, -v0, v3, 1.0
	s_delay_alu instid0(VALU_DEP_1) | instskip(SKIP_1) | instid1(VALU_DEP_1)
	v_fmac_f32_e32 v3, v4, v3
	v_div_scale_f32 v4, vcc_lo, v5, v6, v5
	v_mul_f32_e32 v7, v4, v3
	s_delay_alu instid0(VALU_DEP_1) | instskip(NEXT) | instid1(VALU_DEP_1)
	v_fma_f32 v8, -v0, v7, v4
	v_fmac_f32_e32 v7, v8, v3
	s_delay_alu instid0(VALU_DEP_1) | instskip(NEXT) | instid1(VALU_DEP_1)
	v_fma_f32 v0, -v0, v7, v4
	v_div_fmas_f32 v0, v0, v3, v7
	s_delay_alu instid0(VALU_DEP_1)
	v_div_fixup_f32 v0, v0, v6, v5
	global_store_b32 v[1:2], v0, off
.LBB15_6:
	s_nop 0
	s_sendmsg sendmsg(MSG_DEALLOC_VGPRS)
	s_endpgm
	.section	.rodata,"a",@progbits
	.p2align	6, 0x0
	.amdhsa_kernel _ZL33flash_attn_stream_k_fixup_uniformILi64ELi1ELi8EEvPfPK15HIP_vector_typeIfLj2EEiiiiiiS1_IjLj3EES5_S5_
		.amdhsa_group_segment_fixed_size 0
		.amdhsa_private_segment_fixed_size 0
		.amdhsa_kernarg_size 76
		.amdhsa_user_sgpr_count 13
		.amdhsa_user_sgpr_dispatch_ptr 0
		.amdhsa_user_sgpr_queue_ptr 0
		.amdhsa_user_sgpr_kernarg_segment_ptr 1
		.amdhsa_user_sgpr_dispatch_id 0
		.amdhsa_user_sgpr_private_segment_size 0
		.amdhsa_wavefront_size32 1
		.amdhsa_uses_dynamic_stack 0
		.amdhsa_enable_private_segment 0
		.amdhsa_system_sgpr_workgroup_id_x 1
		.amdhsa_system_sgpr_workgroup_id_y 1
		.amdhsa_system_sgpr_workgroup_id_z 1
		.amdhsa_system_sgpr_workgroup_info 0
		.amdhsa_system_vgpr_workitem_id 0
		.amdhsa_next_free_vgpr 15
		.amdhsa_next_free_sgpr 20
		.amdhsa_reserve_vcc 1
		.amdhsa_float_round_mode_32 0
		.amdhsa_float_round_mode_16_64 0
		.amdhsa_float_denorm_mode_32 3
		.amdhsa_float_denorm_mode_16_64 3
		.amdhsa_dx10_clamp 1
		.amdhsa_ieee_mode 1
		.amdhsa_fp16_overflow 0
		.amdhsa_workgroup_processor_mode 1
		.amdhsa_memory_ordered 1
		.amdhsa_forward_progress 0
		.amdhsa_shared_vgpr_count 0
		.amdhsa_exception_fp_ieee_invalid_op 0
		.amdhsa_exception_fp_denorm_src 0
		.amdhsa_exception_fp_ieee_div_zero 0
		.amdhsa_exception_fp_ieee_overflow 0
		.amdhsa_exception_fp_ieee_underflow 0
		.amdhsa_exception_fp_ieee_inexact 0
		.amdhsa_exception_int_div_zero 0
	.end_amdhsa_kernel
	.section	.text._ZL33flash_attn_stream_k_fixup_uniformILi64ELi1ELi8EEvPfPK15HIP_vector_typeIfLj2EEiiiiiiS1_IjLj3EES5_S5_,"axG",@progbits,_ZL33flash_attn_stream_k_fixup_uniformILi64ELi1ELi8EEvPfPK15HIP_vector_typeIfLj2EEiiiiiiS1_IjLj3EES5_S5_,comdat
.Lfunc_end15:
	.size	_ZL33flash_attn_stream_k_fixup_uniformILi64ELi1ELi8EEvPfPK15HIP_vector_typeIfLj2EEiiiiiiS1_IjLj3EES5_S5_, .Lfunc_end15-_ZL33flash_attn_stream_k_fixup_uniformILi64ELi1ELi8EEvPfPK15HIP_vector_typeIfLj2EEiiiiiiS1_IjLj3EES5_S5_
                                        ; -- End function
	.section	.AMDGPU.csdata,"",@progbits
; Kernel info:
; codeLenInByte = 968
; NumSgprs: 22
; NumVgprs: 15
; ScratchSize: 0
; MemoryBound: 0
; FloatMode: 240
; IeeeMode: 1
; LDSByteSize: 0 bytes/workgroup (compile time only)
; SGPRBlocks: 2
; VGPRBlocks: 1
; NumSGPRsForWavesPerEU: 22
; NumVGPRsForWavesPerEU: 15
; Occupancy: 16
; WaveLimiterHint : 0
; COMPUTE_PGM_RSRC2:SCRATCH_EN: 0
; COMPUTE_PGM_RSRC2:USER_SGPR: 13
; COMPUTE_PGM_RSRC2:TRAP_HANDLER: 0
; COMPUTE_PGM_RSRC2:TGID_X_EN: 1
; COMPUTE_PGM_RSRC2:TGID_Y_EN: 1
; COMPUTE_PGM_RSRC2:TGID_Z_EN: 1
; COMPUTE_PGM_RSRC2:TIDIG_COMP_CNT: 0
	.section	.text._ZL33flash_attn_stream_k_fixup_generalILi64ELi1ELi8EEvPfPK15HIP_vector_typeIfLj2EEiiiiS1_IjLj3EES5_S5_S5_,"axG",@progbits,_ZL33flash_attn_stream_k_fixup_generalILi64ELi1ELi8EEvPfPK15HIP_vector_typeIfLj2EEiiiiS1_IjLj3EES5_S5_S5_,comdat
	.globl	_ZL33flash_attn_stream_k_fixup_generalILi64ELi1ELi8EEvPfPK15HIP_vector_typeIfLj2EEiiiiS1_IjLj3EES5_S5_S5_ ; -- Begin function _ZL33flash_attn_stream_k_fixup_generalILi64ELi1ELi8EEvPfPK15HIP_vector_typeIfLj2EEiiiiS1_IjLj3EES5_S5_S5_
	.p2align	8
	.type	_ZL33flash_attn_stream_k_fixup_generalILi64ELi1ELi8EEvPfPK15HIP_vector_typeIfLj2EEiiiiS1_IjLj3EES5_S5_S5_,@function
_ZL33flash_attn_stream_k_fixup_generalILi64ELi1ELi8EEvPfPK15HIP_vector_typeIfLj2EEiiiiS1_IjLj3EES5_S5_S5_: ; @_ZL33flash_attn_stream_k_fixup_generalILi64ELi1ELi8EEvPfPK15HIP_vector_typeIfLj2EEiiiiS1_IjLj3EES5_S5_S5_
; %bb.0:
	s_clause 0x1
	s_load_b128 s[4:7], s[0:1], 0x10
	s_load_b32 s20, s[0:1], 0x50
	s_mov_b32 s2, 0
	s_waitcnt lgkmcnt(0)
	s_mul_hi_i32 s3, s7, s13
	s_mul_i32 s12, s7, s13
	s_cmp_lg_u64 s[2:3], 0
	s_cbranch_scc0 .LBB16_21
; %bb.1:
	v_cvt_f32_ubyte0_e32 v1, 0
	v_cvt_f32_u32_e32 v2, s20
	s_sub_u32 s10, 0, s20
	s_subb_u32 s11, 0, 0
	s_delay_alu instid0(VALU_DEP_1) | instskip(NEXT) | instid1(VALU_DEP_1)
	v_fmamk_f32 v1, v1, 0x4f800000, v2
	v_rcp_f32_e32 v1, v1
	s_waitcnt_depctr 0xfff
	v_mul_f32_e32 v1, 0x5f7ffffc, v1
	s_delay_alu instid0(VALU_DEP_1) | instskip(NEXT) | instid1(VALU_DEP_1)
	v_mul_f32_e32 v2, 0x2f800000, v1
	v_trunc_f32_e32 v2, v2
	s_delay_alu instid0(VALU_DEP_1) | instskip(SKIP_1) | instid1(VALU_DEP_2)
	v_fmamk_f32 v1, v2, 0xcf800000, v1
	v_cvt_u32_f32_e32 v2, v2
	v_cvt_u32_f32_e32 v1, v1
	s_delay_alu instid0(VALU_DEP_2) | instskip(NEXT) | instid1(VALU_DEP_2)
	v_readfirstlane_b32 s8, v2
	v_readfirstlane_b32 s9, v1
	s_delay_alu instid0(VALU_DEP_2) | instskip(NEXT) | instid1(VALU_DEP_1)
	s_mul_i32 s16, s10, s8
	s_mul_hi_u32 s18, s10, s9
	s_mul_i32 s17, s11, s9
	s_add_i32 s16, s18, s16
	s_mul_i32 s19, s10, s9
	s_add_i32 s16, s16, s17
	s_mul_hi_u32 s18, s9, s19
	s_mul_hi_u32 s21, s8, s19
	s_mul_i32 s17, s8, s19
	s_mul_hi_u32 s19, s9, s16
	s_mul_i32 s9, s9, s16
	s_mul_hi_u32 s22, s8, s16
	s_add_u32 s9, s18, s9
	s_addc_u32 s18, 0, s19
	s_add_u32 s9, s9, s17
	s_mul_i32 s16, s8, s16
	s_addc_u32 s9, s18, s21
	s_addc_u32 s17, s22, 0
	s_add_u32 s9, s9, s16
	s_addc_u32 s16, 0, s17
	v_add_co_u32 v1, s9, v1, s9
	s_delay_alu instid0(VALU_DEP_1) | instskip(SKIP_1) | instid1(VALU_DEP_1)
	s_cmp_lg_u32 s9, 0
	s_addc_u32 s8, s8, s16
	v_readfirstlane_b32 s9, v1
	s_mul_i32 s16, s10, s8
	s_delay_alu instid0(VALU_DEP_1)
	s_mul_hi_u32 s17, s10, s9
	s_mul_i32 s11, s11, s9
	s_add_i32 s16, s17, s16
	s_mul_i32 s10, s10, s9
	s_add_i32 s16, s16, s11
	s_mul_hi_u32 s17, s8, s10
	s_mul_i32 s18, s8, s10
	s_mul_hi_u32 s10, s9, s10
	s_mul_hi_u32 s19, s9, s16
	s_mul_i32 s9, s9, s16
	s_mul_hi_u32 s11, s8, s16
	s_add_u32 s9, s10, s9
	s_addc_u32 s10, 0, s19
	s_add_u32 s9, s9, s18
	s_mul_i32 s16, s8, s16
	s_addc_u32 s9, s10, s17
	s_addc_u32 s10, s11, 0
	s_add_u32 s9, s9, s16
	s_addc_u32 s10, 0, s10
	v_add_co_u32 v1, s9, v1, s9
	s_delay_alu instid0(VALU_DEP_1) | instskip(SKIP_2) | instid1(SALU_CYCLE_1)
	s_cmp_lg_u32 s9, 0
	s_addc_u32 s16, s8, s10
	s_ashr_i32 s8, s3, 31
	s_add_u32 s10, s12, s8
	s_addc_u32 s11, s3, s8
	v_readfirstlane_b32 s3, v1
	s_mov_b32 s9, s8
	s_delay_alu instid0(SALU_CYCLE_1) | instskip(NEXT) | instid1(SALU_CYCLE_1)
	s_xor_b64 s[10:11], s[10:11], s[8:9]
	s_mul_i32 s18, s10, s16
	s_delay_alu instid0(VALU_DEP_1)
	s_mul_hi_u32 s19, s10, s3
	s_mul_hi_u32 s17, s10, s16
	s_mul_hi_u32 s22, s11, s3
	s_mul_i32 s3, s11, s3
	s_add_u32 s18, s19, s18
	s_addc_u32 s17, 0, s17
	s_mul_hi_u32 s21, s11, s16
	s_add_u32 s3, s18, s3
	s_mul_i32 s16, s11, s16
	s_addc_u32 s3, s17, s22
	s_addc_u32 s17, s21, 0
	s_add_u32 s3, s3, s16
	s_addc_u32 s16, 0, s17
	s_mul_i32 s18, s20, s3
	s_add_u32 s17, s3, 1
	v_sub_co_u32 v1, s10, s10, s18
	s_mul_hi_u32 s18, s20, s3
	s_addc_u32 s19, s16, 0
	s_mul_i32 s21, s20, s16
	s_delay_alu instid0(VALU_DEP_1)
	v_sub_co_u32 v2, s22, v1, s20
	s_add_u32 s23, s3, 2
	s_addc_u32 s24, s16, 0
	s_add_i32 s18, s18, s21
	s_cmp_lg_u32 s10, 0
	v_readfirstlane_b32 s10, v2
	s_subb_u32 s11, s11, s18
	s_cmp_lg_u32 s22, 0
	s_subb_u32 s18, s11, 0
	s_delay_alu instid0(VALU_DEP_1) | instskip(SKIP_4) | instid1(SALU_CYCLE_1)
	s_cmp_ge_u32 s10, s20
	s_cselect_b32 s10, -1, 0
	s_cmp_eq_u32 s18, 0
	v_readfirstlane_b32 s18, v1
	s_cselect_b32 s10, s10, -1
	s_cmp_lg_u32 s10, 0
	s_cselect_b32 s10, s23, s17
	s_cselect_b32 s17, s24, s19
	s_cmp_ge_u32 s18, s20
	s_cselect_b32 s18, -1, 0
	s_cmp_eq_u32 s11, 0
	s_cselect_b32 s11, s18, -1
	s_delay_alu instid0(SALU_CYCLE_1) | instskip(SKIP_2) | instid1(SALU_CYCLE_1)
	s_cmp_lg_u32 s11, 0
	s_cselect_b32 s11, s17, s16
	s_cselect_b32 s10, s10, s3
	s_xor_b64 s[10:11], s[10:11], s[8:9]
	s_delay_alu instid0(SALU_CYCLE_1)
	s_sub_u32 s16, s10, s8
	s_load_b128 s[8:11], s[0:1], 0x44
	s_and_not1_b32 vcc_lo, exec_lo, s2
	s_cbranch_vccnz .LBB16_3
.LBB16_2:
	v_cvt_f32_u32_e32 v1, s20
	s_sub_i32 s3, 0, s20
	s_delay_alu instid0(VALU_DEP_1) | instskip(SKIP_2) | instid1(VALU_DEP_1)
	v_rcp_iflag_f32_e32 v1, v1
	s_waitcnt_depctr 0xfff
	v_mul_f32_e32 v1, 0x4f7ffffe, v1
	v_cvt_u32_f32_e32 v1, v1
	s_delay_alu instid0(VALU_DEP_1) | instskip(NEXT) | instid1(VALU_DEP_1)
	v_readfirstlane_b32 s2, v1
	s_mul_i32 s3, s3, s2
	s_delay_alu instid0(SALU_CYCLE_1) | instskip(NEXT) | instid1(SALU_CYCLE_1)
	s_mul_hi_u32 s3, s2, s3
	s_add_i32 s2, s2, s3
	s_delay_alu instid0(SALU_CYCLE_1) | instskip(NEXT) | instid1(SALU_CYCLE_1)
	s_mul_hi_u32 s2, s12, s2
	s_mul_i32 s3, s2, s20
	s_waitcnt lgkmcnt(0)
	s_add_i32 s11, s2, 1
	s_sub_i32 s3, s12, s3
	s_delay_alu instid0(SALU_CYCLE_1)
	s_sub_i32 s12, s3, s20
	s_cmp_ge_u32 s3, s20
	s_cselect_b32 s2, s11, s2
	s_cselect_b32 s3, s12, s3
	s_add_i32 s11, s2, 1
	s_cmp_ge_u32 s3, s20
	s_cselect_b32 s16, s11, s2
.LBB16_3:
	s_waitcnt lgkmcnt(0)
	s_add_i32 s11, s13, 1
	s_mov_b32 s2, 0
	s_mul_hi_i32 s3, s7, s11
	s_mul_i32 s11, s7, s11
	s_cmp_lg_u64 s[2:3], 0
	s_cbranch_scc0 .LBB16_22
; %bb.4:
	v_cvt_f32_ubyte0_e32 v1, 0
	v_cvt_f32_u32_e32 v2, s20
	s_sub_u32 s18, 0, s20
	s_subb_u32 s19, 0, 0
	s_delay_alu instid0(VALU_DEP_1) | instskip(NEXT) | instid1(VALU_DEP_1)
	v_fmamk_f32 v1, v1, 0x4f800000, v2
	v_rcp_f32_e32 v1, v1
	s_waitcnt_depctr 0xfff
	v_mul_f32_e32 v1, 0x5f7ffffc, v1
	s_delay_alu instid0(VALU_DEP_1) | instskip(NEXT) | instid1(VALU_DEP_1)
	v_mul_f32_e32 v2, 0x2f800000, v1
	v_trunc_f32_e32 v2, v2
	s_delay_alu instid0(VALU_DEP_1) | instskip(SKIP_1) | instid1(VALU_DEP_2)
	v_fmamk_f32 v1, v2, 0xcf800000, v1
	v_cvt_u32_f32_e32 v2, v2
	v_cvt_u32_f32_e32 v1, v1
	s_delay_alu instid0(VALU_DEP_2) | instskip(NEXT) | instid1(VALU_DEP_2)
	v_readfirstlane_b32 s12, v2
	v_readfirstlane_b32 s17, v1
	s_delay_alu instid0(VALU_DEP_2) | instskip(NEXT) | instid1(VALU_DEP_1)
	s_mul_i32 s21, s18, s12
	s_mul_hi_u32 s23, s18, s17
	s_mul_i32 s22, s19, s17
	s_add_i32 s21, s23, s21
	s_mul_i32 s24, s18, s17
	s_add_i32 s21, s21, s22
	s_mul_hi_u32 s23, s17, s24
	s_mul_hi_u32 s25, s12, s24
	s_mul_i32 s22, s12, s24
	s_mul_hi_u32 s24, s17, s21
	s_mul_i32 s17, s17, s21
	s_mul_hi_u32 s26, s12, s21
	s_add_u32 s17, s23, s17
	s_addc_u32 s23, 0, s24
	s_add_u32 s17, s17, s22
	s_mul_i32 s21, s12, s21
	s_addc_u32 s17, s23, s25
	s_addc_u32 s22, s26, 0
	s_add_u32 s17, s17, s21
	s_addc_u32 s21, 0, s22
	v_add_co_u32 v1, s17, v1, s17
	s_delay_alu instid0(VALU_DEP_1) | instskip(SKIP_1) | instid1(VALU_DEP_1)
	s_cmp_lg_u32 s17, 0
	s_addc_u32 s12, s12, s21
	v_readfirstlane_b32 s17, v1
	s_mul_i32 s21, s18, s12
	s_delay_alu instid0(VALU_DEP_1)
	s_mul_hi_u32 s22, s18, s17
	s_mul_i32 s19, s19, s17
	s_add_i32 s21, s22, s21
	s_mul_i32 s18, s18, s17
	s_add_i32 s21, s21, s19
	s_mul_hi_u32 s22, s12, s18
	s_mul_i32 s23, s12, s18
	s_mul_hi_u32 s18, s17, s18
	s_mul_hi_u32 s24, s17, s21
	s_mul_i32 s17, s17, s21
	s_mul_hi_u32 s19, s12, s21
	s_add_u32 s17, s18, s17
	s_addc_u32 s18, 0, s24
	s_add_u32 s17, s17, s23
	s_mul_i32 s21, s12, s21
	s_addc_u32 s17, s18, s22
	s_addc_u32 s18, s19, 0
	s_add_u32 s17, s17, s21
	s_addc_u32 s18, 0, s18
	v_add_co_u32 v1, s17, v1, s17
	s_delay_alu instid0(VALU_DEP_1) | instskip(SKIP_2) | instid1(SALU_CYCLE_1)
	s_cmp_lg_u32 s17, 0
	s_addc_u32 s12, s12, s18
	s_ashr_i32 s18, s3, 31
	s_add_u32 s22, s11, s18
	s_addc_u32 s23, s3, s18
	v_readfirstlane_b32 s3, v1
	s_mov_b32 s19, s18
	s_delay_alu instid0(SALU_CYCLE_1) | instskip(NEXT) | instid1(SALU_CYCLE_1)
	s_xor_b64 s[22:23], s[22:23], s[18:19]
	s_mul_i32 s21, s22, s12
	s_delay_alu instid0(VALU_DEP_1)
	s_mul_hi_u32 s24, s22, s3
	s_mul_hi_u32 s17, s22, s12
	;; [unrolled: 1-line block ×3, first 2 shown]
	s_mul_i32 s3, s23, s3
	s_add_u32 s21, s24, s21
	s_addc_u32 s17, 0, s17
	s_mul_hi_u32 s25, s23, s12
	s_add_u32 s3, s21, s3
	s_mul_i32 s12, s23, s12
	s_addc_u32 s3, s17, s26
	s_addc_u32 s17, s25, 0
	s_add_u32 s3, s3, s12
	s_addc_u32 s12, 0, s17
	s_mul_i32 s21, s20, s3
	s_add_u32 s17, s3, 1
	v_sub_co_u32 v1, s21, s22, s21
	s_mul_hi_u32 s22, s20, s3
	s_addc_u32 s24, s12, 0
	s_mul_i32 s25, s20, s12
	s_delay_alu instid0(VALU_DEP_1)
	v_sub_co_u32 v2, s26, v1, s20
	s_add_u32 s27, s3, 2
	s_addc_u32 s28, s12, 0
	s_add_i32 s22, s22, s25
	s_cmp_lg_u32 s21, 0
	v_readfirstlane_b32 s21, v2
	s_subb_u32 s22, s23, s22
	s_cmp_lg_u32 s26, 0
	s_subb_u32 s23, s22, 0
	s_delay_alu instid0(VALU_DEP_1) | instskip(SKIP_4) | instid1(SALU_CYCLE_1)
	s_cmp_ge_u32 s21, s20
	s_cselect_b32 s21, -1, 0
	s_cmp_eq_u32 s23, 0
	v_readfirstlane_b32 s23, v1
	s_cselect_b32 s21, s21, -1
	s_cmp_lg_u32 s21, 0
	s_cselect_b32 s17, s27, s17
	s_cselect_b32 s21, s28, s24
	s_cmp_ge_u32 s23, s20
	s_cselect_b32 s23, -1, 0
	s_cmp_eq_u32 s22, 0
	s_cselect_b32 s22, s23, -1
	s_delay_alu instid0(SALU_CYCLE_1) | instskip(SKIP_2) | instid1(SALU_CYCLE_1)
	s_cmp_lg_u32 s22, 0
	s_cselect_b32 s23, s21, s12
	s_cselect_b32 s22, s17, s3
	s_xor_b64 s[22:23], s[22:23], s[18:19]
	s_delay_alu instid0(SALU_CYCLE_1)
	s_sub_u32 s18, s22, s18
	s_and_not1_b32 vcc_lo, exec_lo, s2
	s_cbranch_vccnz .LBB16_6
.LBB16_5:
	v_cvt_f32_u32_e32 v1, s20
	s_sub_i32 s3, 0, s20
	s_delay_alu instid0(VALU_DEP_1) | instskip(SKIP_2) | instid1(VALU_DEP_1)
	v_rcp_iflag_f32_e32 v1, v1
	s_waitcnt_depctr 0xfff
	v_mul_f32_e32 v1, 0x4f7ffffe, v1
	v_cvt_u32_f32_e32 v1, v1
	s_delay_alu instid0(VALU_DEP_1) | instskip(NEXT) | instid1(VALU_DEP_1)
	v_readfirstlane_b32 s2, v1
	s_mul_i32 s3, s3, s2
	s_delay_alu instid0(SALU_CYCLE_1) | instskip(NEXT) | instid1(SALU_CYCLE_1)
	s_mul_hi_u32 s3, s2, s3
	s_add_i32 s2, s2, s3
	s_delay_alu instid0(SALU_CYCLE_1) | instskip(NEXT) | instid1(SALU_CYCLE_1)
	s_mul_hi_u32 s2, s11, s2
	s_mul_i32 s3, s2, s20
	s_delay_alu instid0(SALU_CYCLE_1)
	s_sub_i32 s3, s11, s3
	s_add_i32 s11, s2, 1
	s_sub_i32 s12, s3, s20
	s_cmp_ge_u32 s3, s20
	s_cselect_b32 s2, s11, s2
	s_cselect_b32 s3, s12, s3
	s_add_i32 s11, s2, 1
	s_cmp_ge_u32 s3, s20
	s_cselect_b32 s18, s11, s2
.LBB16_6:
	s_delay_alu instid0(SALU_CYCLE_1) | instskip(SKIP_3) | instid1(SALU_CYCLE_1)
	s_cmp_eq_u32 s16, s18
	s_mul_hi_u32 s2, s16, s8
	s_cselect_b32 s3, -1, 0
	s_add_i32 s2, s2, s16
	s_lshr_b32 s11, s2, s9
	s_delay_alu instid0(SALU_CYCLE_1) | instskip(NEXT) | instid1(SALU_CYCLE_1)
	s_mul_i32 s2, s11, s10
	s_cmp_eq_u32 s2, s16
	s_mul_hi_u32 s2, s18, s8
	s_cselect_b32 s12, -1, 0
	s_add_i32 s2, s2, s18
	s_delay_alu instid0(SALU_CYCLE_1) | instskip(NEXT) | instid1(SALU_CYCLE_1)
	s_lshr_b32 s2, s2, s9
	s_cmp_eq_u32 s11, s2
	s_mul_i32 s2, s2, s10
	s_cselect_b32 s17, -1, 0
	s_cmp_lg_u32 s2, s18
	s_cselect_b32 s2, -1, 0
	s_or_b32 s3, s3, s12
	s_and_b32 s2, s17, s2
	s_delay_alu instid0(SALU_CYCLE_1) | instskip(NEXT) | instid1(SALU_CYCLE_1)
	s_or_b32 s2, s3, s2
	s_and_b32 vcc_lo, exec_lo, s2
	s_cbranch_vccnz .LBB16_24
; %bb.7:
	s_load_b256 s[24:31], s[0:1], 0x20
	s_waitcnt lgkmcnt(0)
	s_mul_hi_u32 s2, s16, s24
	s_delay_alu instid0(SALU_CYCLE_1) | instskip(NEXT) | instid1(SALU_CYCLE_1)
	s_add_i32 s2, s2, s16
	s_lshr_b32 s17, s2, s25
	s_load_b32 s2, s[0:1], 0x40
	s_mul_i32 s3, s17, s26
	s_delay_alu instid0(SALU_CYCLE_1) | instskip(NEXT) | instid1(SALU_CYCLE_1)
	s_sub_i32 s3, s16, s3
	s_mul_hi_u32 s12, s3, s27
	s_delay_alu instid0(SALU_CYCLE_1) | instskip(NEXT) | instid1(SALU_CYCLE_1)
	s_add_i32 s12, s3, s12
	s_lshr_b32 s18, s12, s28
	s_delay_alu instid0(SALU_CYCLE_1) | instskip(NEXT) | instid1(SALU_CYCLE_1)
	s_mul_i32 s12, s18, s29
	s_sub_i32 s3, s3, s12
	s_delay_alu instid0(SALU_CYCLE_1) | instskip(NEXT) | instid1(SALU_CYCLE_1)
	s_mul_hi_u32 s12, s3, s30
	s_add_i32 s12, s3, s12
	s_delay_alu instid0(SALU_CYCLE_1)
	s_lshr_b32 s12, s12, s31
	s_waitcnt lgkmcnt(0)
	s_mul_i32 s2, s12, s2
	s_lshl_b32 s21, s12, 3
	s_sub_i32 s2, s3, s2
	s_mov_b32 s12, 0
	s_mul_hi_u32 s3, s2, s8
	s_delay_alu instid0(SALU_CYCLE_1) | instskip(NEXT) | instid1(SALU_CYCLE_1)
	s_add_i32 s2, s2, s3
	s_lshr_b32 s19, s2, s9
	s_delay_alu instid0(SALU_CYCLE_1) | instskip(NEXT) | instid1(SALU_CYCLE_1)
	s_add_i32 s19, s19, s14
	s_cmp_lt_i32 s19, s4
	s_cselect_b32 s2, -1, 0
	s_add_i32 s21, s21, s15
	s_delay_alu instid0(SALU_CYCLE_1) | instskip(SKIP_1) | instid1(SALU_CYCLE_1)
	s_cmp_lt_i32 s21, s6
	s_cselect_b32 s3, -1, 0
	s_and_b32 s2, s2, s3
	s_delay_alu instid0(SALU_CYCLE_1)
	s_and_not1_b32 vcc_lo, exec_lo, s2
	s_cbranch_vccnz .LBB16_24
; %bb.8:
	s_load_b128 s[0:3], s[0:1], 0x0
	s_lshl_b32 s22, s20, 5
	s_mov_b32 s23, s12
	s_mul_i32 s4, s17, s4
	s_lshl_b64 s[22:23], s[22:23], 2
	s_mul_i32 s18, s18, s6
	v_cvt_f32_ubyte0_e32 v4, 0
	v_cvt_f32_u32_e32 v5, s20
	s_waitcnt lgkmcnt(0)
	s_add_u32 s6, s2, s22
	s_addc_u32 s17, s3, s23
	s_add_i32 s4, s19, s4
	s_add_i32 s18, s21, s18
	s_mul_i32 s4, s4, s5
	s_delay_alu instid0(SALU_CYCLE_1) | instskip(NEXT) | instid1(SALU_CYCLE_1)
	s_add_i32 s18, s18, s4
	v_lshl_or_b32 v1, s18, 6, v0
	v_lshl_or_b32 v0, s15, 6, v0
	s_delay_alu instid0(VALU_DEP_2) | instskip(NEXT) | instid1(VALU_DEP_1)
	v_ashrrev_i32_e32 v2, 31, v1
	v_lshlrev_b64 v[1:2], 2, v[1:2]
	s_delay_alu instid0(VALU_DEP_1) | instskip(NEXT) | instid1(VALU_DEP_2)
	v_add_co_u32 v1, vcc_lo, s0, v1
	v_add_co_ci_u32_e32 v2, vcc_lo, s1, v2, vcc_lo
	s_add_i32 s0, s14, s13
	s_delay_alu instid0(SALU_CYCLE_1) | instskip(SKIP_2) | instid1(SALU_CYCLE_1)
	s_lshl_b32 s0, s0, 3
	global_load_b32 v3, v[1:2], off
	s_add_i32 s0, s0, s15
	s_ashr_i32 s1, s0, 31
	s_delay_alu instid0(SALU_CYCLE_1) | instskip(NEXT) | instid1(SALU_CYCLE_1)
	s_lshl_b64 s[0:1], s[0:1], 3
	s_add_u32 s0, s2, s0
	s_addc_u32 s1, s3, s1
	s_add_i32 s19, s13, -1
	s_load_b64 s[0:1], s[0:1], 0x0
	v_fmac_f32_e32 v5, 0x4f800000, v4
	s_sub_i32 s18, 0, s20
	s_waitcnt lgkmcnt(0)
	v_mov_b32_e32 v8, s0
	s_delay_alu instid0(VALU_DEP_2) | instskip(SKIP_2) | instid1(VALU_DEP_2)
	v_rcp_f32_e32 v4, v5
	v_cvt_f32_u32_e32 v5, s20
	v_mov_b32_e32 v7, s1
	v_rcp_iflag_f32_e32 v5, v5
	s_waitcnt_depctr 0xfff
	v_mul_f32_e32 v4, 0x5f7ffffc, v4
	s_delay_alu instid0(VALU_DEP_1) | instskip(SKIP_1) | instid1(VALU_DEP_2)
	v_mul_f32_e32 v6, 0x2f800000, v4
	v_mul_f32_e32 v9, 0x4f7ffffe, v5
	v_trunc_f32_e32 v6, v6
	s_delay_alu instid0(VALU_DEP_1) | instskip(SKIP_1) | instid1(VALU_DEP_4)
	v_fmac_f32_e32 v4, 0xcf800000, v6
	v_cvt_u32_f32_e32 v5, v6
	v_cvt_u32_f32_e32 v6, v9
	s_delay_alu instid0(VALU_DEP_3)
	v_cvt_u32_f32_e32 v4, v4
.LBB16_9:                               ; =>This Inner Loop Header: Depth=1
	s_mul_hi_i32 s13, s19, s7
	s_mul_i32 s4, s19, s7
	s_cmp_lg_u64 s[12:13], 0
	s_mov_b32 s5, -1
                                        ; implicit-def: $sgpr0_sgpr1
	s_cbranch_scc0 .LBB16_11
; %bb.10:                               ;   in Loop: Header=BB16_9 Depth=1
	v_readfirstlane_b32 s0, v4
	v_readfirstlane_b32 s1, v5
	s_sub_u32 s5, 0, s20
	s_subb_u32 s21, 0, 0
	s_delay_alu instid0(VALU_DEP_2) | instskip(NEXT) | instid1(VALU_DEP_1)
	s_mul_hi_u32 s22, s5, s0
	s_mul_i32 s23, s5, s1
	s_mul_i32 s24, s21, s0
	s_add_i32 s22, s22, s23
	s_mul_i32 s23, s5, s0
	s_add_i32 s22, s22, s24
	s_mul_hi_u32 s24, s0, s23
	s_mul_i32 s25, s0, s22
	s_mul_hi_u32 s0, s0, s22
	s_add_u32 s24, s24, s25
	s_mul_i32 s26, s1, s23
	s_addc_u32 s0, 0, s0
	s_mul_hi_u32 s23, s1, s23
	s_mul_hi_u32 s25, s1, s22
	s_add_u32 s24, s24, s26
	s_addc_u32 s0, s0, s23
	s_mul_i32 s22, s1, s22
	s_addc_u32 s23, s25, 0
	s_add_u32 s0, s0, s22
	s_addc_u32 s22, 0, s23
	v_add_co_u32 v9, s0, v4, s0
	s_delay_alu instid0(VALU_DEP_1) | instskip(SKIP_1) | instid1(VALU_DEP_1)
	s_cmp_lg_u32 s0, 0
	s_addc_u32 s1, s1, s22
	v_readfirstlane_b32 s0, v9
	s_mul_i32 s22, s5, s1
	s_delay_alu instid0(VALU_DEP_1)
	s_mul_hi_u32 s23, s5, s0
	s_mul_i32 s21, s21, s0
	s_add_i32 s22, s23, s22
	s_mul_i32 s5, s5, s0
	s_add_i32 s22, s22, s21
	s_mul_hi_u32 s21, s1, s5
	s_mul_i32 s24, s1, s5
	s_mul_i32 s25, s0, s22
	s_mul_hi_u32 s5, s0, s5
	s_mul_hi_u32 s0, s0, s22
	s_add_u32 s5, s5, s25
	s_addc_u32 s0, 0, s0
	s_mul_hi_u32 s23, s1, s22
	s_add_u32 s5, s5, s24
	s_addc_u32 s0, s0, s21
	s_mul_i32 s5, s1, s22
	s_addc_u32 s21, s23, 0
	s_add_u32 s0, s0, s5
	s_addc_u32 s5, 0, s21
	v_add_co_u32 v9, s0, v9, s0
	s_delay_alu instid0(VALU_DEP_1) | instskip(SKIP_2) | instid1(SALU_CYCLE_1)
	s_cmp_lg_u32 s0, 0
	s_addc_u32 s5, s1, s5
	s_ashr_i32 s0, s13, 31
	s_add_u32 s22, s4, s0
	s_addc_u32 s23, s13, s0
	v_readfirstlane_b32 s13, v9
	s_mov_b32 s1, s0
	s_delay_alu instid0(SALU_CYCLE_1) | instskip(NEXT) | instid1(SALU_CYCLE_1)
	s_xor_b64 s[22:23], s[22:23], s[0:1]
	s_mul_i32 s21, s22, s5
	s_delay_alu instid0(VALU_DEP_1)
	s_mul_hi_u32 s24, s22, s13
	s_mul_hi_u32 s25, s22, s5
	s_add_u32 s21, s24, s21
	s_mul_i32 s26, s23, s13
	s_addc_u32 s24, 0, s25
	s_mul_hi_u32 s13, s23, s13
	s_mul_hi_u32 s25, s23, s5
	s_add_u32 s21, s21, s26
	s_addc_u32 s13, s24, s13
	s_mul_i32 s5, s23, s5
	s_addc_u32 s21, s25, 0
	s_add_u32 s5, s13, s5
	s_addc_u32 s13, 0, s21
	s_mul_i32 s24, s20, s5
	s_add_u32 s21, s5, 1
	v_sub_co_u32 v9, s22, s22, s24
	s_addc_u32 s24, s13, 0
	s_mul_i32 s26, s20, s13
	s_mul_hi_u32 s28, s20, s5
	s_delay_alu instid0(VALU_DEP_1)
	v_sub_co_u32 v10, s27, v9, s20
	s_add_u32 s25, s5, 2
	s_addc_u32 s29, s13, 0
	s_add_i32 s28, s28, s26
	s_cmp_lg_u32 s22, 0
	v_readfirstlane_b32 s22, v10
	s_subb_u32 s23, s23, s28
	s_cmp_lg_u32 s27, 0
	s_subb_u32 s26, s23, 0
	s_delay_alu instid0(VALU_DEP_1) | instskip(SKIP_4) | instid1(SALU_CYCLE_1)
	s_cmp_ge_u32 s22, s20
	s_cselect_b32 s22, -1, 0
	s_cmp_eq_u32 s26, 0
	v_readfirstlane_b32 s26, v9
	s_cselect_b32 s22, s22, -1
	s_cmp_lg_u32 s22, 0
	s_cselect_b32 s21, s25, s21
	s_cselect_b32 s22, s29, s24
	s_cmp_ge_u32 s26, s20
	s_cselect_b32 s24, -1, 0
	s_cmp_eq_u32 s23, 0
	s_cselect_b32 s23, s24, -1
	s_delay_alu instid0(SALU_CYCLE_1) | instskip(SKIP_4) | instid1(SALU_CYCLE_1)
	s_cmp_lg_u32 s23, 0
	s_cselect_b32 s23, s22, s13
	s_cselect_b32 s22, s21, s5
	s_mov_b32 s5, 0
	s_xor_b64 s[22:23], s[22:23], s[0:1]
	s_sub_u32 s0, s22, s0
.LBB16_11:                              ;   in Loop: Header=BB16_9 Depth=1
	s_and_not1_b32 vcc_lo, exec_lo, s5
	s_cbranch_vccnz .LBB16_13
; %bb.12:                               ;   in Loop: Header=BB16_9 Depth=1
	v_readfirstlane_b32 s0, v6
	s_delay_alu instid0(VALU_DEP_1) | instskip(NEXT) | instid1(SALU_CYCLE_1)
	s_mul_i32 s1, s18, s0
	s_mul_hi_u32 s1, s0, s1
	s_delay_alu instid0(SALU_CYCLE_1) | instskip(NEXT) | instid1(SALU_CYCLE_1)
	s_add_i32 s0, s0, s1
	s_mul_hi_u32 s0, s4, s0
	s_delay_alu instid0(SALU_CYCLE_1) | instskip(NEXT) | instid1(SALU_CYCLE_1)
	s_mul_i32 s1, s0, s20
	s_sub_i32 s1, s4, s1
	s_add_i32 s4, s0, 1
	s_sub_i32 s5, s1, s20
	s_cmp_ge_u32 s1, s20
	s_cselect_b32 s0, s4, s0
	s_cselect_b32 s1, s5, s1
	s_add_i32 s4, s0, 1
	s_cmp_ge_u32 s1, s20
	s_cselect_b32 s0, s4, s0
.LBB16_13:                              ;   in Loop: Header=BB16_9 Depth=1
	s_delay_alu instid0(SALU_CYCLE_1)
	s_cmp_lg_u32 s16, s0
	s_cbranch_scc0 .LBB16_17
; %bb.14:                               ;   in Loop: Header=BB16_9 Depth=1
	s_add_i32 s22, s19, s14
	s_mov_b32 s5, s12
	s_add_i32 s1, s22, s20
	s_mov_b32 s21, s16
	s_lshl_b32 s1, s1, 3
	s_delay_alu instid0(SALU_CYCLE_1) | instskip(SKIP_2) | instid1(SALU_CYCLE_1)
	s_add_i32 s4, s1, s15
	s_mul_hi_u32 s1, s0, s8
	s_lshl_b64 s[4:5], s[4:5], 3
	s_add_u32 s4, s2, s4
	s_addc_u32 s5, s3, s5
	s_add_i32 s1, s1, s0
	s_delay_alu instid0(SALU_CYCLE_1) | instskip(NEXT) | instid1(SALU_CYCLE_1)
	s_lshr_b32 s1, s1, s9
	s_mul_i32 s13, s1, s10
	s_delay_alu instid0(SALU_CYCLE_1) | instskip(SKIP_3) | instid1(SALU_CYCLE_1)
	s_cmp_eq_u32 s13, s0
	s_cselect_b32 s13, -1, 0
	s_cmp_lt_u32 s1, s11
	s_cselect_b32 s1, -1, 0
	s_or_b32 s1, s1, s13
	s_mov_b32 s13, -1
	s_and_b32 vcc_lo, exec_lo, s1
	s_mov_b32 s1, s19
	s_cbranch_vccnz .LBB16_16
; %bb.15:                               ;   in Loop: Header=BB16_9 Depth=1
	s_add_i32 s1, s19, -1
	s_mov_b32 s13, 0
	s_mov_b32 s21, s0
.LBB16_16:                              ;   in Loop: Header=BB16_9 Depth=1
	v_lshl_add_u32 v9, s22, 9, v0
	s_load_b64 s[4:5], s[4:5], 0x0
	s_delay_alu instid0(VALU_DEP_1) | instskip(NEXT) | instid1(VALU_DEP_1)
	v_ashrrev_i32_e32 v10, 31, v9
	v_lshlrev_b64 v[9:10], 2, v[9:10]
	s_delay_alu instid0(VALU_DEP_1) | instskip(NEXT) | instid1(VALU_DEP_2)
	v_add_co_u32 v9, vcc_lo, s6, v9
	v_add_co_ci_u32_e32 v10, vcc_lo, s17, v10, vcc_lo
	s_waitcnt lgkmcnt(0)
	v_max_f32_e64 v11, s4, s4
	global_load_b32 v10, v[9:10], off
	v_max_f32_e32 v9, v8, v8
	s_delay_alu instid0(VALU_DEP_1) | instskip(NEXT) | instid1(VALU_DEP_1)
	v_max_f32_e32 v9, v9, v11
	v_sub_f32_e32 v12, v8, v9
	s_delay_alu instid0(VALU_DEP_1) | instskip(NEXT) | instid1(VALU_DEP_1)
	v_dual_mul_f32 v14, 0x3fb8aa3b, v12 :: v_dual_sub_f32 v11, s4, v9
	v_rndne_f32_e32 v18, v14
	s_delay_alu instid0(VALU_DEP_2) | instskip(SKIP_2) | instid1(VALU_DEP_4)
	v_mul_f32_e32 v13, 0x3fb8aa3b, v11
	v_fma_f32 v17, 0x3fb8aa3b, v12, -v14
	v_cmp_ngt_f32_e32 vcc_lo, 0xc2ce8ed0, v11
	v_sub_f32_e32 v14, v14, v18
	s_delay_alu instid0(VALU_DEP_4) | instskip(SKIP_2) | instid1(VALU_DEP_3)
	v_fma_f32 v15, 0x3fb8aa3b, v11, -v13
	v_rndne_f32_e32 v16, v13
	v_fmac_f32_e32 v17, 0x32a5705f, v12
	v_fmac_f32_e32 v15, 0x32a5705f, v11
	s_delay_alu instid0(VALU_DEP_2) | instskip(NEXT) | instid1(VALU_DEP_1)
	v_dual_sub_f32 v13, v13, v16 :: v_dual_add_f32 v14, v14, v17
	v_add_f32_e32 v13, v13, v15
	s_delay_alu instid0(VALU_DEP_2) | instskip(SKIP_2) | instid1(VALU_DEP_3)
	v_exp_f32_e32 v14, v14
	v_cvt_i32_f32_e32 v15, v16
	v_cvt_i32_f32_e32 v16, v18
	v_exp_f32_e32 v13, v13
	s_waitcnt_depctr 0xfff
	v_ldexp_f32 v14, v14, v16
	v_ldexp_f32 v13, v13, v15
	s_delay_alu instid0(VALU_DEP_1) | instskip(SKIP_1) | instid1(VALU_DEP_4)
	v_cndmask_b32_e32 v13, 0, v13, vcc_lo
	v_cmp_ngt_f32_e32 vcc_lo, 0xc2ce8ed0, v12
	v_cndmask_b32_e32 v14, 0, v14, vcc_lo
	v_cmp_nlt_f32_e32 vcc_lo, 0x42b17218, v11
	s_delay_alu instid0(VALU_DEP_4) | instskip(SKIP_1) | instid1(VALU_DEP_4)
	v_cndmask_b32_e32 v13, 0x7f800000, v13, vcc_lo
	v_cmp_nlt_f32_e32 vcc_lo, 0x42b17218, v12
	v_cndmask_b32_e32 v14, 0x7f800000, v14, vcc_lo
	v_cmp_le_f32_e32 vcc_lo, 0xc1a00000, v11
	s_delay_alu instid0(VALU_DEP_4) | instskip(SKIP_1) | instid1(VALU_DEP_4)
	v_cndmask_b32_e32 v11, 0, v13, vcc_lo
	v_cmp_le_f32_e32 vcc_lo, 0xc1a00000, v12
	v_cndmask_b32_e32 v12, 0, v14, vcc_lo
	s_waitcnt vmcnt(0)
	s_delay_alu instid0(VALU_DEP_3) | instskip(NEXT) | instid1(VALU_DEP_1)
	v_mul_f32_e32 v10, v10, v11
	v_dual_mul_f32 v11, s5, v11 :: v_dual_fmac_f32 v10, v3, v12
	s_delay_alu instid0(VALU_DEP_1)
	v_fmac_f32_e32 v11, v7, v12
	s_cbranch_execz .LBB16_18
	s_branch .LBB16_19
.LBB16_17:                              ;   in Loop: Header=BB16_9 Depth=1
                                        ; implicit-def: $sgpr13
                                        ; implicit-def: $vgpr10
                                        ; implicit-def: $vgpr9
                                        ; implicit-def: $vgpr11
                                        ; implicit-def: $sgpr1
                                        ; implicit-def: $sgpr21
.LBB16_18:                              ;   in Loop: Header=BB16_9 Depth=1
	v_mov_b32_e32 v11, v7
	s_waitcnt vmcnt(0)
	v_dual_mov_b32 v9, v8 :: v_dual_mov_b32 v10, v3
	s_add_i32 s1, s19, -1
	s_mov_b32 s13, 0
	s_mov_b32 s21, s16
.LBB16_19:                              ;   in Loop: Header=BB16_9 Depth=1
	s_and_not1_b32 vcc_lo, exec_lo, s13
	s_cbranch_vccz .LBB16_23
; %bb.20:                               ;   in Loop: Header=BB16_9 Depth=1
	v_dual_mov_b32 v7, v11 :: v_dual_mov_b32 v8, v9
	s_waitcnt vmcnt(0)
	v_mov_b32_e32 v3, v10
	s_mov_b32 s16, s21
	s_mov_b32 s19, s1
	s_branch .LBB16_9
.LBB16_21:
                                        ; implicit-def: $sgpr16_sgpr17
	s_load_b128 s[8:11], s[0:1], 0x44
	s_branch .LBB16_2
.LBB16_22:
                                        ; implicit-def: $sgpr18_sgpr19
	s_branch .LBB16_5
.LBB16_23:
	v_div_scale_f32 v0, null, v11, v11, v10
	s_waitcnt vmcnt(0)
	s_delay_alu instid0(VALU_DEP_1) | instskip(SKIP_2) | instid1(VALU_DEP_1)
	v_rcp_f32_e32 v3, v0
	s_waitcnt_depctr 0xfff
	v_fma_f32 v4, -v0, v3, 1.0
	v_fmac_f32_e32 v3, v4, v3
	v_div_scale_f32 v4, vcc_lo, v10, v11, v10
	s_delay_alu instid0(VALU_DEP_1) | instskip(NEXT) | instid1(VALU_DEP_1)
	v_mul_f32_e32 v5, v4, v3
	v_fma_f32 v6, -v0, v5, v4
	s_delay_alu instid0(VALU_DEP_1) | instskip(NEXT) | instid1(VALU_DEP_1)
	v_fmac_f32_e32 v5, v6, v3
	v_fma_f32 v0, -v0, v5, v4
	s_delay_alu instid0(VALU_DEP_1) | instskip(NEXT) | instid1(VALU_DEP_1)
	v_div_fmas_f32 v0, v0, v3, v5
	v_div_fixup_f32 v0, v0, v11, v10
	global_store_b32 v[1:2], v0, off
.LBB16_24:
	s_nop 0
	s_sendmsg sendmsg(MSG_DEALLOC_VGPRS)
	s_endpgm
	.section	.rodata,"a",@progbits
	.p2align	6, 0x0
	.amdhsa_kernel _ZL33flash_attn_stream_k_fixup_generalILi64ELi1ELi8EEvPfPK15HIP_vector_typeIfLj2EEiiiiS1_IjLj3EES5_S5_S5_
		.amdhsa_group_segment_fixed_size 0
		.amdhsa_private_segment_fixed_size 0
		.amdhsa_kernarg_size 336
		.amdhsa_user_sgpr_count 13
		.amdhsa_user_sgpr_dispatch_ptr 0
		.amdhsa_user_sgpr_queue_ptr 0
		.amdhsa_user_sgpr_kernarg_segment_ptr 1
		.amdhsa_user_sgpr_dispatch_id 0
		.amdhsa_user_sgpr_private_segment_size 0
		.amdhsa_wavefront_size32 1
		.amdhsa_uses_dynamic_stack 0
		.amdhsa_enable_private_segment 0
		.amdhsa_system_sgpr_workgroup_id_x 1
		.amdhsa_system_sgpr_workgroup_id_y 1
		.amdhsa_system_sgpr_workgroup_id_z 1
		.amdhsa_system_sgpr_workgroup_info 0
		.amdhsa_system_vgpr_workitem_id 0
		.amdhsa_next_free_vgpr 19
		.amdhsa_next_free_sgpr 32
		.amdhsa_reserve_vcc 1
		.amdhsa_float_round_mode_32 0
		.amdhsa_float_round_mode_16_64 0
		.amdhsa_float_denorm_mode_32 3
		.amdhsa_float_denorm_mode_16_64 3
		.amdhsa_dx10_clamp 1
		.amdhsa_ieee_mode 1
		.amdhsa_fp16_overflow 0
		.amdhsa_workgroup_processor_mode 1
		.amdhsa_memory_ordered 1
		.amdhsa_forward_progress 0
		.amdhsa_shared_vgpr_count 0
		.amdhsa_exception_fp_ieee_invalid_op 0
		.amdhsa_exception_fp_denorm_src 0
		.amdhsa_exception_fp_ieee_div_zero 0
		.amdhsa_exception_fp_ieee_overflow 0
		.amdhsa_exception_fp_ieee_underflow 0
		.amdhsa_exception_fp_ieee_inexact 0
		.amdhsa_exception_int_div_zero 0
	.end_amdhsa_kernel
	.section	.text._ZL33flash_attn_stream_k_fixup_generalILi64ELi1ELi8EEvPfPK15HIP_vector_typeIfLj2EEiiiiS1_IjLj3EES5_S5_S5_,"axG",@progbits,_ZL33flash_attn_stream_k_fixup_generalILi64ELi1ELi8EEvPfPK15HIP_vector_typeIfLj2EEiiiiS1_IjLj3EES5_S5_S5_,comdat
.Lfunc_end16:
	.size	_ZL33flash_attn_stream_k_fixup_generalILi64ELi1ELi8EEvPfPK15HIP_vector_typeIfLj2EEiiiiS1_IjLj3EES5_S5_S5_, .Lfunc_end16-_ZL33flash_attn_stream_k_fixup_generalILi64ELi1ELi8EEvPfPK15HIP_vector_typeIfLj2EEiiiiS1_IjLj3EES5_S5_S5_
                                        ; -- End function
	.section	.AMDGPU.csdata,"",@progbits
; Kernel info:
; codeLenInByte = 3200
; NumSgprs: 34
; NumVgprs: 19
; ScratchSize: 0
; MemoryBound: 0
; FloatMode: 240
; IeeeMode: 1
; LDSByteSize: 0 bytes/workgroup (compile time only)
; SGPRBlocks: 4
; VGPRBlocks: 2
; NumSGPRsForWavesPerEU: 34
; NumVGPRsForWavesPerEU: 19
; Occupancy: 16
; WaveLimiterHint : 0
; COMPUTE_PGM_RSRC2:SCRATCH_EN: 0
; COMPUTE_PGM_RSRC2:USER_SGPR: 13
; COMPUTE_PGM_RSRC2:TRAP_HANDLER: 0
; COMPUTE_PGM_RSRC2:TGID_X_EN: 1
; COMPUTE_PGM_RSRC2:TGID_Y_EN: 1
; COMPUTE_PGM_RSRC2:TGID_Z_EN: 1
; COMPUTE_PGM_RSRC2:TIDIG_COMP_CNT: 0
	.section	.text._ZL15flash_attn_tileILi64ELi64ELi16ELi4ELb0EEvPKcS1_S1_S1_S1_PKiPfP15HIP_vector_typeIfLj2EEffffjfiS5_IjLj3EEiiiiiiiiiiiliiliiiiil,"axG",@progbits,_ZL15flash_attn_tileILi64ELi64ELi16ELi4ELb0EEvPKcS1_S1_S1_S1_PKiPfP15HIP_vector_typeIfLj2EEffffjfiS5_IjLj3EEiiiiiiiiiiiliiliiiiil,comdat
	.globl	_ZL15flash_attn_tileILi64ELi64ELi16ELi4ELb0EEvPKcS1_S1_S1_S1_PKiPfP15HIP_vector_typeIfLj2EEffffjfiS5_IjLj3EEiiiiiiiiiiiliiliiiiil ; -- Begin function _ZL15flash_attn_tileILi64ELi64ELi16ELi4ELb0EEvPKcS1_S1_S1_S1_PKiPfP15HIP_vector_typeIfLj2EEffffjfiS5_IjLj3EEiiiiiiiiiiiliiliiiiil
	.p2align	8
	.type	_ZL15flash_attn_tileILi64ELi64ELi16ELi4ELb0EEvPKcS1_S1_S1_S1_PKiPfP15HIP_vector_typeIfLj2EEffffjfiS5_IjLj3EEiiiiiiiiiiiliiliiiiil,@function
_ZL15flash_attn_tileILi64ELi64ELi16ELi4ELb0EEvPKcS1_S1_S1_S1_PKiPfP15HIP_vector_typeIfLj2EEffffjfiS5_IjLj3EEiiiiiiiiiiiliiliiiiil: ; @_ZL15flash_attn_tileILi64ELi64ELi16ELi4ELb0EEvPKcS1_S1_S1_S1_PKiPfP15HIP_vector_typeIfLj2EEffffjfiS5_IjLj3EEiiiiiiiiiiiliiliiiiil
; %bb.0:
	s_clause 0x3
	s_load_b128 s[4:7], s[0:1], 0x5c
	s_load_b64 s[34:35], s[0:1], 0x80
	s_load_b512 s[16:31], s[0:1], 0x0
	s_load_b64 s[54:55], s[0:1], 0xb8
	s_mov_b64 s[52:53], 0
	s_waitcnt lgkmcnt(0)
	s_ashr_i32 s2, s7, 31
	s_delay_alu instid0(SALU_CYCLE_1) | instskip(NEXT) | instid1(SALU_CYCLE_1)
	s_lshr_b32 s2, s2, 30
	s_add_i32 s2, s7, s2
	s_delay_alu instid0(SALU_CYCLE_1) | instskip(NEXT) | instid1(SALU_CYCLE_1)
	s_ashr_i32 s2, s2, 2
	v_cvt_f32_u32_e32 v1, s2
	s_sub_i32 s8, 0, s2
	s_delay_alu instid0(VALU_DEP_1) | instskip(SKIP_2) | instid1(VALU_DEP_1)
	v_rcp_iflag_f32_e32 v1, v1
	s_waitcnt_depctr 0xfff
	v_mul_f32_e32 v1, 0x4f7ffffe, v1
	v_cvt_u32_f32_e32 v1, v1
	s_delay_alu instid0(VALU_DEP_1) | instskip(NEXT) | instid1(VALU_DEP_1)
	v_readfirstlane_b32 s3, v1
	s_mul_i32 s8, s8, s3
	s_delay_alu instid0(SALU_CYCLE_1) | instskip(NEXT) | instid1(SALU_CYCLE_1)
	s_mul_hi_u32 s8, s3, s8
	s_add_i32 s3, s3, s8
	s_delay_alu instid0(SALU_CYCLE_1) | instskip(NEXT) | instid1(SALU_CYCLE_1)
	s_mul_hi_u32 s3, s15, s3
	s_mul_i32 s8, s3, s2
	s_add_i32 s9, s3, 1
	s_sub_i32 s8, s15, s8
	s_delay_alu instid0(SALU_CYCLE_1)
	s_sub_i32 s10, s8, s2
	s_cmp_ge_u32 s8, s2
	s_cselect_b32 s3, s9, s3
	s_cselect_b32 s8, s10, s8
	s_add_i32 s9, s3, 1
	s_cmp_ge_u32 s8, s2
	s_cselect_b32 s12, s9, s3
	s_abs_i32 s3, s35
	s_abs_i32 s11, s7
	v_cvt_f32_u32_e32 v1, s3
	s_sub_i32 s8, 0, s3
	s_lshl_b32 s9, s15, 2
	s_mul_i32 s10, s12, s7
	s_delay_alu instid0(VALU_DEP_1) | instskip(SKIP_2) | instid1(VALU_DEP_1)
	v_rcp_iflag_f32_e32 v1, v1
	s_waitcnt_depctr 0xfff
	v_mul_f32_e32 v1, 0x4f7ffffe, v1
	v_cvt_u32_f32_e32 v1, v1
	s_delay_alu instid0(VALU_DEP_1) | instskip(NEXT) | instid1(VALU_DEP_1)
	v_readfirstlane_b32 s2, v1
	s_mul_i32 s8, s8, s2
	s_delay_alu instid0(SALU_CYCLE_1) | instskip(NEXT) | instid1(SALU_CYCLE_1)
	s_mul_hi_u32 s8, s2, s8
	s_add_i32 s8, s2, s8
	s_sub_i32 s2, s9, s10
	s_mul_hi_u32 s8, s11, s8
	s_xor_b32 s9, s7, s35
	s_mul_i32 s10, s8, s3
	s_ashr_i32 s9, s9, 31
	s_sub_i32 s10, s11, s10
	s_add_i32 s11, s8, 1
	s_sub_i32 s15, s10, s3
	s_cmp_ge_u32 s10, s3
	s_cselect_b32 s8, s11, s8
	s_cselect_b32 s10, s15, s10
	s_add_i32 s11, s8, 1
	s_cmp_ge_u32 s10, s3
	s_cselect_b32 s3, s11, s8
	s_delay_alu instid0(SALU_CYCLE_1) | instskip(NEXT) | instid1(SALU_CYCLE_1)
	s_xor_b32 s3, s3, s9
	s_sub_i32 s35, s3, s9
	s_delay_alu instid0(SALU_CYCLE_1) | instskip(SKIP_2) | instid1(VALU_DEP_1)
	s_abs_i32 s33, s35
	s_cmp_eq_u64 s[22:23], 0
	v_cvt_f32_u32_e32 v1, s33
	v_rcp_iflag_f32_e32 v1, v1
	s_waitcnt_depctr 0xfff
	v_mul_f32_e32 v1, 0x4f7ffffe, v1
	s_delay_alu instid0(VALU_DEP_1) | instskip(NEXT) | instid1(VALU_DEP_1)
	v_cvt_u32_f32_e32 v1, v1
	v_readfirstlane_b32 s56, v1
	s_cbranch_scc1 .LBB17_2
; %bb.1:
	s_abs_i32 s3, s54
	s_abs_i32 s10, s12
	v_cvt_f32_u32_e32 v1, s3
	s_sub_i32 s9, 0, s3
	s_delay_alu instid0(VALU_DEP_1) | instskip(SKIP_2) | instid1(VALU_DEP_1)
	v_rcp_iflag_f32_e32 v1, v1
	s_waitcnt_depctr 0xfff
	v_mul_f32_e32 v1, 0x4f7ffffe, v1
	v_cvt_u32_f32_e32 v1, v1
	s_delay_alu instid0(VALU_DEP_1) | instskip(NEXT) | instid1(VALU_DEP_1)
	v_readfirstlane_b32 s8, v1
	s_mul_i32 s9, s9, s8
	s_delay_alu instid0(SALU_CYCLE_1) | instskip(NEXT) | instid1(SALU_CYCLE_1)
	s_mul_hi_u32 s9, s8, s9
	s_add_i32 s11, s8, s9
	s_load_b64 s[8:9], s[0:1], 0xc8
	s_mul_hi_u32 s11, s10, s11
	s_delay_alu instid0(SALU_CYCLE_1) | instskip(NEXT) | instid1(SALU_CYCLE_1)
	s_mul_i32 s11, s11, s3
	s_sub_i32 s10, s10, s11
	s_ashr_i32 s11, s12, 31
	s_sub_i32 s15, s10, s3
	s_cmp_ge_u32 s10, s3
	s_cselect_b32 s10, s15, s10
	s_delay_alu instid0(SALU_CYCLE_1) | instskip(SKIP_2) | instid1(SALU_CYCLE_1)
	s_sub_i32 s15, s10, s3
	s_cmp_ge_u32 s10, s3
	s_cselect_b32 s3, s15, s10
	s_xor_b32 s3, s3, s11
	s_delay_alu instid0(SALU_CYCLE_1)
	s_sub_i32 s3, s3, s11
	s_waitcnt lgkmcnt(0)
	s_mul_i32 s9, s3, s9
	s_mul_hi_u32 s10, s3, s8
	s_ashr_i32 s11, s3, 31
	s_add_i32 s9, s10, s9
	s_mul_i32 s11, s11, s8
	s_mul_i32 s3, s3, s8
	s_add_i32 s9, s9, s11
	s_add_u32 s52, s22, s3
	s_addc_u32 s53, s23, s9
.LBB17_2:
	v_bfe_u32 v16, v0, 10, 10
	s_lshl_b32 s15, s13, 4
	s_load_b128 s[8:11], s[0:1], 0x70
	v_and_b32_e32 v61, 0x3ff, v0
	s_delay_alu instid0(VALU_DEP_2) | instskip(SKIP_1) | instid1(VALU_DEP_3)
	v_lshlrev_b32_e32 v87, 2, v16
	v_lshlrev_b32_e32 v1, 4, v16
	;; [unrolled: 1-line block ×3, first 2 shown]
	s_delay_alu instid0(VALU_DEP_3) | instskip(NEXT) | instid1(VALU_DEP_3)
	v_add_nc_u32_e32 v88, s15, v87
	v_or_b32_e32 v0, 4, v1
	v_or_b32_e32 v40, 5, v1
	;; [unrolled: 1-line block ×4, first 2 shown]
	v_mul_hi_u32 v2, v88, s4
	v_lshrrev_b32_e32 v85, 2, v0
	v_lshrrev_b32_e32 v83, 2, v40
	;; [unrolled: 1-line block ×4, first 2 shown]
	v_or_b32_e32 v46, 8, v1
	v_add_nc_u32_e32 v86, s15, v85
	s_waitcnt lgkmcnt(0)
	s_mul_i32 s3, s12, s10
	v_add_nc_u32_e32 v2, v88, v2
	s_mul_i32 s10, s2, s9
	s_ashr_i32 s11, s3, 31
	s_add_u32 s3, s16, s3
	s_addc_u32 s11, s17, s11
	v_lshrrev_b32_e32 v2, s5, v2
	s_ashr_i32 s16, s10, 31
	s_add_u32 s3, s3, s10
	s_addc_u32 s10, s11, s16
	s_ashr_i32 s11, s8, 31
	v_mul_lo_u32 v2, v2, s6
	v_alignbit_b32 v36, s11, s8, 2
	v_mul_hi_u32 v4, v86, s4
	s_lshr_b32 s11, s11, 2
	s_ashr_i32 s23, s9, 31
	s_mov_b32 s22, s9
	s_and_b32 s8, s9, -4
	s_lshr_b64 s[36:37], s[22:23], 2
	v_sub_nc_u32_e32 v17, v88, v2
	s_add_u32 s16, s3, s8
	v_add_nc_u32_e32 v6, v86, v4
	s_addc_u32 s17, s10, s23
	v_add_nc_u32_e32 v84, s15, v83
	v_mad_u64_u32 v[2:3], null, v36, v17, 0
	s_delay_alu instid0(VALU_DEP_3) | instskip(SKIP_1) | instid1(VALU_DEP_4)
	v_lshrrev_b32_e32 v6, s5, v6
	v_add_nc_u32_e32 v82, s15, v80
	v_mul_hi_u32 v12, v84, s4
	v_add_nc_u32_e32 v81, s15, v79
	v_lshrrev_b32_e32 v77, 2, v46
	v_or_b32_e32 v47, 9, v1
	v_mad_u64_u32 v[4:5], null, s11, v17, v[3:4]
	v_alignbit_b32 v5, s23, s9, 2
	s_lshl_b64 s[8:9], s[36:37], 3
	v_add_nc_u32_e32 v12, v84, v12
	s_add_u32 s8, s3, s8
	s_addc_u32 s9, s10, s9
	v_mul_lo_u32 v13, v5, 12
	s_delay_alu instid0(VALU_DEP_4)
	v_mov_b32_e32 v3, v4
	v_mul_lo_u32 v4, v6, s6
	v_mul_hi_u32 v14, v5, 12
	s_lshr_b32 s22, s23, 2
	v_lshrrev_b32_e32 v12, s5, v12
	v_lshlrev_b64 v[2:3], 2, v[2:3]
	s_mul_i32 s22, s22, 12
	v_add_nc_u32_e32 v78, s15, v77
	v_lshrrev_b32_e32 v74, 2, v47
	v_sub_nc_u32_e32 v15, v86, v4
	v_add_nc_u32_e32 v14, s22, v14
	v_add_co_u32 v4, vcc_lo, s3, v2
	v_add_co_ci_u32_e32 v5, vcc_lo, s10, v3, vcc_lo
	v_add_co_u32 v6, vcc_lo, s16, v2
	v_add_co_ci_u32_e32 v7, vcc_lo, s17, v3, vcc_lo
	;; [unrolled: 2-line block ×6, first 2 shown]
	v_add_co_u32 v43, vcc_lo, s3, v13
	v_mad_u64_u32 v[10:11], null, v36, v15, 0
	v_add_co_ci_u32_e32 v44, vcc_lo, s10, v14, vcc_lo
	v_mul_hi_u32 v13, v82, s4
	s_delay_alu instid0(VALU_DEP_4) | instskip(NEXT) | instid1(VALU_DEP_3)
	v_add_co_u32 v14, vcc_lo, v43, v2
	v_add_co_ci_u32_e32 v18, vcc_lo, v44, v3, vcc_lo
	v_mul_lo_u32 v19, v12, s6
	v_mad_u64_u32 v[2:3], null, s11, v15, v[11:12]
	s_delay_alu instid0(VALU_DEP_4)
	v_add_co_u32 v12, vcc_lo, v14, v42
	v_add_nc_u32_e32 v3, v82, v13
	v_add_co_ci_u32_e32 v13, vcc_lo, 0, v18, vcc_lo
	s_clause 0x3
	global_load_b64 v[4:5], v[4:5], off
	global_load_b64 v[6:7], v[6:7], off
	;; [unrolled: 1-line block ×4, first 2 shown]
	v_mul_hi_u32 v15, v81, s4
	v_lshrrev_b32_e32 v14, s5, v3
	v_sub_nc_u32_e32 v18, v84, v19
	v_dual_mov_b32 v11, v2 :: v_dual_add_nc_u32 v76, s15, v74
	s_cmp_eq_u64 s[26:27], 0
	s_delay_alu instid0(VALU_DEP_3) | instskip(NEXT) | instid1(VALU_DEP_3)
	v_mul_lo_u32 v14, v14, s6
	v_mad_u64_u32 v[2:3], null, v36, v18, 0
	v_add_nc_u32_e32 v15, v81, v15
	v_lshlrev_b64 v[10:11], 2, v[10:11]
	s_delay_alu instid0(VALU_DEP_4) | instskip(NEXT) | instid1(VALU_DEP_3)
	v_sub_nc_u32_e32 v20, v82, v14
	v_lshrrev_b32_e32 v21, s5, v15
	s_delay_alu instid0(VALU_DEP_3) | instskip(NEXT) | instid1(VALU_DEP_4)
	v_add_co_u32 v22, vcc_lo, s3, v10
	v_add_co_ci_u32_e32 v23, vcc_lo, s10, v11, vcc_lo
	s_waitcnt vmcnt(3)
	v_mad_u64_u32 v[14:15], null, s11, v18, v[3:4]
	v_mad_u64_u32 v[18:19], null, v36, v20, 0
	v_mul_lo_u32 v15, v21, s6
	v_mul_hi_u32 v21, v78, s4
	s_delay_alu instid0(VALU_DEP_3) | instskip(NEXT) | instid1(VALU_DEP_3)
	v_dual_mov_b32 v3, v14 :: v_dual_mov_b32 v10, v19
	v_sub_nc_u32_e32 v24, v81, v15
	s_delay_alu instid0(VALU_DEP_3) | instskip(NEXT) | instid1(VALU_DEP_3)
	v_add_nc_u32_e32 v19, v78, v21
	v_lshlrev_b64 v[2:3], 2, v[2:3]
	s_delay_alu instid0(VALU_DEP_4) | instskip(NEXT) | instid1(VALU_DEP_4)
	v_mad_u64_u32 v[14:15], null, s11, v20, v[10:11]
	v_mad_u64_u32 v[10:11], null, v36, v24, 0
	s_delay_alu instid0(VALU_DEP_4) | instskip(SKIP_3) | instid1(VALU_DEP_4)
	v_lshrrev_b32_e32 v15, s5, v19
	v_add_co_u32 v20, vcc_lo, v22, v42
	v_mul_hi_u32 v22, v76, s4
	v_mov_b32_e32 v19, v14
	v_mul_lo_u32 v15, v15, s6
	v_add_co_ci_u32_e32 v21, vcc_lo, 0, v23, vcc_lo
	v_add_co_u32 v23, vcc_lo, s16, v2
	v_add_co_ci_u32_e32 v25, vcc_lo, s17, v3, vcc_lo
	v_lshlrev_b64 v[2:3], 2, v[18:19]
	v_sub_nc_u32_e32 v26, v78, v15
	s_waitcnt vmcnt(0)
	v_mad_u64_u32 v[14:15], null, s11, v24, v[11:12]
	v_add_nc_u32_e32 v11, v76, v22
	s_delay_alu instid0(VALU_DEP_3) | instskip(NEXT) | instid1(VALU_DEP_2)
	v_mad_u64_u32 v[18:19], null, v36, v26, 0
	v_lshrrev_b32_e32 v15, s5, v11
	s_delay_alu instid0(VALU_DEP_4)
	v_mov_b32_e32 v11, v14
	v_add_co_u32 v22, vcc_lo, v23, v42
	v_add_co_ci_u32_e32 v23, vcc_lo, 0, v25, vcc_lo
	v_add_co_u32 v24, vcc_lo, s8, v2
	v_mov_b32_e32 v2, v19
	v_or_b32_e32 v48, 10, v1
	v_mul_lo_u32 v19, v15, s6
	v_add_co_ci_u32_e32 v3, vcc_lo, s9, v3, vcc_lo
	v_add_co_u32 v14, vcc_lo, v24, v42
	s_delay_alu instid0(VALU_DEP_4) | instskip(NEXT) | instid1(VALU_DEP_3)
	v_lshrrev_b32_e32 v73, 2, v48
	v_mad_u64_u32 v[24:25], null, s11, v26, v[2:3]
	v_sub_nc_u32_e32 v26, v76, v19
	v_or_b32_e32 v49, 11, v1
	s_delay_alu instid0(VALU_DEP_4) | instskip(SKIP_1) | instid1(VALU_DEP_4)
	v_add_nc_u32_e32 v75, s15, v73
	v_add_co_ci_u32_e32 v15, vcc_lo, 0, v3, vcc_lo
	v_mad_u64_u32 v[2:3], null, v36, v26, 0
	s_delay_alu instid0(VALU_DEP_3)
	v_mul_hi_u32 v25, v75, s4
	v_lshrrev_b32_e32 v70, 2, v49
	v_mov_b32_e32 v19, v24
	v_lshlrev_b64 v[10:11], 2, v[10:11]
	v_or_b32_e32 v50, 12, v1
	v_or_b32_e32 v51, 13, v1
	v_add_nc_u32_e32 v72, s15, v70
	v_lshlrev_b64 v[18:19], 2, v[18:19]
	v_add_nc_u32_e32 v27, v75, v25
	v_mad_u64_u32 v[24:25], null, s11, v26, v[3:4]
	s_delay_alu instid0(VALU_DEP_4) | instskip(SKIP_1) | instid1(VALU_DEP_4)
	v_mul_hi_u32 v25, v72, s4
	v_add_co_u32 v10, vcc_lo, v43, v10
	v_lshrrev_b32_e32 v3, s5, v27
	v_add_co_ci_u32_e32 v11, vcc_lo, v44, v11, vcc_lo
	v_lshrrev_b32_e32 v69, 2, v50
	s_delay_alu instid0(VALU_DEP_4) | instskip(NEXT) | instid1(VALU_DEP_4)
	v_add_co_u32 v10, vcc_lo, v10, v42
	v_mul_lo_u32 v26, v3, s6
	v_mov_b32_e32 v3, v24
	v_add_nc_u32_e32 v24, v72, v25
	v_add_co_ci_u32_e32 v11, vcc_lo, 0, v11, vcc_lo
	v_add_co_u32 v18, vcc_lo, s3, v18
	v_add_nc_u32_e32 v71, s15, v69
	v_sub_nc_u32_e32 v27, v75, v26
	v_lshrrev_b32_e32 v26, s5, v24
	v_add_co_ci_u32_e32 v19, vcc_lo, s10, v19, vcc_lo
	v_lshlrev_b64 v[2:3], 2, v[2:3]
	s_delay_alu instid0(VALU_DEP_4) | instskip(NEXT) | instid1(VALU_DEP_4)
	v_mad_u64_u32 v[24:25], null, v36, v27, 0
	v_mul_lo_u32 v26, v26, s6
	v_add_co_u32 v18, vcc_lo, v18, v42
	v_mul_hi_u32 v31, v71, s4
	v_add_co_ci_u32_e32 v19, vcc_lo, 0, v19, vcc_lo
	v_lshrrev_b32_e32 v67, 2, v51
	v_add_co_u32 v28, vcc_lo, s16, v2
	v_mov_b32_e32 v2, v25
	v_sub_nc_u32_e32 v30, v72, v26
	s_delay_alu instid0(VALU_DEP_4) | instskip(SKIP_1) | instid1(VALU_DEP_4)
	v_add_nc_u32_e32 v68, s15, v67
	v_add_co_ci_u32_e32 v29, vcc_lo, s17, v3, vcc_lo
	v_mad_u64_u32 v[25:26], null, s11, v27, v[2:3]
	v_add_co_u32 v26, vcc_lo, v28, v42
	v_add_nc_u32_e32 v28, v71, v31
	v_mad_u64_u32 v[2:3], null, v36, v30, 0
	v_mul_hi_u32 v31, v68, s4
	v_or_b32_e32 v52, 14, v1
	s_delay_alu instid0(VALU_DEP_4) | instskip(SKIP_2) | instid1(VALU_DEP_4)
	v_lshrrev_b32_e32 v32, s5, v28
	v_or_b32_e32 v53, 15, v1
	v_add_co_ci_u32_e32 v27, vcc_lo, 0, v29, vcc_lo
	v_lshrrev_b32_e32 v65, 2, v52
	v_mad_u64_u32 v[28:29], null, s11, v30, v[3:4]
	v_mul_lo_u32 v3, v32, s6
	v_add_nc_u32_e32 v29, v68, v31
	s_delay_alu instid0(VALU_DEP_4)
	v_add_nc_u32_e32 v66, s15, v65
	v_lshrrev_b32_e32 v63, 2, v53
	v_lshlrev_b64 v[24:25], 2, v[24:25]
	s_clause 0x3
	global_load_b64 v[20:21], v[20:21], off
	global_load_b64 v[22:23], v[22:23], off
	;; [unrolled: 1-line block ×4, first 2 shown]
	v_lshrrev_b32_e32 v29, s5, v29
	v_mul_hi_u32 v31, v66, s4
	v_sub_nc_u32_e32 v34, v71, v3
	v_add_nc_u32_e32 v64, s15, v63
	v_add_co_u32 v1, vcc_lo, s8, v24
	v_mul_lo_u32 v32, v29, s6
	v_add_co_ci_u32_e32 v30, vcc_lo, s9, v25, vcc_lo
	v_mad_u64_u32 v[24:25], null, v36, v34, 0
	v_mul_hi_u32 v33, v64, s4
	v_mov_b32_e32 v3, v28
	v_add_nc_u32_e32 v31, v66, v31
	v_sub_nc_u32_e32 v35, v68, v32
	v_add_co_u32 v28, vcc_lo, v1, v42
	s_delay_alu instid0(VALU_DEP_4)
	v_lshlrev_b64 v[1:2], 2, v[2:3]
	v_mov_b32_e32 v3, v25
	v_lshrrev_b32_e32 v25, s5, v31
	v_add_nc_u32_e32 v37, v64, v33
	v_add_co_ci_u32_e32 v29, vcc_lo, 0, v30, vcc_lo
	v_mad_u64_u32 v[30:31], null, v36, v35, 0
	v_mad_u64_u32 v[32:33], null, s11, v34, v[3:4]
	v_mul_lo_u32 v3, v25, s6
	v_lshrrev_b32_e32 v33, s5, v37
	v_add_co_u32 v34, vcc_lo, v43, v1
	v_mov_b32_e32 v1, v31
	v_add_co_ci_u32_e32 v37, vcc_lo, v44, v2, vcc_lo
	s_delay_alu instid0(VALU_DEP_4) | instskip(SKIP_1) | instid1(VALU_DEP_4)
	v_mul_lo_u32 v31, v33, s6
	v_sub_nc_u32_e32 v38, v66, v3
	v_mad_u64_u32 v[2:3], null, s11, v35, v[1:2]
	v_mov_b32_e32 v25, v32
	v_add_co_u32 v34, vcc_lo, v34, v42
	s_delay_alu instid0(VALU_DEP_4) | instskip(SKIP_1) | instid1(VALU_DEP_4)
	v_mad_u64_u32 v[32:33], null, v36, v38, 0
	v_sub_nc_u32_e32 v54, v64, v31
	v_lshlrev_b64 v[24:25], 2, v[24:25]
	v_mov_b32_e32 v31, v2
	v_add_co_ci_u32_e32 v35, vcc_lo, 0, v37, vcc_lo
	s_delay_alu instid0(VALU_DEP_4) | instskip(SKIP_4) | instid1(VALU_DEP_4)
	v_mad_u64_u32 v[2:3], null, v36, v54, 0
	v_mov_b32_e32 v1, v33
	v_add_co_u32 v33, vcc_lo, s3, v24
	v_add_co_ci_u32_e32 v37, vcc_lo, s10, v25, vcc_lo
	v_lshlrev_b64 v[24:25], 2, v[30:31]
	v_mad_u64_u32 v[30:31], null, s11, v38, v[1:2]
	v_mov_b32_e32 v1, v3
	v_add_co_u32 v36, vcc_lo, v33, v42
	v_add_co_ci_u32_e32 v37, vcc_lo, 0, v37, vcc_lo
	s_delay_alu instid0(VALU_DEP_3) | instskip(SKIP_3) | instid1(VALU_DEP_3)
	v_mad_u64_u32 v[38:39], null, s11, v54, v[1:2]
	v_add_co_u32 v1, vcc_lo, s16, v24
	v_add_co_ci_u32_e32 v3, vcc_lo, s17, v25, vcc_lo
	v_mov_b32_e32 v33, v30
	v_add_co_u32 v24, vcc_lo, v1, v42
	s_delay_alu instid0(VALU_DEP_3) | instskip(SKIP_1) | instid1(VALU_DEP_4)
	v_add_co_ci_u32_e32 v25, vcc_lo, 0, v3, vcc_lo
	v_mov_b32_e32 v3, v38
	v_lshlrev_b64 v[30:31], 2, v[32:33]
	s_clause 0x5
	global_load_b64 v[18:19], v[18:19], off
	global_load_b64 v[26:27], v[26:27], off
	;; [unrolled: 1-line block ×6, first 2 shown]
	s_load_b32 s3, s[0:1], 0x40
	v_lshlrev_b32_e32 v60, 2, v61
	v_lshlrev_b64 v[1:2], 2, v[2:3]
	v_lshlrev_b32_e32 v37, 5, v41
	v_add_co_u32 v3, vcc_lo, s8, v30
	v_add_co_ci_u32_e32 v30, vcc_lo, s9, v31, vcc_lo
	s_delay_alu instid0(VALU_DEP_4) | instskip(SKIP_1) | instid1(VALU_DEP_4)
	v_add_co_u32 v31, vcc_lo, v43, v1
	v_add_co_ci_u32_e32 v36, vcc_lo, v44, v2, vcc_lo
	v_add_co_u32 v1, vcc_lo, v3, v42
	s_delay_alu instid0(VALU_DEP_4) | instskip(NEXT) | instid1(VALU_DEP_4)
	v_add_co_ci_u32_e32 v2, vcc_lo, 0, v30, vcc_lo
	v_add_co_u32 v30, vcc_lo, v31, v42
	s_delay_alu instid0(VALU_DEP_4)
	v_add_co_ci_u32_e32 v31, vcc_lo, 0, v36, vcc_lo
	s_clause 0x1
	global_load_b64 v[1:2], v[1:2], off
	global_load_b64 v[30:31], v[30:31], off
	v_lshl_or_b32 v3, v16, 11, v60
	s_waitcnt lgkmcnt(0)
	v_fma_mixlo_f16 v4, v4, s3, 0
	v_fma_mixlo_f16 v6, v6, s3, 0
	;; [unrolled: 1-line block ×4, first 2 shown]
	v_add_nc_u32_e32 v3, 0x4400, v3
	v_fma_mixhi_f16 v4, v5, s3, 0
	v_fma_mixhi_f16 v6, v7, s3, 0
	;; [unrolled: 1-line block ×4, first 2 shown]
	ds_store_2addr_b32 v3, v4, v6 offset1:32
	ds_store_2addr_b32 v3, v8, v12 offset0:64 offset1:96
	v_lshlrev_b32_e32 v36, 5, v40
	v_lshlrev_b32_e32 v38, 5, v45
	v_lshl_or_b32 v0, v0, 7, v60
	v_lshlrev_b32_e32 v40, 5, v47
	v_lshlrev_b32_e32 v41, 5, v48
	;; [unrolled: 1-line block ×4, first 2 shown]
	v_add_lshl_u32 v36, v36, v61, 2
	v_add_lshl_u32 v37, v37, v61, 2
	;; [unrolled: 1-line block ×3, first 2 shown]
	v_lshl_or_b32 v39, v46, 7, v60
	v_lshl_or_b32 v43, v50, 7, v60
	v_add_lshl_u32 v5, v40, v61, 2
	v_add_lshl_u32 v7, v41, v61, 2
	;; [unrolled: 1-line block ×3, first 2 shown]
	s_waitcnt vmcnt(11)
	v_fma_mixlo_f16 v3, v20, s3, 0
	s_waitcnt vmcnt(10)
	v_fma_mixlo_f16 v4, v22, s3, 0
	;; [unrolled: 2-line block ×4, first 2 shown]
	v_fma_mixhi_f16 v3, v21, s3, 0
	v_fma_mixhi_f16 v4, v23, s3, 0
	;; [unrolled: 1-line block ×3, first 2 shown]
	s_delay_alu instid0(VALU_DEP_4)
	v_fma_mixhi_f16 v8, v11, s3, 0
	v_lshlrev_b32_e32 v11, 5, v52
	v_add_lshl_u32 v21, v44, v61, 2
	s_waitcnt vmcnt(7)
	v_fma_mixlo_f16 v10, v18, s3, 0
	s_waitcnt vmcnt(6)
	v_fma_mixlo_f16 v12, v26, s3, 0
	s_waitcnt vmcnt(5)
	v_fma_mixlo_f16 v13, v28, s3, 0
	s_waitcnt vmcnt(4)
	v_fma_mixlo_f16 v14, v32, s3, 0
	s_waitcnt vmcnt(3)
	v_fma_mixlo_f16 v18, v34, s3, 0
	s_waitcnt vmcnt(2)
	v_fma_mixlo_f16 v20, v24, s3, 0
	v_fma_mixhi_f16 v10, v19, s3, 0
	v_lshlrev_b32_e32 v19, 5, v53
	v_fma_mixhi_f16 v12, v27, s3, 0
	v_fma_mixhi_f16 v13, v29, s3, 0
	;; [unrolled: 1-line block ×5, first 2 shown]
	s_waitcnt vmcnt(1)
	v_fma_mixlo_f16 v1, v1, s3, 0
	s_waitcnt vmcnt(0)
	v_fma_mixlo_f16 v15, v30, s3, 0
	s_delay_alu instid0(VALU_DEP_2) | instskip(SKIP_1) | instid1(VALU_DEP_3)
	v_fma_mixhi_f16 v1, v2, s3, 0
	v_add_lshl_u32 v2, v11, v61, 2
	v_fma_mixhi_f16 v15, v31, s3, 0
	v_add_lshl_u32 v11, v19, v61, 2
	ds_store_b32 v0, v3 offset:17408
	ds_store_b32 v36, v4 offset:17408
	;; [unrolled: 1-line block ×12, first 2 shown]
	s_waitcnt lgkmcnt(0)
	s_barrier
	buffer_gl0_inv
	s_cbranch_scc1 .LBB17_4
; %bb.3:
	s_load_b32 s3, s[0:1], 0xd0
	s_mov_b32 s9, 0
	s_waitcnt lgkmcnt(0)
	s_mul_i32 s3, s3, s12
	s_delay_alu instid0(SALU_CYCLE_1) | instskip(NEXT) | instid1(SALU_CYCLE_1)
	s_add_i32 s8, s3, s13
	s_lshl_b64 s[8:9], s[8:9], 2
	s_delay_alu instid0(SALU_CYCLE_1)
	s_add_u32 s8, s26, s8
	s_addc_u32 s9, s27, s9
	s_load_b32 s34, s[8:9], 0x0
.LBB17_4:
	v_mbcnt_lo_u32_b32 v62, -1, 0
	s_lshl_b32 s3, s14, 6
	s_waitcnt lgkmcnt(0)
	s_cmp_lt_i32 s3, s34
	s_cbranch_scc1 .LBB17_6
; %bb.5:
	v_mbcnt_lo_u32_b32 v33, -1, 0
	v_mov_b32_e32 v90, 32
	s_mov_b32 s36, 0xfeffffff
	s_mov_b32 s8, 0
	;; [unrolled: 1-line block ×3, first 2 shown]
	v_xor_b32_e32 v94, 16, v33
	v_xor_b32_e32 v95, 8, v33
	;; [unrolled: 1-line block ×5, first 2 shown]
	s_mov_b32 s38, s36
	s_mov_b32 s39, s36
	;; [unrolled: 1-line block ×14, first 2 shown]
	s_branch .LBB17_7
.LBB17_6:
	s_mov_b32 s8, -1
                                        ; implicit-def: $sgpr36_sgpr37_sgpr38_sgpr39_sgpr40_sgpr41_sgpr42_sgpr43_sgpr44_sgpr45_sgpr46_sgpr47_sgpr48_sgpr49_sgpr50_sgpr51
                                        ; implicit-def: $vgpr33
                                        ; implicit-def: $vgpr90
                                        ; implicit-def: $vgpr94
                                        ; implicit-def: $vgpr95
                                        ; implicit-def: $vgpr92
                                        ; implicit-def: $vgpr93
                                        ; implicit-def: $vgpr91
.LBB17_7:
	s_delay_alu instid0(SALU_CYCLE_1) | instskip(SKIP_2) | instid1(VALU_DEP_3)
	v_cndmask_b32_e64 v18, 0, 1, s8
	v_dual_mov_b32 v89, s8 :: v_dual_mov_b32 v0, s36
	v_dual_mov_b32 v1, s37 :: v_dual_mov_b32 v2, s38
	v_cmp_ne_u32_e32 vcc_lo, 1, v18
	v_dual_mov_b32 v3, s39 :: v_dual_mov_b32 v4, s40
	v_dual_mov_b32 v5, s41 :: v_dual_mov_b32 v6, s42
	;; [unrolled: 1-line block ×22, first 2 shown]
	s_cbranch_vccnz .LBB17_11
; %bb.8:
	s_clause 0x1
	s_load_b128 s[8:11], s[0:1], 0x98
	s_load_b64 s[16:17], s[0:1], 0x8c
	v_dual_mov_b32 v120, 0 :: v_dual_add_nc_u32 v11, 1, v88
	s_sub_i32 s13, 0, s33
	s_abs_i32 s26, s2
	s_mul_i32 s13, s13, s56
	s_delay_alu instid0(VALU_DEP_1)
	v_mul_hi_u32 v6, s4, v11
	s_mul_hi_u32 s13, s56, s13
	s_ashr_i32 s38, s12, 31
	s_add_i32 s56, s56, s13
	v_lshrrev_b32_e32 v0, 3, v61
	s_mul_hi_u32 s37, s26, s56
	v_dual_mov_b32 v123, 0 :: v_dual_and_b32 v18, 28, v60
	s_delay_alu instid0(VALU_DEP_3)
	v_dual_mov_b32 v126, 0 :: v_dual_add_nc_u32 v9, v11, v6
	s_ashr_i32 s27, s2, 31
	s_ashr_i32 s35, s35, 31
	s_load_b64 s[22:23], s[0:1], 0xa8
	s_waitcnt lgkmcnt(0)
	s_mul_i32 s9, s12, s9
	s_ashr_i32 s13, s16, 2
	s_mul_hi_u32 s16, s12, s8
	s_mul_i32 s40, s38, s8
	s_add_i32 s9, s16, s9
	s_mul_i32 s8, s12, s8
	s_ashr_i32 s36, s55, 1
	s_mul_i32 s39, s37, s33
	s_ashr_i32 s10, s10, 2
	s_add_i32 s9, s9, s40
	s_add_u32 s8, s18, s8
	s_addc_u32 s9, s19, s9
	s_sub_i32 s18, s26, s39
	s_xor_b32 s16, s27, s35
	s_add_i32 s19, s37, 1
	s_sub_i32 s26, s18, s33
	v_dual_mov_b32 v121, 0 :: v_dual_add_nc_u32 v0, v0, v87
	v_dual_mov_b32 v125, 0 :: v_dual_lshlrev_b32 v10, 2, v18
	v_add_nc_u32_e32 v13, 3, v88
	v_lshrrev_b32_e32 v9, s5, v9
	s_cmp_ge_u32 s18, s33
	v_mul_lo_u32 v1, s13, v0
	s_cselect_b32 s19, s19, s37
	s_cselect_b32 s18, s26, s18
	s_add_i32 s26, s19, 1
	v_mad_u32_u24 v96, 0x90, v0, v10
	v_dual_mov_b32 v132, 0 :: v_dual_lshlrev_b32 v15, 11, v16
	v_mul_lo_u32 v16, v9, s6
	v_mul_lo_u32 v9, s10, v0
	v_lshl_or_b32 v106, v0, 7, v10
	v_mov_b32_e32 v0, 0xfeffffff
	v_mul_hi_u32 v8, s4, v13
	s_cmp_ge_u32 s18, s33
	v_dual_mov_b32 v127, 0 :: v_dual_add_nc_u32 v12, 2, v88
	s_cselect_b32 s18, s26, s19
	s_mul_i32 s19, s12, s23
	s_xor_b32 s18, s18, s16
	s_delay_alu instid0(VALU_DEP_1)
	v_mul_hi_u32 v7, s4, v12
	s_sub_i32 s16, s18, s16
	v_dual_mov_b32 v129, 0 :: v_dual_add_nc_u32 v8, v13, v8
	s_mul_i32 s17, s16, s17
	s_mul_hi_u32 s23, s12, s22
	s_mul_i32 s38, s38, s22
	s_mul_i32 s18, s12, s22
	s_ashr_i32 s22, s17, 31
	s_add_u32 s8, s8, s17
	s_addc_u32 s9, s9, s22
	s_add_i32 s17, s23, s19
	v_lshrrev_b32_e32 v8, s5, v8
	s_mul_i32 s16, s16, s11
	s_add_i32 s17, s17, s38
	s_add_u32 s11, s20, s18
	s_addc_u32 s17, s21, s17
	s_ashr_i32 s18, s16, 31
	s_add_u32 s11, s11, s16
	v_dual_mov_b32 v128, 0 :: v_dual_add_nc_u32 v7, v12, v7
	v_mul_lo_u32 v19, v8, s6
	s_addc_u32 s16, s17, s18
	s_lshl_b32 s17, s13, 4
	s_delay_alu instid0(VALU_DEP_2) | instskip(SKIP_4) | instid1(VALU_DEP_3)
	v_lshrrev_b32_e32 v14, s5, v7
	v_dual_mov_b32 v90, 32 :: v_dual_add_nc_u32 v3, s17, v1
	s_lshl_b32 s4, s10, 4
	v_ashrrev_i32_e32 v2, 31, v1
	v_sub_nc_u32_e32 v16, v11, v16
	v_dual_mov_b32 v124, 0 :: v_dual_add_nc_u32 v5, s17, v3
	v_sub_nc_u32_e32 v13, v13, v19
	v_add_nc_u32_e32 v11, s4, v9
	v_mul_lo_u32 v14, v14, s6
	v_ashrrev_i32_e32 v4, 31, v3
	v_dual_mov_b32 v130, 0 :: v_dual_add_nc_u32 v7, s17, v5
	v_mul_lo_u32 v105, v13, s36
	v_lshlrev_b64 v[44:45], 2, v[1:2]
	v_dual_mov_b32 v2, 0xfeffffff :: v_dual_add_nc_u32 v13, s4, v11
	s_delay_alu instid0(VALU_DEP_4)
	v_ashrrev_i32_e32 v8, 31, v7
	v_add_nc_u32_e32 v101, 0x4400, v15
	v_sub_nc_u32_e32 v12, v12, v14
	v_dual_mov_b32 v20, 0 :: v_dual_add_nc_u32 v107, 0x2400, v15
	v_lshlrev_b64 v[46:47], 2, v[3:4]
	v_dual_mov_b32 v4, 0xfeffffff :: v_dual_add_nc_u32 v15, s4, v13
	v_ashrrev_i32_e32 v6, 31, v5
	v_mul_lo_u32 v103, v16, s36
	v_mul_lo_u32 v104, v12, s36
	v_ashrrev_i32_e32 v10, 31, v9
	v_ashrrev_i32_e32 v12, 31, v11
	;; [unrolled: 1-line block ×3, first 2 shown]
	v_lshlrev_b64 v[50:51], 2, v[7:8]
	v_mov_b32_e32 v8, 0xfeffffff
	v_ashrrev_i32_e32 v16, 31, v15
	v_mul_lo_u32 v102, v17, s36
	v_lshlrev_b32_e32 v17, 4, v61
	v_lshlrev_b64 v[48:49], 2, v[5:6]
	v_mov_b32_e32 v6, 0xfeffffff
	v_lshlrev_b64 v[52:53], 2, v[9:10]
	v_lshlrev_b64 v[54:55], 2, v[11:12]
	;; [unrolled: 1-line block ×4, first 2 shown]
	v_dual_mov_b32 v122, 0 :: v_dual_add_nc_u32 v97, 0x900, v96
	v_dual_mov_b32 v131, 0 :: v_dual_add_nc_u32 v98, 0x1200, v96
	;; [unrolled: 1-line block ×3, first 2 shown]
	v_mul_u32_u24_e32 v100, 0x90, v61
	v_dual_mov_b32 v133, 0 :: v_dual_add_nc_u32 v108, 0x800, v106
	v_dual_mov_b32 v22, 0 :: v_dual_add_nc_u32 v109, 0x1000, v106
	;; [unrolled: 1-line block ×3, first 2 shown]
	v_dual_mov_b32 v10, 0xfeffffff :: v_dual_lshlrev_b32 v111, 2, v18
	v_xor_b32_e32 v94, 16, v62
	v_xor_b32_e32 v95, 8, v62
	;; [unrolled: 1-line block ×5, first 2 shown]
	v_dual_mov_b32 v1, 0xfeffffff :: v_dual_add_nc_u32 v112, v107, v17
	v_dual_mov_b32 v24, 0 :: v_dual_add_nc_u32 v113, 0x400, v60
	v_dual_mov_b32 v19, 0 :: v_dual_add_nc_u32 v114, 0x800, v60
	v_dual_mov_b32 v26, 0 :: v_dual_add_nc_u32 v115, 0xc00, v60
	v_dual_mov_b32 v21, 0 :: v_dual_add_nc_u32 v116, 0x1000, v60
	v_dual_mov_b32 v28, 0 :: v_dual_add_nc_u32 v117, 0x1400, v60
	v_dual_mov_b32 v23, 0 :: v_dual_add_nc_u32 v118, 0x1800, v60
	v_dual_mov_b32 v30, 0 :: v_dual_add_nc_u32 v119, 0x1c00, v60
	v_dual_mov_b32 v3, 0xfeffffff :: v_dual_mov_b32 v12, 0xfeffffff
	v_dual_mov_b32 v5, 0xfeffffff :: v_dual_mov_b32 v14, 0xfeffffff
	;; [unrolled: 1-line block ×3, first 2 shown]
	v_mov_b32_e32 v9, 0xfeffffff
	v_mov_b32_e32 v11, 0xfeffffff
	;; [unrolled: 1-line block ×3, first 2 shown]
	v_dual_mov_b32 v15, 0xfeffffff :: v_dual_mov_b32 v18, 0
	v_mov_b32_e32 v25, 0
	v_mov_b32_e32 v27, 0
	;; [unrolled: 1-line block ×5, first 2 shown]
	s_add_u32 s4, s0, 0xd0
	s_addc_u32 s5, s1, 0
.LBB17_9:                               ; =>This Inner Loop Header: Depth=1
	s_mul_hi_i32 s19, s3, s13
	s_mul_i32 s18, s3, s13
	v_dual_mov_b32 v172, v2 :: v_dual_mov_b32 v179, v0
	s_lshl_b64 s[18:19], s[18:19], 2
	v_dual_mov_b32 v178, v1 :: v_dual_mov_b32 v187, 0
	s_add_u32 s17, s8, s18
	s_addc_u32 s18, s9, s19
	v_add_co_u32 v0, vcc_lo, s17, v44
	v_add_co_ci_u32_e32 v1, vcc_lo, s18, v45, vcc_lo
	v_dual_mov_b32 v166, v4 :: v_dual_mov_b32 v171, v3
	s_delay_alu instid0(VALU_DEP_3) | instskip(NEXT) | instid1(VALU_DEP_3)
	v_add_co_u32 v0, vcc_lo, v0, v111
	v_add_co_ci_u32_e32 v1, vcc_lo, 0, v1, vcc_lo
	v_dual_mov_b32 v135, v32 :: v_dual_mov_b32 v140, v30
	v_dual_mov_b32 v139, v31 :: v_dual_mov_b32 v144, v28
	global_load_b128 v[0:3], v[0:1], off
	v_dual_mov_b32 v143, v29 :: v_dual_mov_b32 v150, v26
	v_dual_mov_b32 v149, v27 :: v_dual_mov_b32 v158, v24
	;; [unrolled: 1-line block ×18, first 2 shown]
	v_mov_b32_e32 v147, 0
	v_dual_mov_b32 v185, 0 :: v_dual_mov_b32 v180, 0
	v_dual_mov_b32 v182, 0 :: v_dual_mov_b32 v173, 0
	s_mul_hi_i32 s19, s3, s10
	v_mov_b32_e32 v186, 0
	s_waitcnt vmcnt(0)
	ds_store_b128 v96, v[0:3]
	v_add_co_u32 v0, vcc_lo, s17, v46
	v_add_co_ci_u32_e32 v1, vcc_lo, s18, v47, vcc_lo
	s_delay_alu instid0(VALU_DEP_2) | instskip(NEXT) | instid1(VALU_DEP_2)
	v_add_co_u32 v0, vcc_lo, v0, v111
	v_add_co_ci_u32_e32 v1, vcc_lo, 0, v1, vcc_lo
	global_load_b128 v[0:3], v[0:1], off
	s_waitcnt vmcnt(0)
	ds_store_b128 v97, v[0:3]
	v_add_co_u32 v0, vcc_lo, s17, v48
	v_add_co_ci_u32_e32 v1, vcc_lo, s18, v49, vcc_lo
	s_delay_alu instid0(VALU_DEP_2) | instskip(NEXT) | instid1(VALU_DEP_2)
	v_add_co_u32 v0, vcc_lo, v0, v111
	v_add_co_ci_u32_e32 v1, vcc_lo, 0, v1, vcc_lo
	global_load_b128 v[0:3], v[0:1], off
	s_waitcnt vmcnt(0)
	ds_store_b128 v98, v[0:3]
	v_add_co_u32 v0, vcc_lo, s17, v50
	v_add_co_ci_u32_e32 v1, vcc_lo, s18, v51, vcc_lo
	s_mul_i32 s18, s3, s10
	s_delay_alu instid0(VALU_DEP_2) | instskip(NEXT) | instid1(VALU_DEP_2)
	v_add_co_u32 v0, vcc_lo, v0, v111
	v_add_co_ci_u32_e32 v1, vcc_lo, 0, v1, vcc_lo
	v_cmp_gt_i32_e32 vcc_lo, 32, v94
	s_lshl_b64 s[18:19], s[18:19], 2
	global_load_b128 v[0:3], v[0:1], off
	s_add_u32 s17, s11, s18
	s_addc_u32 s18, s16, s19
	s_waitcnt vmcnt(0)
	ds_store_b128 v99, v[0:3]
	s_waitcnt lgkmcnt(0)
	s_barrier
	buffer_gl0_inv
	ds_load_b128 v[188:191], v100
	ds_load_b128 v[0:3], v100 offset:4608
	ds_load_b128 v[192:195], v101
	ds_load_b128 v[196:199], v101 offset:128
	ds_load_b128 v[200:203], v101 offset:256
	;; [unrolled: 1-line block ×15, first 2 shown]
	s_waitcnt lgkmcnt(15)
	;;#ASMSTART
	v_dot2_f32_f16 v184, v188, v192, v184
	;;#ASMEND
	;;#ASMSTART
	v_dot2_f32_f16 v184, v189, v193, v184
	;;#ASMEND
	;;#ASMSTART
	v_dot2_f32_f16 v184, v190, v194, v184
	;;#ASMEND
	;;#ASMSTART
	v_dot2_f32_f16 v184, v191, v195, v184
	;;#ASMEND
	s_waitcnt lgkmcnt(14)
	;;#ASMSTART
	v_dot2_f32_f16 v187, v188, v196, v187
	;;#ASMEND
	;;#ASMSTART
	v_dot2_f32_f16 v187, v189, v197, v187
	;;#ASMEND
	;;#ASMSTART
	v_dot2_f32_f16 v187, v190, v198, v187
	;;#ASMEND
	;;#ASMSTART
	v_dot2_f32_f16 v187, v191, v199, v187
	;;#ASMEND
	;; [unrolled: 13-line block ×15, first 2 shown]
	s_waitcnt lgkmcnt(0)
	;;#ASMSTART
	v_dot2_f32_f16 v148, v188, v4, v148
	;;#ASMEND
	;;#ASMSTART
	v_dot2_f32_f16 v148, v189, v5, v148
	;;#ASMEND
	;; [unrolled: 3-line block ×3, first 2 shown]
	v_mov_b32_e32 v188, 0
	;;#ASMSTART
	v_dot2_f32_f16 v148, v191, v7, v148
	;;#ASMEND
	;;#ASMSTART
	v_dot2_f32_f16 v188, v0, v192, v188
	;;#ASMEND
	;; [unrolled: 3-line block ×4, first 2 shown]
	v_mov_b32_e32 v189, 0
	;;#ASMSTART
	v_dot2_f32_f16 v188, v3, v195, v188
	;;#ASMEND
	;;#ASMSTART
	v_dot2_f32_f16 v189, v0, v196, v189
	;;#ASMEND
	;; [unrolled: 3-line block ×24, first 2 shown]
	v_mov_b32_e32 v40, 0
	;;#ASMSTART
	v_dot2_f32_f16 v173, v3, v43, v173
	;;#ASMEND
	;;#ASMSTART
	v_dot2_f32_f16 v40, v0, v36, v40
	;;#ASMEND
	;; [unrolled: 3-line block ×5, first 2 shown]
	v_mov_b32_e32 v39, 0
	;;#ASMSTART
	v_dot2_f32_f16 v39, v0, v32, v39
	;;#ASMEND
	;;#ASMSTART
	v_dot2_f32_f16 v39, v1, v33, v39
	;;#ASMEND
	;; [unrolled: 3-line block ×3, first 2 shown]
	v_mov_b32_e32 v32, 0
	;;#ASMSTART
	v_dot2_f32_f16 v39, v3, v35, v39
	;;#ASMEND
	;;#ASMSTART
	v_dot2_f32_f16 v32, v0, v28, v32
	;;#ASMEND
	;; [unrolled: 3-line block ×3, first 2 shown]
	v_mov_b32_e32 v29, 0
	;;#ASMSTART
	v_dot2_f32_f16 v32, v2, v30, v32
	;;#ASMEND
	v_mov_b32_e32 v28, 0
	;;#ASMSTART
	v_dot2_f32_f16 v32, v3, v31, v32
	;;#ASMEND
	;;#ASMSTART
	v_dot2_f32_f16 v28, v0, v24, v28
	;;#ASMEND
	;; [unrolled: 3-line block ×8, first 2 shown]
	v_mov_b32_e32 v30, 0
	;;#ASMSTART
	v_dot2_f32_f16 v29, v3, v23, v29
	;;#ASMEND
	;;#ASMSTART
	v_dot2_f32_f16 v30, v0, v16, v30
	;;#ASMEND
	;;#ASMSTART
	v_dot2_f32_f16 v30, v1, v17, v30
	;;#ASMEND
	;;#ASMSTART
	v_dot2_f32_f16 v30, v2, v18, v30
	;;#ASMEND
	v_mov_b32_e32 v16, 0
	;;#ASMSTART
	v_dot2_f32_f16 v30, v3, v19, v30
	;;#ASMEND
	;;#ASMSTART
	v_dot2_f32_f16 v16, v0, v12, v16
	;;#ASMEND
	;;#ASMSTART
	v_dot2_f32_f16 v16, v1, v13, v16
	;;#ASMEND
	;;#ASMSTART
	v_dot2_f32_f16 v16, v2, v14, v16
	;;#ASMEND
	v_mov_b32_e32 v14, 0
	;;#ASMSTART
	v_dot2_f32_f16 v16, v3, v15, v16
	;;#ASMEND
	;;#ASMSTART
	v_dot2_f32_f16 v14, v0, v8, v14
	;;#ASMEND
	;;#ASMSTART
	v_dot2_f32_f16 v14, v1, v9, v14
	;;#ASMEND
	;;#ASMSTART
	v_dot2_f32_f16 v14, v2, v10, v14
	;;#ASMEND
	v_mov_b32_e32 v15, 0
	;;#ASMSTART
	v_dot2_f32_f16 v14, v3, v11, v14
	;;#ASMEND
	;;#ASMSTART
	v_dot2_f32_f16 v15, v0, v4, v15
	;;#ASMEND
	;;#ASMSTART
	v_dot2_f32_f16 v15, v1, v5, v15
	;;#ASMEND
	;;#ASMSTART
	v_dot2_f32_f16 v15, v2, v6, v15
	;;#ASMEND
	;;#ASMSTART
	v_dot2_f32_f16 v15, v3, v7, v15
	;;#ASMEND
	ds_load_b128 v[0:3], v100 offset:16
	ds_load_b128 v[4:7], v100 offset:4624
	;; [unrolled: 1-line block ×18, first 2 shown]
	s_waitcnt lgkmcnt(15)
	;;#ASMSTART
	v_dot2_f32_f16 v184, v0, v8, v184
	;;#ASMEND
	;;#ASMSTART
	v_dot2_f32_f16 v184, v1, v9, v184
	;;#ASMEND
	;;#ASMSTART
	v_dot2_f32_f16 v184, v2, v10, v184
	;;#ASMEND
	;;#ASMSTART
	v_dot2_f32_f16 v184, v3, v11, v184
	;;#ASMEND
	s_waitcnt lgkmcnt(14)
	;;#ASMSTART
	v_dot2_f32_f16 v187, v0, v17, v187
	;;#ASMEND
	;;#ASMSTART
	v_dot2_f32_f16 v187, v1, v18, v187
	;;#ASMEND
	;;#ASMSTART
	v_dot2_f32_f16 v187, v2, v19, v187
	;;#ASMEND
	;;#ASMSTART
	v_dot2_f32_f16 v187, v3, v20, v187
	;;#ASMEND
	;; [unrolled: 13-line block ×16, first 2 shown]
	;;#ASMSTART
	v_dot2_f32_f16 v188, v4, v8, v188
	;;#ASMEND
	;;#ASMSTART
	v_dot2_f32_f16 v188, v5, v9, v188
	;;#ASMEND
	;; [unrolled: 3-line block ×64, first 2 shown]
	ds_load_b128 v[0:3], v100 offset:32
	ds_load_b128 v[4:7], v100 offset:4640
	;; [unrolled: 1-line block ×18, first 2 shown]
	s_waitcnt lgkmcnt(15)
	;;#ASMSTART
	v_dot2_f32_f16 v184, v0, v8, v184
	;;#ASMEND
	;;#ASMSTART
	v_dot2_f32_f16 v184, v1, v9, v184
	;;#ASMEND
	;;#ASMSTART
	v_dot2_f32_f16 v184, v2, v10, v184
	;;#ASMEND
	;;#ASMSTART
	v_dot2_f32_f16 v184, v3, v11, v184
	;;#ASMEND
	s_waitcnt lgkmcnt(14)
	;;#ASMSTART
	v_dot2_f32_f16 v187, v0, v17, v187
	;;#ASMEND
	;;#ASMSTART
	v_dot2_f32_f16 v187, v1, v18, v187
	;;#ASMEND
	;;#ASMSTART
	v_dot2_f32_f16 v187, v2, v19, v187
	;;#ASMEND
	;;#ASMSTART
	v_dot2_f32_f16 v187, v3, v20, v187
	;;#ASMEND
	s_waitcnt lgkmcnt(13)
	;;#ASMSTART
	v_dot2_f32_f16 v181, v0, v21, v181
	;;#ASMEND
	;;#ASMSTART
	v_dot2_f32_f16 v181, v1, v22, v181
	;;#ASMEND
	;;#ASMSTART
	v_dot2_f32_f16 v181, v2, v23, v181
	;;#ASMEND
	;;#ASMSTART
	v_dot2_f32_f16 v181, v3, v24, v181
	;;#ASMEND
	s_waitcnt lgkmcnt(12)
	;;#ASMSTART
	v_dot2_f32_f16 v183, v0, v33, v183
	;;#ASMEND
	;;#ASMSTART
	v_dot2_f32_f16 v183, v1, v34, v183
	;;#ASMEND
	;;#ASMSTART
	v_dot2_f32_f16 v183, v2, v35, v183
	;;#ASMEND
	;;#ASMSTART
	v_dot2_f32_f16 v183, v3, v36, v183
	;;#ASMEND
	s_waitcnt lgkmcnt(11)
	;;#ASMSTART
	v_dot2_f32_f16 v174, v0, v190, v174
	;;#ASMEND
	;;#ASMSTART
	v_dot2_f32_f16 v174, v1, v191, v174
	;;#ASMEND
	;;#ASMSTART
	v_dot2_f32_f16 v174, v2, v192, v174
	;;#ASMEND
	;;#ASMSTART
	v_dot2_f32_f16 v174, v3, v193, v174
	;;#ASMEND
	s_waitcnt lgkmcnt(10)
	;;#ASMSTART
	v_dot2_f32_f16 v175, v0, v194, v175
	;;#ASMEND
	;;#ASMSTART
	v_dot2_f32_f16 v175, v1, v195, v175
	;;#ASMEND
	;;#ASMSTART
	v_dot2_f32_f16 v175, v2, v196, v175
	;;#ASMEND
	;;#ASMSTART
	v_dot2_f32_f16 v175, v3, v197, v175
	;;#ASMEND
	s_waitcnt lgkmcnt(9)
	;;#ASMSTART
	v_dot2_f32_f16 v168, v0, v198, v168
	;;#ASMEND
	;;#ASMSTART
	v_dot2_f32_f16 v168, v1, v199, v168
	;;#ASMEND
	;;#ASMSTART
	v_dot2_f32_f16 v168, v2, v200, v168
	;;#ASMEND
	;;#ASMSTART
	v_dot2_f32_f16 v168, v3, v201, v168
	;;#ASMEND
	s_waitcnt lgkmcnt(8)
	;;#ASMSTART
	v_dot2_f32_f16 v169, v0, v202, v169
	;;#ASMEND
	;;#ASMSTART
	v_dot2_f32_f16 v169, v1, v203, v169
	;;#ASMEND
	;;#ASMSTART
	v_dot2_f32_f16 v169, v2, v204, v169
	;;#ASMEND
	;;#ASMSTART
	v_dot2_f32_f16 v169, v3, v205, v169
	;;#ASMEND
	s_waitcnt lgkmcnt(7)
	;;#ASMSTART
	v_dot2_f32_f16 v160, v0, v206, v160
	;;#ASMEND
	;;#ASMSTART
	v_dot2_f32_f16 v160, v1, v207, v160
	;;#ASMEND
	;;#ASMSTART
	v_dot2_f32_f16 v160, v2, v208, v160
	;;#ASMEND
	;;#ASMSTART
	v_dot2_f32_f16 v160, v3, v209, v160
	;;#ASMEND
	s_waitcnt lgkmcnt(6)
	;;#ASMSTART
	v_dot2_f32_f16 v161, v0, v210, v161
	;;#ASMEND
	;;#ASMSTART
	v_dot2_f32_f16 v161, v1, v211, v161
	;;#ASMEND
	;;#ASMSTART
	v_dot2_f32_f16 v161, v2, v212, v161
	;;#ASMEND
	;;#ASMSTART
	v_dot2_f32_f16 v161, v3, v213, v161
	;;#ASMEND
	s_waitcnt lgkmcnt(5)
	;;#ASMSTART
	v_dot2_f32_f16 v155, v0, v214, v155
	;;#ASMEND
	;;#ASMSTART
	v_dot2_f32_f16 v155, v1, v215, v155
	;;#ASMEND
	;;#ASMSTART
	v_dot2_f32_f16 v155, v2, v216, v155
	;;#ASMEND
	;;#ASMSTART
	v_dot2_f32_f16 v155, v3, v217, v155
	;;#ASMEND
	s_waitcnt lgkmcnt(4)
	;;#ASMSTART
	v_dot2_f32_f16 v156, v0, v218, v156
	;;#ASMEND
	;;#ASMSTART
	v_dot2_f32_f16 v156, v1, v219, v156
	;;#ASMEND
	;;#ASMSTART
	v_dot2_f32_f16 v156, v2, v220, v156
	;;#ASMEND
	;;#ASMSTART
	v_dot2_f32_f16 v156, v3, v221, v156
	;;#ASMEND
	s_waitcnt lgkmcnt(3)
	;;#ASMSTART
	v_dot2_f32_f16 v153, v0, v222, v153
	;;#ASMEND
	;;#ASMSTART
	v_dot2_f32_f16 v153, v1, v223, v153
	;;#ASMEND
	;;#ASMSTART
	v_dot2_f32_f16 v153, v2, v224, v153
	;;#ASMEND
	;;#ASMSTART
	v_dot2_f32_f16 v153, v3, v225, v153
	;;#ASMEND
	s_waitcnt lgkmcnt(2)
	;;#ASMSTART
	v_dot2_f32_f16 v154, v0, v226, v154
	;;#ASMEND
	;;#ASMSTART
	v_dot2_f32_f16 v154, v1, v227, v154
	;;#ASMEND
	;;#ASMSTART
	v_dot2_f32_f16 v154, v2, v228, v154
	;;#ASMEND
	;;#ASMSTART
	v_dot2_f32_f16 v154, v3, v229, v154
	;;#ASMEND
	s_waitcnt lgkmcnt(1)
	;;#ASMSTART
	v_dot2_f32_f16 v147, v0, v230, v147
	;;#ASMEND
	;;#ASMSTART
	v_dot2_f32_f16 v147, v1, v231, v147
	;;#ASMEND
	;;#ASMSTART
	v_dot2_f32_f16 v147, v2, v232, v147
	;;#ASMEND
	;;#ASMSTART
	v_dot2_f32_f16 v147, v3, v233, v147
	;;#ASMEND
	s_waitcnt lgkmcnt(0)
	;;#ASMSTART
	v_dot2_f32_f16 v148, v0, v234, v148
	;;#ASMEND
	;;#ASMSTART
	v_dot2_f32_f16 v148, v1, v235, v148
	;;#ASMEND
	;;#ASMSTART
	v_dot2_f32_f16 v148, v2, v236, v148
	;;#ASMEND
	;;#ASMSTART
	v_dot2_f32_f16 v148, v3, v237, v148
	;;#ASMEND
	;;#ASMSTART
	v_dot2_f32_f16 v188, v4, v8, v188
	;;#ASMEND
	;;#ASMSTART
	v_dot2_f32_f16 v188, v5, v9, v188
	;;#ASMEND
	;; [unrolled: 3-line block ×64, first 2 shown]
	ds_load_b128 v[0:3], v100 offset:48
	ds_load_b128 v[4:7], v100 offset:4656
	;; [unrolled: 1-line block ×18, first 2 shown]
	s_waitcnt lgkmcnt(15)
	;;#ASMSTART
	v_dot2_f32_f16 v184, v0, v8, v184
	;;#ASMEND
	;;#ASMSTART
	v_dot2_f32_f16 v184, v1, v9, v184
	;;#ASMEND
	;;#ASMSTART
	v_dot2_f32_f16 v184, v2, v10, v184
	;;#ASMEND
	;;#ASMSTART
	v_dot2_f32_f16 v184, v3, v11, v184
	;;#ASMEND
	s_waitcnt lgkmcnt(14)
	;;#ASMSTART
	v_dot2_f32_f16 v187, v0, v17, v187
	;;#ASMEND
	;;#ASMSTART
	v_dot2_f32_f16 v187, v1, v18, v187
	;;#ASMEND
	;;#ASMSTART
	v_dot2_f32_f16 v187, v2, v19, v187
	;;#ASMEND
	;;#ASMSTART
	v_dot2_f32_f16 v187, v3, v20, v187
	;;#ASMEND
	s_waitcnt lgkmcnt(13)
	;;#ASMSTART
	v_dot2_f32_f16 v181, v0, v21, v181
	;;#ASMEND
	;;#ASMSTART
	v_dot2_f32_f16 v181, v1, v22, v181
	;;#ASMEND
	;;#ASMSTART
	v_dot2_f32_f16 v181, v2, v23, v181
	;;#ASMEND
	;;#ASMSTART
	v_dot2_f32_f16 v181, v3, v24, v181
	;;#ASMEND
	s_waitcnt lgkmcnt(12)
	;;#ASMSTART
	v_dot2_f32_f16 v183, v0, v33, v183
	;;#ASMEND
	;;#ASMSTART
	v_dot2_f32_f16 v183, v1, v34, v183
	;;#ASMEND
	;;#ASMSTART
	v_dot2_f32_f16 v183, v2, v35, v183
	;;#ASMEND
	;;#ASMSTART
	v_dot2_f32_f16 v183, v3, v36, v183
	;;#ASMEND
	s_waitcnt lgkmcnt(11)
	;;#ASMSTART
	v_dot2_f32_f16 v174, v0, v190, v174
	;;#ASMEND
	;;#ASMSTART
	v_dot2_f32_f16 v174, v1, v191, v174
	;;#ASMEND
	;;#ASMSTART
	v_dot2_f32_f16 v174, v2, v192, v174
	;;#ASMEND
	;;#ASMSTART
	v_dot2_f32_f16 v174, v3, v193, v174
	;;#ASMEND
	s_waitcnt lgkmcnt(10)
	;;#ASMSTART
	v_dot2_f32_f16 v175, v0, v194, v175
	;;#ASMEND
	;;#ASMSTART
	v_dot2_f32_f16 v175, v1, v195, v175
	;;#ASMEND
	;;#ASMSTART
	v_dot2_f32_f16 v175, v2, v196, v175
	;;#ASMEND
	;;#ASMSTART
	v_dot2_f32_f16 v175, v3, v197, v175
	;;#ASMEND
	s_waitcnt lgkmcnt(9)
	;;#ASMSTART
	v_dot2_f32_f16 v168, v0, v198, v168
	;;#ASMEND
	;;#ASMSTART
	v_dot2_f32_f16 v168, v1, v199, v168
	;;#ASMEND
	;;#ASMSTART
	v_dot2_f32_f16 v168, v2, v200, v168
	;;#ASMEND
	;;#ASMSTART
	v_dot2_f32_f16 v168, v3, v201, v168
	;;#ASMEND
	s_waitcnt lgkmcnt(8)
	;;#ASMSTART
	v_dot2_f32_f16 v169, v0, v202, v169
	;;#ASMEND
	;;#ASMSTART
	v_dot2_f32_f16 v169, v1, v203, v169
	;;#ASMEND
	;;#ASMSTART
	v_dot2_f32_f16 v169, v2, v204, v169
	;;#ASMEND
	;;#ASMSTART
	v_dot2_f32_f16 v169, v3, v205, v169
	;;#ASMEND
	s_waitcnt lgkmcnt(7)
	;;#ASMSTART
	v_dot2_f32_f16 v160, v0, v206, v160
	;;#ASMEND
	;;#ASMSTART
	v_dot2_f32_f16 v160, v1, v207, v160
	;;#ASMEND
	;;#ASMSTART
	v_dot2_f32_f16 v160, v2, v208, v160
	;;#ASMEND
	;;#ASMSTART
	v_dot2_f32_f16 v160, v3, v209, v160
	;;#ASMEND
	s_waitcnt lgkmcnt(6)
	;;#ASMSTART
	v_dot2_f32_f16 v161, v0, v210, v161
	;;#ASMEND
	;;#ASMSTART
	v_dot2_f32_f16 v161, v1, v211, v161
	;;#ASMEND
	;;#ASMSTART
	v_dot2_f32_f16 v161, v2, v212, v161
	;;#ASMEND
	;;#ASMSTART
	v_dot2_f32_f16 v161, v3, v213, v161
	;;#ASMEND
	s_waitcnt lgkmcnt(5)
	;;#ASMSTART
	v_dot2_f32_f16 v155, v0, v214, v155
	;;#ASMEND
	;;#ASMSTART
	v_dot2_f32_f16 v155, v1, v215, v155
	;;#ASMEND
	;;#ASMSTART
	v_dot2_f32_f16 v155, v2, v216, v155
	;;#ASMEND
	;;#ASMSTART
	v_dot2_f32_f16 v155, v3, v217, v155
	;;#ASMEND
	s_waitcnt lgkmcnt(4)
	;;#ASMSTART
	v_dot2_f32_f16 v156, v0, v218, v156
	;;#ASMEND
	;;#ASMSTART
	v_dot2_f32_f16 v156, v1, v219, v156
	;;#ASMEND
	;;#ASMSTART
	v_dot2_f32_f16 v156, v2, v220, v156
	;;#ASMEND
	;;#ASMSTART
	v_dot2_f32_f16 v156, v3, v221, v156
	;;#ASMEND
	s_waitcnt lgkmcnt(3)
	;;#ASMSTART
	v_dot2_f32_f16 v153, v0, v222, v153
	;;#ASMEND
	;;#ASMSTART
	v_dot2_f32_f16 v153, v1, v223, v153
	;;#ASMEND
	;;#ASMSTART
	v_dot2_f32_f16 v153, v2, v224, v153
	;;#ASMEND
	;;#ASMSTART
	v_dot2_f32_f16 v153, v3, v225, v153
	;;#ASMEND
	s_waitcnt lgkmcnt(2)
	;;#ASMSTART
	v_dot2_f32_f16 v154, v0, v226, v154
	;;#ASMEND
	;;#ASMSTART
	v_dot2_f32_f16 v154, v1, v227, v154
	;;#ASMEND
	;;#ASMSTART
	v_dot2_f32_f16 v154, v2, v228, v154
	;;#ASMEND
	;;#ASMSTART
	v_dot2_f32_f16 v154, v3, v229, v154
	;;#ASMEND
	s_waitcnt lgkmcnt(1)
	;;#ASMSTART
	v_dot2_f32_f16 v147, v0, v230, v147
	;;#ASMEND
	;;#ASMSTART
	v_dot2_f32_f16 v147, v1, v231, v147
	;;#ASMEND
	;;#ASMSTART
	v_dot2_f32_f16 v147, v2, v232, v147
	;;#ASMEND
	;;#ASMSTART
	v_dot2_f32_f16 v147, v3, v233, v147
	;;#ASMEND
	s_waitcnt lgkmcnt(0)
	;;#ASMSTART
	v_dot2_f32_f16 v148, v0, v234, v148
	;;#ASMEND
	;;#ASMSTART
	v_dot2_f32_f16 v148, v1, v235, v148
	;;#ASMEND
	;;#ASMSTART
	v_dot2_f32_f16 v148, v2, v236, v148
	;;#ASMEND
	;;#ASMSTART
	v_dot2_f32_f16 v148, v3, v237, v148
	;;#ASMEND
	;;#ASMSTART
	v_dot2_f32_f16 v188, v4, v8, v188
	;;#ASMEND
	;;#ASMSTART
	v_dot2_f32_f16 v188, v5, v9, v188
	;;#ASMEND
	;; [unrolled: 3-line block ×64, first 2 shown]
	ds_load_b128 v[0:3], v100 offset:64
	ds_load_b128 v[4:7], v100 offset:4672
	;; [unrolled: 1-line block ×18, first 2 shown]
	s_waitcnt lgkmcnt(15)
	;;#ASMSTART
	v_dot2_f32_f16 v184, v0, v8, v184
	;;#ASMEND
	;;#ASMSTART
	v_dot2_f32_f16 v184, v1, v9, v184
	;;#ASMEND
	;;#ASMSTART
	v_dot2_f32_f16 v184, v2, v10, v184
	;;#ASMEND
	;;#ASMSTART
	v_dot2_f32_f16 v184, v3, v11, v184
	;;#ASMEND
	s_waitcnt lgkmcnt(14)
	;;#ASMSTART
	v_dot2_f32_f16 v187, v0, v17, v187
	;;#ASMEND
	;;#ASMSTART
	v_dot2_f32_f16 v187, v1, v18, v187
	;;#ASMEND
	;;#ASMSTART
	v_dot2_f32_f16 v187, v2, v19, v187
	;;#ASMEND
	;;#ASMSTART
	v_dot2_f32_f16 v187, v3, v20, v187
	;;#ASMEND
	;; [unrolled: 13-line block ×16, first 2 shown]
	;;#ASMSTART
	v_dot2_f32_f16 v188, v4, v8, v188
	;;#ASMEND
	;;#ASMSTART
	v_dot2_f32_f16 v188, v5, v9, v188
	;;#ASMEND
	;; [unrolled: 3-line block ×64, first 2 shown]
	ds_load_b128 v[0:3], v100 offset:80
	ds_load_b128 v[4:7], v100 offset:4688
	;; [unrolled: 1-line block ×18, first 2 shown]
	s_waitcnt lgkmcnt(15)
	;;#ASMSTART
	v_dot2_f32_f16 v184, v0, v8, v184
	;;#ASMEND
	;;#ASMSTART
	v_dot2_f32_f16 v184, v1, v9, v184
	;;#ASMEND
	;;#ASMSTART
	v_dot2_f32_f16 v184, v2, v10, v184
	;;#ASMEND
	;;#ASMSTART
	v_dot2_f32_f16 v184, v3, v11, v184
	;;#ASMEND
	s_waitcnt lgkmcnt(14)
	;;#ASMSTART
	v_dot2_f32_f16 v187, v0, v17, v187
	;;#ASMEND
	;;#ASMSTART
	v_dot2_f32_f16 v187, v1, v18, v187
	;;#ASMEND
	;;#ASMSTART
	v_dot2_f32_f16 v187, v2, v19, v187
	;;#ASMEND
	;;#ASMSTART
	v_dot2_f32_f16 v187, v3, v20, v187
	;;#ASMEND
	;; [unrolled: 13-line block ×16, first 2 shown]
	;;#ASMSTART
	v_dot2_f32_f16 v188, v4, v8, v188
	;;#ASMEND
	;;#ASMSTART
	v_dot2_f32_f16 v188, v5, v9, v188
	;;#ASMEND
	;; [unrolled: 3-line block ×64, first 2 shown]
	ds_load_b128 v[0:3], v100 offset:96
	ds_load_b128 v[4:7], v100 offset:4704
	;; [unrolled: 1-line block ×18, first 2 shown]
	s_waitcnt lgkmcnt(15)
	;;#ASMSTART
	v_dot2_f32_f16 v184, v0, v8, v184
	;;#ASMEND
	;;#ASMSTART
	v_dot2_f32_f16 v184, v1, v9, v184
	;;#ASMEND
	;;#ASMSTART
	v_dot2_f32_f16 v184, v2, v10, v184
	;;#ASMEND
	;;#ASMSTART
	v_dot2_f32_f16 v184, v3, v11, v184
	;;#ASMEND
	s_waitcnt lgkmcnt(14)
	;;#ASMSTART
	v_dot2_f32_f16 v187, v0, v17, v187
	;;#ASMEND
	;;#ASMSTART
	v_dot2_f32_f16 v187, v1, v18, v187
	;;#ASMEND
	;;#ASMSTART
	v_dot2_f32_f16 v187, v2, v19, v187
	;;#ASMEND
	;;#ASMSTART
	v_dot2_f32_f16 v187, v3, v20, v187
	;;#ASMEND
	;; [unrolled: 13-line block ×16, first 2 shown]
	;;#ASMSTART
	v_dot2_f32_f16 v188, v4, v8, v188
	;;#ASMEND
	;;#ASMSTART
	v_dot2_f32_f16 v188, v5, v9, v188
	;;#ASMEND
	;; [unrolled: 3-line block ×64, first 2 shown]
	ds_load_b128 v[0:3], v100 offset:112
	ds_load_b128 v[4:7], v100 offset:4720
	;; [unrolled: 1-line block ×18, first 2 shown]
	s_waitcnt lgkmcnt(15)
	;;#ASMSTART
	v_dot2_f32_f16 v184, v0, v8, v184
	;;#ASMEND
	;;#ASMSTART
	v_dot2_f32_f16 v184, v1, v9, v184
	;;#ASMEND
	;;#ASMSTART
	v_dot2_f32_f16 v184, v2, v10, v184
	;;#ASMEND
	;;#ASMSTART
	v_dot2_f32_f16 v184, v3, v11, v184
	;;#ASMEND
	s_waitcnt lgkmcnt(14)
	;;#ASMSTART
	v_dot2_f32_f16 v187, v0, v17, v187
	;;#ASMEND
	;;#ASMSTART
	v_dot2_f32_f16 v187, v1, v18, v187
	;;#ASMEND
	;;#ASMSTART
	v_dot2_f32_f16 v187, v2, v19, v187
	;;#ASMEND
	;;#ASMSTART
	v_dot2_f32_f16 v187, v3, v20, v187
	;;#ASMEND
	;; [unrolled: 13-line block ×16, first 2 shown]
	;;#ASMSTART
	v_dot2_f32_f16 v188, v4, v8, v188
	;;#ASMEND
	;;#ASMSTART
	v_dot2_f32_f16 v188, v5, v9, v188
	;;#ASMEND
	;; [unrolled: 3-line block ×14, first 2 shown]
	v_cndmask_b32_e32 v0, v62, v94, vcc_lo
	v_cmp_gt_i32_e32 vcc_lo, 32, v95
	;;#ASMSTART
	v_dot2_f32_f16 v186, v6, v35, v186
	;;#ASMEND
	;;#ASMSTART
	v_dot2_f32_f16 v186, v7, v36, v186
	;;#ASMEND
	;; [unrolled: 3-line block ×7, first 2 shown]
	v_lshlrev_b32_e32 v194, 2, v0
	v_cndmask_b32_e32 v0, v62, v95, vcc_lo
	v_cmp_gt_i32_e32 vcc_lo, 32, v92
	;;#ASMSTART
	v_dot2_f32_f16 v182, v5, v195, v182
	;;#ASMEND
	;;#ASMSTART
	v_dot2_f32_f16 v182, v6, v196, v182
	;;#ASMEND
	;; [unrolled: 3-line block ×3, first 2 shown]
	v_lshlrev_b32_e32 v193, 2, v0
	v_cndmask_b32_e32 v0, v62, v92, vcc_lo
	v_cmp_gt_i32_e32 vcc_lo, 32, v93
	;;#ASMSTART
	v_dot2_f32_f16 v173, v4, v198, v173
	;;#ASMEND
	;;#ASMSTART
	v_dot2_f32_f16 v173, v5, v199, v173
	;;#ASMEND
	;; [unrolled: 3-line block ×3, first 2 shown]
	v_lshlrev_b32_e32 v192, 2, v0
	v_cndmask_b32_e32 v0, v62, v93, vcc_lo
	v_cmp_gt_i32_e32 vcc_lo, 32, v91
	v_add_nc_u32_e32 v2, s3, v61
	;;#ASMSTART
	v_dot2_f32_f16 v173, v7, v201, v173
	;;#ASMEND
	;;#ASMSTART
	v_dot2_f32_f16 v40, v4, v202, v40
	;;#ASMEND
	v_dual_cndmask_b32 v0, v62, v91 :: v_dual_lshlrev_b32 v191, 2, v0
	;;#ASMSTART
	v_dot2_f32_f16 v40, v5, v203, v40
	;;#ASMEND
	;;#ASMSTART
	v_dot2_f32_f16 v40, v6, v204, v40
	;;#ASMEND
	;; [unrolled: 3-line block ×5, first 2 shown]
	v_lshlrev_b32_e32 v190, 2, v0
	v_add_nc_u32_e32 v0, v2, v102
	;;#ASMSTART
	v_dot2_f32_f16 v39, v6, v208, v39
	;;#ASMEND
	;;#ASMSTART
	v_dot2_f32_f16 v39, v7, v209, v39
	;;#ASMEND
	;; [unrolled: 3-line block ×7, first 2 shown]
	v_ashrrev_i32_e32 v1, 31, v0
	;;#ASMSTART
	v_dot2_f32_f16 v28, v5, v215, v28
	;;#ASMEND
	;;#ASMSTART
	v_dot2_f32_f16 v28, v6, v216, v28
	;;#ASMEND
	;; [unrolled: 3-line block ×6, first 2 shown]
	v_lshlrev_b64 v[0:1], 1, v[0:1]
	;;#ASMSTART
	v_dot2_f32_f16 v29, v7, v221, v29
	;;#ASMEND
	;;#ASMSTART
	v_dot2_f32_f16 v30, v4, v222, v30
	;;#ASMEND
	;; [unrolled: 3-line block ×8, first 2 shown]
	v_add_co_u32 v0, vcc_lo, s52, v0
	;;#ASMSTART
	v_dot2_f32_f16 v16, v7, v229, v16
	;;#ASMEND
	;;#ASMSTART
	v_dot2_f32_f16 v14, v4, v230, v14
	;;#ASMEND
	;; [unrolled: 3-line block ×3, first 2 shown]
	v_add_co_ci_u32_e32 v1, vcc_lo, s53, v1, vcc_lo
	;;#ASMSTART
	v_dot2_f32_f16 v14, v6, v232, v14
	;;#ASMEND
	;;#ASMSTART
	v_dot2_f32_f16 v14, v7, v233, v14
	;;#ASMEND
	;; [unrolled: 3-line block ×6, first 2 shown]
	s_clause 0x1
	flat_load_u16 v3, v[0:1]
	flat_load_u16 v0, v[0:1] offset:64
	s_waitcnt vmcnt(1) lgkmcnt(1)
	v_cvt_f32_f16_e32 v3, v3
	s_waitcnt vmcnt(0) lgkmcnt(0)
	v_cvt_f32_f16_e32 v4, v0
	s_delay_alu instid0(VALU_DEP_1) | instskip(SKIP_1) | instid1(VALU_DEP_2)
	v_dual_add_f32 v9, v189, v4 :: v_dual_add_nc_u32 v0, v2, v103
	v_add_f32_e32 v21, v186, v4
	v_add_f32_e32 v13, 0x40051340, v9
	s_delay_alu instid0(VALU_DEP_3) | instskip(NEXT) | instid1(VALU_DEP_3)
	v_ashrrev_i32_e32 v1, 31, v0
	v_add_f32_e32 v22, 0x40051340, v21
	s_delay_alu instid0(VALU_DEP_2) | instskip(NEXT) | instid1(VALU_DEP_1)
	v_lshlrev_b64 v[0:1], 1, v[0:1]
	v_add_co_u32 v0, vcc_lo, s52, v0
	s_delay_alu instid0(VALU_DEP_2)
	v_add_co_ci_u32_e32 v1, vcc_lo, s53, v1, vcc_lo
	s_clause 0x1
	flat_load_u16 v5, v[0:1]
	flat_load_u16 v0, v[0:1] offset:64
	s_waitcnt vmcnt(1) lgkmcnt(1)
	v_cvt_f32_f16_e32 v7, v5
	s_waitcnt vmcnt(0) lgkmcnt(0)
	v_cvt_f32_f16_e32 v6, v0
	v_add_nc_u32_e32 v0, v2, v104
	s_delay_alu instid0(VALU_DEP_1) | instskip(NEXT) | instid1(VALU_DEP_1)
	v_ashrrev_i32_e32 v1, 31, v0
	v_lshlrev_b64 v[0:1], 1, v[0:1]
	s_delay_alu instid0(VALU_DEP_1) | instskip(NEXT) | instid1(VALU_DEP_2)
	v_add_co_u32 v0, vcc_lo, s52, v0
	v_add_co_ci_u32_e32 v1, vcc_lo, s53, v1, vcc_lo
	s_clause 0x1
	flat_load_u16 v5, v[0:1]
	flat_load_u16 v0, v[0:1] offset:64
	s_waitcnt vmcnt(1) lgkmcnt(1)
	v_cvt_f32_f16_e32 v11, v5
	s_waitcnt vmcnt(0) lgkmcnt(0)
	v_cvt_f32_f16_e32 v10, v0
	v_dual_add_f32 v5, v184, v3 :: v_dual_add_nc_u32 v0, v2, v105
	s_delay_alu instid0(VALU_DEP_2) | instskip(NEXT) | instid1(VALU_DEP_2)
	v_add_f32_e32 v28, v28, v10
	v_ashrrev_i32_e32 v1, 31, v0
	v_add_f32_e32 v29, v29, v10
	s_delay_alu instid0(VALU_DEP_2) | instskip(NEXT) | instid1(VALU_DEP_1)
	v_lshlrev_b64 v[0:1], 1, v[0:1]
	v_add_co_u32 v0, vcc_lo, s52, v0
	s_delay_alu instid0(VALU_DEP_2)
	v_add_co_ci_u32_e32 v1, vcc_lo, s53, v1, vcc_lo
	s_clause 0x1
	flat_load_u16 v2, v[0:1]
	flat_load_u16 v0, v[0:1] offset:64
	s_waitcnt vmcnt(0) lgkmcnt(0)
	s_barrier
	buffer_gl0_inv
	v_cvt_f32_f16_e64 v196, v2
	v_add_f32_e32 v2, v187, v3
	v_cvt_f32_f16_e64 v195, v0
	s_delay_alu instid0(VALU_DEP_2) | instskip(NEXT) | instid1(VALU_DEP_1)
	v_dual_add_f32 v0, 0x40051340, v5 :: v_dual_add_f32 v1, 0x40051340, v2
	v_max3_f32 v1, v178, v1, v13
	ds_bpermute_b32 v13, v194, v1
	s_waitcnt lgkmcnt(0)
	v_max_f32_e32 v13, v13, v13
	s_delay_alu instid0(VALU_DEP_1) | instskip(SKIP_3) | instid1(VALU_DEP_1)
	v_max_f32_e32 v1, v1, v13
	ds_bpermute_b32 v13, v193, v1
	s_waitcnt lgkmcnt(0)
	v_max_f32_e32 v13, v13, v13
	v_max_f32_e32 v1, v1, v13
	ds_bpermute_b32 v13, v192, v1
	s_waitcnt lgkmcnt(0)
	v_max_f32_e32 v13, v13, v13
	s_delay_alu instid0(VALU_DEP_1) | instskip(SKIP_3) | instid1(VALU_DEP_1)
	v_max_f32_e32 v1, v1, v13
	ds_bpermute_b32 v13, v191, v1
	s_waitcnt lgkmcnt(0)
	v_max_f32_e32 v13, v13, v13
	v_max_f32_e32 v1, v1, v13
	ds_bpermute_b32 v13, v190, v1
	s_waitcnt lgkmcnt(0)
	v_dual_max_f32 v13, v13, v13 :: v_dual_add_f32 v8, v188, v4
	v_add_f32_e32 v4, v185, v4
	s_delay_alu instid0(VALU_DEP_2) | instskip(NEXT) | instid1(VALU_DEP_1)
	v_dual_max_f32 v1, v1, v13 :: v_dual_add_f32 v12, 0x40051340, v8
	v_sub_f32_e32 v2, v2, v1
	s_delay_alu instid0(VALU_DEP_2) | instskip(SKIP_3) | instid1(VALU_DEP_1)
	v_max3_f32 v0, v179, v0, v12
	ds_bpermute_b32 v12, v194, v0
	s_waitcnt lgkmcnt(0)
	v_max_f32_e32 v12, v12, v12
	v_max_f32_e32 v0, v0, v12
	ds_bpermute_b32 v12, v193, v0
	s_waitcnt lgkmcnt(0)
	v_max_f32_e32 v12, v12, v12
	s_delay_alu instid0(VALU_DEP_1) | instskip(SKIP_3) | instid1(VALU_DEP_1)
	v_max_f32_e32 v0, v0, v12
	ds_bpermute_b32 v12, v192, v0
	s_waitcnt lgkmcnt(0)
	v_max_f32_e32 v12, v12, v12
	v_max_f32_e32 v0, v0, v12
	ds_bpermute_b32 v12, v191, v0
	s_waitcnt lgkmcnt(0)
	v_max_f32_e32 v12, v12, v12
	s_delay_alu instid0(VALU_DEP_1) | instskip(SKIP_3) | instid1(VALU_DEP_1)
	v_max_f32_e32 v0, v0, v12
	ds_bpermute_b32 v12, v190, v0
	s_waitcnt lgkmcnt(0)
	v_max_f32_e32 v12, v12, v12
	v_max_f32_e32 v0, v0, v12
	s_delay_alu instid0(VALU_DEP_1) | instskip(SKIP_1) | instid1(VALU_DEP_2)
	v_sub_f32_e32 v8, v8, v0
	v_sub_f32_e32 v5, v5, v0
	v_mul_f32_e32 v13, 0x3fb8aa3b, v8
	v_cmp_ngt_f32_e32 vcc_lo, 0xc2ce8ed0, v8
	s_delay_alu instid0(VALU_DEP_2) | instskip(SKIP_1) | instid1(VALU_DEP_2)
	v_fma_f32 v17, 0x3fb8aa3b, v8, -v13
	v_rndne_f32_e32 v18, v13
	v_fmac_f32_e32 v17, 0x32a5705f, v8
	s_delay_alu instid0(VALU_DEP_2) | instskip(NEXT) | instid1(VALU_DEP_1)
	v_sub_f32_e32 v13, v13, v18
	v_add_f32_e32 v13, v13, v17
	v_cvt_i32_f32_e32 v17, v18
	s_delay_alu instid0(VALU_DEP_2) | instskip(SKIP_2) | instid1(VALU_DEP_1)
	v_exp_f32_e32 v13, v13
	s_waitcnt_depctr 0xfff
	v_ldexp_f32 v13, v13, v17
	v_cndmask_b32_e32 v13, 0, v13, vcc_lo
	v_cmp_nlt_f32_e32 vcc_lo, 0x42b17218, v8
	s_delay_alu instid0(VALU_DEP_2) | instskip(SKIP_2) | instid1(VALU_DEP_2)
	v_cndmask_b32_e32 v8, 0x7f800000, v13, vcc_lo
	v_mul_f32_e32 v13, 0x3fb8aa3b, v2
	v_cmp_ngt_f32_e32 vcc_lo, 0xc2ce8ed0, v2
	v_fma_f32 v17, 0x3fb8aa3b, v2, -v13
	v_rndne_f32_e32 v18, v13
	s_delay_alu instid0(VALU_DEP_2) | instskip(NEXT) | instid1(VALU_DEP_2)
	v_fmac_f32_e32 v17, 0x32a5705f, v2
	v_sub_f32_e32 v13, v13, v18
	s_delay_alu instid0(VALU_DEP_1) | instskip(SKIP_1) | instid1(VALU_DEP_2)
	v_add_f32_e32 v13, v13, v17
	v_cvt_i32_f32_e32 v17, v18
	v_exp_f32_e32 v13, v13
	s_waitcnt_depctr 0xfff
	v_ldexp_f32 v13, v13, v17
	s_delay_alu instid0(VALU_DEP_1) | instskip(SKIP_1) | instid1(VALU_DEP_2)
	v_cndmask_b32_e32 v13, 0, v13, vcc_lo
	v_cmp_nlt_f32_e32 vcc_lo, 0x42b17218, v2
	v_cndmask_b32_e32 v2, 0x7f800000, v13, vcc_lo
	v_mul_f32_e32 v13, 0x3fb8aa3b, v5
	v_cmp_ngt_f32_e32 vcc_lo, 0xc2ce8ed0, v5
	s_delay_alu instid0(VALU_DEP_2) | instskip(SKIP_1) | instid1(VALU_DEP_2)
	v_fma_f32 v17, 0x3fb8aa3b, v5, -v13
	v_rndne_f32_e32 v18, v13
	v_fmac_f32_e32 v17, 0x32a5705f, v5
	s_delay_alu instid0(VALU_DEP_2) | instskip(NEXT) | instid1(VALU_DEP_1)
	v_sub_f32_e32 v13, v13, v18
	v_add_f32_e32 v13, v13, v17
	v_cvt_i32_f32_e32 v17, v18
	s_delay_alu instid0(VALU_DEP_2) | instskip(SKIP_2) | instid1(VALU_DEP_1)
	v_exp_f32_e32 v13, v13
	s_waitcnt_depctr 0xfff
	v_ldexp_f32 v13, v13, v17
	v_dual_sub_f32 v12, v179, v0 :: v_dual_cndmask_b32 v13, 0, v13
	v_cmp_nlt_f32_e32 vcc_lo, 0x42b17218, v5
	s_delay_alu instid0(VALU_DEP_2) | instskip(NEXT) | instid1(VALU_DEP_3)
	v_cndmask_b32_e32 v5, 0x7f800000, v13, vcc_lo
	v_mul_f32_e32 v13, 0x3fb8aa3b, v12
	v_cmp_ngt_f32_e32 vcc_lo, 0xc2ce8ed0, v12
	s_delay_alu instid0(VALU_DEP_2) | instskip(SKIP_1) | instid1(VALU_DEP_2)
	v_fma_f32 v17, 0x3fb8aa3b, v12, -v13
	v_rndne_f32_e32 v19, v13
	v_fmac_f32_e32 v17, 0x32a5705f, v12
	s_delay_alu instid0(VALU_DEP_2) | instskip(NEXT) | instid1(VALU_DEP_1)
	v_sub_f32_e32 v13, v13, v19
	v_add_f32_e32 v13, v13, v17
	v_cvt_i32_f32_e32 v17, v19
	s_delay_alu instid0(VALU_DEP_2) | instskip(SKIP_4) | instid1(VALU_DEP_3)
	v_exp_f32_e32 v13, v13
	s_waitcnt_depctr 0xfff
	v_ldexp_f32 v13, v13, v17
	v_dual_add_f32 v18, v5, v8 :: v_dual_sub_f32 v17, v178, v1
	v_cvt_f16_f32_e32 v8, v8
	v_cndmask_b32_e32 v13, 0, v13, vcc_lo
	v_cmp_nlt_f32_e32 vcc_lo, 0x42b17218, v12
	s_delay_alu instid0(VALU_DEP_2) | instskip(SKIP_2) | instid1(VALU_DEP_1)
	v_cndmask_b32_e32 v12, 0x7f800000, v13, vcc_lo
	v_cvt_f16_f32_e32 v13, v5
	v_sub_f32_e32 v5, v9, v1
	v_mul_f32_e32 v9, 0x3fb8aa3b, v5
	v_cmp_ngt_f32_e32 vcc_lo, 0xc2ce8ed0, v5
	s_delay_alu instid0(VALU_DEP_2) | instskip(SKIP_1) | instid1(VALU_DEP_2)
	v_fma_f32 v19, 0x3fb8aa3b, v5, -v9
	v_rndne_f32_e32 v20, v9
	v_fmac_f32_e32 v19, 0x32a5705f, v5
	s_delay_alu instid0(VALU_DEP_2) | instskip(SKIP_2) | instid1(VALU_DEP_3)
	v_sub_f32_e32 v9, v9, v20
	v_fmac_f32_e32 v18, v177, v12
	v_cvt_f16_f32_e32 v12, v12
	v_add_f32_e32 v9, v9, v19
	v_cvt_i32_f32_e32 v19, v20
	s_delay_alu instid0(VALU_DEP_3) | instskip(SKIP_1) | instid1(VALU_DEP_4)
	v_pk_mul_f16 v33, v12, v137 op_sel_hi:[0,1]
	v_cvt_f16_f32_e32 v12, v2
	v_exp_f32_e32 v9, v9
	s_waitcnt_depctr 0xfff
	v_ldexp_f32 v9, v9, v19
	s_delay_alu instid0(VALU_DEP_1) | instskip(SKIP_1) | instid1(VALU_DEP_2)
	v_cndmask_b32_e32 v9, 0, v9, vcc_lo
	v_cmp_nlt_f32_e32 vcc_lo, 0x42b17218, v5
	v_cndmask_b32_e32 v5, 0x7f800000, v9, vcc_lo
	v_cmp_ngt_f32_e32 vcc_lo, 0xc2ce8ed0, v17
	s_delay_alu instid0(VALU_DEP_2) | instskip(SKIP_2) | instid1(VALU_DEP_2)
	v_add_f32_e32 v19, v2, v5
	v_mul_f32_e32 v2, 0x3fb8aa3b, v17
	v_cvt_f16_f32_e32 v9, v5
	v_fma_f32 v5, 0x3fb8aa3b, v17, -v2
	v_rndne_f32_e32 v20, v2
	s_delay_alu instid0(VALU_DEP_1) | instskip(NEXT) | instid1(VALU_DEP_1)
	v_dual_fmac_f32 v5, 0x32a5705f, v17 :: v_dual_sub_f32 v2, v2, v20
	v_add_f32_e32 v2, v2, v5
	v_cvt_i32_f32_e32 v5, v20
	v_add_f32_e32 v20, 0x40051340, v4
	s_delay_alu instid0(VALU_DEP_3) | instskip(SKIP_2) | instid1(VALU_DEP_1)
	v_exp_f32_e32 v2, v2
	s_waitcnt_depctr 0xfff
	v_ldexp_f32 v2, v2, v5
	v_dual_add_f32 v5, v183, v3 :: v_dual_cndmask_b32 v2, 0, v2
	v_cmp_nlt_f32_e32 vcc_lo, 0x42b17218, v17
	v_add_f32_e32 v17, v181, v3
	s_delay_alu instid0(VALU_DEP_3) | instskip(NEXT) | instid1(VALU_DEP_4)
	v_add_f32_e32 v3, 0x40051340, v5
	v_cndmask_b32_e32 v2, 0x7f800000, v2, vcc_lo
	s_delay_alu instid0(VALU_DEP_2) | instskip(SKIP_3) | instid1(VALU_DEP_1)
	v_max3_f32 v3, v171, v3, v22
	ds_bpermute_b32 v22, v194, v3
	s_waitcnt lgkmcnt(0)
	v_max_f32_e32 v22, v22, v22
	v_max_f32_e32 v3, v3, v22
	ds_bpermute_b32 v22, v193, v3
	s_waitcnt lgkmcnt(0)
	v_max_f32_e32 v22, v22, v22
	v_fmac_f32_e32 v19, v176, v2
	v_cvt_f16_f32_e32 v2, v2
	s_delay_alu instid0(VALU_DEP_1) | instskip(SKIP_1) | instid1(VALU_DEP_1)
	v_pk_mul_f16 v34, v2, v134 op_sel_hi:[0,1]
	v_add_f32_e32 v2, 0x40051340, v17
	v_max3_f32 v2, v172, v2, v20
	ds_bpermute_b32 v20, v194, v2
	s_waitcnt lgkmcnt(0)
	v_max_f32_e32 v20, v20, v20
	s_delay_alu instid0(VALU_DEP_1) | instskip(SKIP_3) | instid1(VALU_DEP_1)
	v_max_f32_e32 v2, v2, v20
	ds_bpermute_b32 v20, v193, v2
	s_waitcnt lgkmcnt(0)
	v_max_f32_e32 v20, v20, v20
	v_max_f32_e32 v2, v2, v20
	ds_bpermute_b32 v20, v192, v2
	s_waitcnt lgkmcnt(0)
	v_dual_max_f32 v3, v3, v22 :: v_dual_max_f32 v20, v20, v20
	ds_bpermute_b32 v22, v192, v3
	v_max_f32_e32 v2, v2, v20
	ds_bpermute_b32 v20, v191, v2
	s_waitcnt lgkmcnt(0)
	v_max_f32_e32 v20, v20, v20
	s_delay_alu instid0(VALU_DEP_1) | instskip(SKIP_3) | instid1(VALU_DEP_1)
	v_max_f32_e32 v2, v2, v20
	ds_bpermute_b32 v20, v190, v2
	s_waitcnt lgkmcnt(0)
	v_max_f32_e32 v20, v20, v20
	v_max_f32_e32 v2, v2, v20
	s_delay_alu instid0(VALU_DEP_1) | instskip(NEXT) | instid1(VALU_DEP_1)
	v_sub_f32_e32 v4, v4, v2
	v_dual_sub_f32 v17, v17, v2 :: v_dual_mul_f32 v20, 0x3fb8aa3b, v4
	v_cmp_ngt_f32_e32 vcc_lo, 0xc2ce8ed0, v4
	s_delay_alu instid0(VALU_DEP_2) | instskip(SKIP_2) | instid1(VALU_DEP_3)
	v_fma_f32 v23, 0x3fb8aa3b, v4, -v20
	v_max_f32_e32 v22, v22, v22
	v_rndne_f32_e32 v24, v20
	v_fmac_f32_e32 v23, 0x32a5705f, v4
	s_delay_alu instid0(VALU_DEP_2) | instskip(SKIP_3) | instid1(VALU_DEP_2)
	v_dual_max_f32 v3, v3, v22 :: v_dual_sub_f32 v20, v20, v24
	ds_bpermute_b32 v22, v191, v3
	v_add_f32_e32 v20, v20, v23
	v_cvt_i32_f32_e32 v23, v24
	v_exp_f32_e32 v20, v20
	s_waitcnt_depctr 0xfff
	v_ldexp_f32 v20, v20, v23
	s_waitcnt lgkmcnt(0)
	v_max_f32_e32 v22, v22, v22
	s_delay_alu instid0(VALU_DEP_2) | instskip(SKIP_1) | instid1(VALU_DEP_2)
	v_cndmask_b32_e32 v20, 0, v20, vcc_lo
	v_cmp_nlt_f32_e32 vcc_lo, 0x42b17218, v4
	v_dual_max_f32 v3, v3, v22 :: v_dual_cndmask_b32 v4, 0x7f800000, v20
	ds_bpermute_b32 v22, v190, v3
	s_waitcnt lgkmcnt(0)
	v_max_f32_e32 v22, v22, v22
	s_delay_alu instid0(VALU_DEP_1) | instskip(NEXT) | instid1(VALU_DEP_1)
	v_max_f32_e32 v3, v3, v22
	v_sub_f32_e32 v5, v5, v3
	s_delay_alu instid0(VALU_DEP_1) | instskip(SKIP_1) | instid1(VALU_DEP_2)
	v_mul_f32_e32 v20, 0x3fb8aa3b, v5
	v_cmp_ngt_f32_e32 vcc_lo, 0xc2ce8ed0, v5
	v_fma_f32 v23, 0x3fb8aa3b, v5, -v20
	v_rndne_f32_e32 v24, v20
	s_delay_alu instid0(VALU_DEP_1) | instskip(NEXT) | instid1(VALU_DEP_1)
	v_dual_fmac_f32 v23, 0x32a5705f, v5 :: v_dual_sub_f32 v20, v20, v24
	v_add_f32_e32 v20, v20, v23
	v_cvt_i32_f32_e32 v23, v24
	s_delay_alu instid0(VALU_DEP_2) | instskip(SKIP_2) | instid1(VALU_DEP_1)
	v_exp_f32_e32 v20, v20
	s_waitcnt_depctr 0xfff
	v_ldexp_f32 v20, v20, v23
	v_cndmask_b32_e32 v20, 0, v20, vcc_lo
	v_cmp_nlt_f32_e32 vcc_lo, 0x42b17218, v5
	s_delay_alu instid0(VALU_DEP_2) | instskip(SKIP_2) | instid1(VALU_DEP_3)
	v_cndmask_b32_e32 v5, 0x7f800000, v20, vcc_lo
	v_mul_f32_e32 v20, 0x3fb8aa3b, v17
	v_cmp_ngt_f32_e32 vcc_lo, 0xc2ce8ed0, v17
	v_cvt_f16_f32_e32 v27, v5
	s_delay_alu instid0(VALU_DEP_3) | instskip(SKIP_1) | instid1(VALU_DEP_1)
	v_fma_f32 v23, 0x3fb8aa3b, v17, -v20
	v_rndne_f32_e32 v24, v20
	v_dual_fmac_f32 v23, 0x32a5705f, v17 :: v_dual_sub_f32 v20, v20, v24
	v_dual_sub_f32 v22, v172, v2 :: v_dual_sub_f32 v21, v21, v3
	s_delay_alu instid0(VALU_DEP_2) | instskip(SKIP_1) | instid1(VALU_DEP_2)
	v_add_f32_e32 v20, v20, v23
	v_cvt_i32_f32_e32 v23, v24
	v_exp_f32_e32 v20, v20
	s_waitcnt_depctr 0xfff
	v_ldexp_f32 v20, v20, v23
	s_delay_alu instid0(VALU_DEP_1) | instskip(SKIP_2) | instid1(VALU_DEP_3)
	v_cndmask_b32_e32 v20, 0, v20, vcc_lo
	v_cmp_nlt_f32_e32 vcc_lo, 0x42b17218, v17
	v_cvt_f16_f32_e32 v17, v4
	v_cndmask_b32_e32 v23, 0x7f800000, v20, vcc_lo
	v_cmp_ngt_f32_e32 vcc_lo, 0xc2ce8ed0, v22
	s_delay_alu instid0(VALU_DEP_2) | instskip(SKIP_2) | instid1(VALU_DEP_2)
	v_add_f32_e32 v20, v23, v4
	v_mul_f32_e32 v4, 0x3fb8aa3b, v22
	v_cvt_f16_f32_e32 v31, v23
	v_fma_f32 v24, 0x3fb8aa3b, v22, -v4
	v_rndne_f32_e32 v25, v4
	s_delay_alu instid0(VALU_DEP_2) | instskip(NEXT) | instid1(VALU_DEP_2)
	v_fmac_f32_e32 v24, 0x32a5705f, v22
	v_sub_f32_e32 v4, v4, v25
	s_delay_alu instid0(VALU_DEP_1) | instskip(SKIP_2) | instid1(VALU_DEP_3)
	v_add_f32_e32 v4, v4, v24
	v_cvt_i32_f32_e32 v24, v25
	v_add_f32_e32 v25, v180, v6
	v_exp_f32_e32 v4, v4
	s_delay_alu instid0(VALU_DEP_1) | instskip(SKIP_2) | instid1(VALU_DEP_1)
	v_add_f32_e32 v37, 0x40051340, v25
	s_waitcnt_depctr 0xfff
	v_ldexp_f32 v4, v4, v24
	v_cndmask_b32_e32 v4, 0, v4, vcc_lo
	v_cmp_nlt_f32_e32 vcc_lo, 0x42b17218, v22
	v_mul_f32_e32 v22, 0x3fb8aa3b, v21
	s_delay_alu instid0(VALU_DEP_3) | instskip(NEXT) | instid1(VALU_DEP_2)
	v_cndmask_b32_e32 v4, 0x7f800000, v4, vcc_lo
	v_fma_f32 v23, 0x3fb8aa3b, v21, -v22
	v_rndne_f32_e32 v24, v22
	v_cmp_ngt_f32_e32 vcc_lo, 0xc2ce8ed0, v21
	s_delay_alu instid0(VALU_DEP_3) | instskip(NEXT) | instid1(VALU_DEP_3)
	v_dual_fmac_f32 v20, v170, v4 :: v_dual_fmac_f32 v23, 0x32a5705f, v21
	v_sub_f32_e32 v22, v22, v24
	v_cvt_f16_f32_e32 v4, v4
	s_delay_alu instid0(VALU_DEP_2) | instskip(SKIP_1) | instid1(VALU_DEP_3)
	v_add_f32_e32 v22, v22, v23
	v_cvt_i32_f32_e32 v23, v24
	v_pk_mul_f16 v35, v4, v133 op_sel_hi:[0,1]
	v_sub_f32_e32 v4, v171, v3
	s_delay_alu instid0(VALU_DEP_4) | instskip(SKIP_2) | instid1(VALU_DEP_1)
	v_exp_f32_e32 v22, v22
	s_waitcnt_depctr 0xfff
	v_ldexp_f32 v22, v22, v23
	v_cndmask_b32_e32 v22, 0, v22, vcc_lo
	v_cmp_nlt_f32_e32 vcc_lo, 0x42b17218, v21
	s_delay_alu instid0(VALU_DEP_2) | instskip(SKIP_1) | instid1(VALU_DEP_2)
	v_cndmask_b32_e32 v22, 0x7f800000, v22, vcc_lo
	v_cmp_ngt_f32_e32 vcc_lo, 0xc2ce8ed0, v4
	v_add_f32_e32 v21, v5, v22
	v_mul_f32_e32 v5, 0x3fb8aa3b, v4
	v_cvt_f16_f32_e32 v26, v22
	s_delay_alu instid0(VALU_DEP_2) | instskip(SKIP_1) | instid1(VALU_DEP_1)
	v_fma_f32 v22, 0x3fb8aa3b, v4, -v5
	v_rndne_f32_e32 v23, v5
	v_dual_fmac_f32 v22, 0x32a5705f, v4 :: v_dual_sub_f32 v5, v5, v23
	s_delay_alu instid0(VALU_DEP_1) | instskip(SKIP_2) | instid1(VALU_DEP_3)
	v_add_f32_e32 v5, v5, v22
	v_cvt_i32_f32_e32 v22, v23
	v_add_f32_e32 v23, v174, v7
	v_exp_f32_e32 v5, v5
	s_waitcnt_depctr 0xfff
	v_ldexp_f32 v5, v5, v22
	s_delay_alu instid0(VALU_DEP_1) | instskip(SKIP_1) | instid1(VALU_DEP_2)
	v_dual_add_f32 v22, v175, v7 :: v_dual_cndmask_b32 v5, 0, v5
	v_cmp_nlt_f32_e32 vcc_lo, 0x42b17218, v4
	v_cndmask_b32_e32 v4, 0x7f800000, v5, vcc_lo
	s_delay_alu instid0(VALU_DEP_3) | instskip(NEXT) | instid1(VALU_DEP_2)
	v_add_f32_e32 v5, 0x40051340, v22
	v_fmac_f32_e32 v21, v167, v4
	v_cvt_f16_f32_e32 v4, v4
	s_delay_alu instid0(VALU_DEP_1) | instskip(SKIP_1) | instid1(VALU_DEP_1)
	v_pk_mul_f16 v36, v4, v132 op_sel_hi:[0,1]
	v_add_f32_e32 v4, 0x40051340, v23
	v_max3_f32 v4, v166, v4, v37
	ds_bpermute_b32 v37, v194, v4
	s_waitcnt lgkmcnt(0)
	v_max_f32_e32 v37, v37, v37
	s_delay_alu instid0(VALU_DEP_1) | instskip(SKIP_3) | instid1(VALU_DEP_1)
	v_max_f32_e32 v4, v4, v37
	ds_bpermute_b32 v37, v193, v4
	s_waitcnt lgkmcnt(0)
	v_max_f32_e32 v37, v37, v37
	v_max_f32_e32 v4, v4, v37
	ds_bpermute_b32 v37, v192, v4
	s_waitcnt lgkmcnt(0)
	v_max_f32_e32 v37, v37, v37
	s_delay_alu instid0(VALU_DEP_1) | instskip(SKIP_3) | instid1(VALU_DEP_1)
	v_max_f32_e32 v4, v4, v37
	ds_bpermute_b32 v37, v191, v4
	s_waitcnt lgkmcnt(0)
	v_max_f32_e32 v37, v37, v37
	v_max_f32_e32 v4, v4, v37
	ds_bpermute_b32 v37, v190, v4
	s_waitcnt lgkmcnt(0)
	v_max_f32_e32 v37, v37, v37
	s_delay_alu instid0(VALU_DEP_1) | instskip(NEXT) | instid1(VALU_DEP_1)
	v_max_f32_e32 v4, v4, v37
	v_sub_f32_e32 v37, v166, v4
	v_dual_add_f32 v24, v182, v6 :: v_dual_sub_f32 v25, v25, v4
	v_sub_f32_e32 v23, v23, v4
	s_delay_alu instid0(VALU_DEP_2) | instskip(NEXT) | instid1(VALU_DEP_3)
	v_add_f32_e32 v38, 0x40051340, v24
	v_cmp_ngt_f32_e32 vcc_lo, 0xc2ce8ed0, v25
	s_delay_alu instid0(VALU_DEP_2) | instskip(SKIP_3) | instid1(VALU_DEP_1)
	v_max3_f32 v5, v165, v5, v38
	ds_bpermute_b32 v38, v194, v5
	s_waitcnt lgkmcnt(0)
	v_max_f32_e32 v38, v38, v38
	v_max_f32_e32 v5, v5, v38
	ds_bpermute_b32 v38, v193, v5
	s_waitcnt lgkmcnt(0)
	v_max_f32_e32 v38, v38, v38
	s_delay_alu instid0(VALU_DEP_1) | instskip(SKIP_3) | instid1(VALU_DEP_1)
	v_max_f32_e32 v5, v5, v38
	ds_bpermute_b32 v38, v192, v5
	s_waitcnt lgkmcnt(0)
	v_max_f32_e32 v38, v38, v38
	v_max_f32_e32 v5, v5, v38
	ds_bpermute_b32 v38, v191, v5
	s_waitcnt lgkmcnt(0)
	v_max_f32_e32 v38, v38, v38
	s_delay_alu instid0(VALU_DEP_1) | instskip(SKIP_3) | instid1(VALU_DEP_1)
	v_max_f32_e32 v5, v5, v38
	ds_bpermute_b32 v38, v190, v5
	s_waitcnt lgkmcnt(0)
	v_max_f32_e32 v38, v38, v38
	v_dual_max_f32 v5, v5, v38 :: v_dual_mul_f32 v38, 0x3fb8aa3b, v25
	s_delay_alu instid0(VALU_DEP_1) | instskip(SKIP_1) | instid1(VALU_DEP_1)
	v_fma_f32 v41, 0x3fb8aa3b, v25, -v38
	v_rndne_f32_e32 v42, v38
	v_dual_fmac_f32 v41, 0x32a5705f, v25 :: v_dual_sub_f32 v38, v38, v42
	s_delay_alu instid0(VALU_DEP_1) | instskip(SKIP_1) | instid1(VALU_DEP_2)
	v_add_f32_e32 v38, v38, v41
	v_cvt_i32_f32_e32 v41, v42
	v_exp_f32_e32 v38, v38
	s_waitcnt_depctr 0xfff
	v_ldexp_f32 v38, v38, v41
	s_delay_alu instid0(VALU_DEP_1) | instskip(SKIP_1) | instid1(VALU_DEP_2)
	v_cndmask_b32_e32 v38, 0, v38, vcc_lo
	v_cmp_nlt_f32_e32 vcc_lo, 0x42b17218, v25
	v_dual_cndmask_b32 v25, 0x7f800000, v38 :: v_dual_sub_f32 v22, v22, v5
	s_delay_alu instid0(VALU_DEP_1) | instskip(SKIP_1) | instid1(VALU_DEP_2)
	v_mul_f32_e32 v38, 0x3fb8aa3b, v22
	v_cmp_ngt_f32_e32 vcc_lo, 0xc2ce8ed0, v22
	v_fma_f32 v41, 0x3fb8aa3b, v22, -v38
	v_rndne_f32_e32 v42, v38
	s_delay_alu instid0(VALU_DEP_2) | instskip(NEXT) | instid1(VALU_DEP_2)
	v_fmac_f32_e32 v41, 0x32a5705f, v22
	v_sub_f32_e32 v38, v38, v42
	s_delay_alu instid0(VALU_DEP_1) | instskip(SKIP_1) | instid1(VALU_DEP_2)
	v_add_f32_e32 v38, v38, v41
	v_cvt_i32_f32_e32 v41, v42
	v_exp_f32_e32 v38, v38
	s_waitcnt_depctr 0xfff
	v_ldexp_f32 v38, v38, v41
	s_delay_alu instid0(VALU_DEP_1) | instskip(SKIP_2) | instid1(VALU_DEP_3)
	v_cndmask_b32_e32 v38, 0, v38, vcc_lo
	v_cmp_nlt_f32_e32 vcc_lo, 0x42b17218, v22
	v_mul_f32_e32 v22, 0x3fb8aa3b, v23
	v_cndmask_b32_e32 v38, 0x7f800000, v38, vcc_lo
	s_delay_alu instid0(VALU_DEP_2) | instskip(SKIP_2) | instid1(VALU_DEP_4)
	v_fma_f32 v41, 0x3fb8aa3b, v23, -v22
	v_rndne_f32_e32 v42, v22
	v_cmp_ngt_f32_e32 vcc_lo, 0xc2ce8ed0, v23
	v_cvt_f16_f32_e64 v132, v38
	s_delay_alu instid0(VALU_DEP_3) | instskip(NEXT) | instid1(VALU_DEP_1)
	v_dual_fmac_f32 v41, 0x32a5705f, v23 :: v_dual_sub_f32 v22, v22, v42
	v_add_f32_e32 v22, v22, v41
	v_cvt_i32_f32_e32 v41, v42
	v_cvt_f16_f32_e32 v42, v25
	s_delay_alu instid0(VALU_DEP_3) | instskip(SKIP_2) | instid1(VALU_DEP_1)
	v_exp_f32_e32 v22, v22
	s_waitcnt_depctr 0xfff
	v_ldexp_f32 v22, v22, v41
	v_cndmask_b32_e32 v22, 0, v22, vcc_lo
	v_cmp_nlt_f32_e32 vcc_lo, 0x42b17218, v23
	s_delay_alu instid0(VALU_DEP_2) | instskip(SKIP_1) | instid1(VALU_DEP_2)
	v_cndmask_b32_e32 v23, 0x7f800000, v22, vcc_lo
	v_cmp_ngt_f32_e32 vcc_lo, 0xc2ce8ed0, v37
	v_add_f32_e32 v22, v23, v25
	v_mul_f32_e32 v25, 0x3fb8aa3b, v37
	v_cvt_f16_f32_e64 v133, v23
	v_sub_f32_e32 v23, v24, v5
	s_delay_alu instid0(VALU_DEP_3) | instskip(SKIP_1) | instid1(VALU_DEP_3)
	v_fma_f32 v41, 0x3fb8aa3b, v37, -v25
	v_rndne_f32_e32 v43, v25
	v_mul_f32_e32 v24, 0x3fb8aa3b, v23
	s_delay_alu instid0(VALU_DEP_3) | instskip(NEXT) | instid1(VALU_DEP_3)
	v_fmac_f32_e32 v41, 0x32a5705f, v37
	v_sub_f32_e32 v25, v25, v43
	s_delay_alu instid0(VALU_DEP_1) | instskip(SKIP_2) | instid1(VALU_DEP_3)
	v_add_f32_e32 v25, v25, v41
	v_cvt_i32_f32_e32 v41, v43
	v_rndne_f32_e32 v43, v24
	v_exp_f32_e32 v25, v25
	s_waitcnt_depctr 0xfff
	v_ldexp_f32 v25, v25, v41
	v_fma_f32 v41, 0x3fb8aa3b, v23, -v24
	s_delay_alu instid0(VALU_DEP_2) | instskip(NEXT) | instid1(VALU_DEP_2)
	v_dual_sub_f32 v24, v24, v43 :: v_dual_cndmask_b32 v25, 0, v25
	v_fmac_f32_e32 v41, 0x32a5705f, v23
	v_cmp_nlt_f32_e32 vcc_lo, 0x42b17218, v37
	s_delay_alu instid0(VALU_DEP_2) | instskip(SKIP_3) | instid1(VALU_DEP_4)
	v_add_f32_e32 v24, v24, v41
	v_cvt_i32_f32_e32 v41, v43
	v_cndmask_b32_e32 v25, 0x7f800000, v25, vcc_lo
	v_cmp_ngt_f32_e32 vcc_lo, 0xc2ce8ed0, v23
	v_exp_f32_e32 v24, v24
	s_delay_alu instid0(VALU_DEP_2) | instskip(SKIP_1) | instid1(VALU_DEP_1)
	v_fmac_f32_e32 v22, v164, v25
	v_cvt_f16_f32_e32 v25, v25
	v_pk_mul_f16 v37, v25, v131 op_sel_hi:[0,1]
	v_sub_f32_e32 v25, v165, v5
	s_waitcnt_depctr 0xfff
	v_ldexp_f32 v24, v24, v41
	s_delay_alu instid0(VALU_DEP_1) | instskip(SKIP_1) | instid1(VALU_DEP_2)
	v_cndmask_b32_e32 v24, 0, v24, vcc_lo
	v_cmp_nlt_f32_e32 vcc_lo, 0x42b17218, v23
	v_cndmask_b32_e32 v24, 0x7f800000, v24, vcc_lo
	v_cmp_ngt_f32_e32 vcc_lo, 0xc2ce8ed0, v25
	s_delay_alu instid0(VALU_DEP_2) | instskip(SKIP_2) | instid1(VALU_DEP_1)
	v_add_f32_e32 v23, v38, v24
	v_cvt_f16_f32_e32 v43, v24
	v_mul_f32_e32 v24, 0x3fb8aa3b, v25
	v_fma_f32 v38, 0x3fb8aa3b, v25, -v24
	v_rndne_f32_e32 v41, v24
	s_delay_alu instid0(VALU_DEP_2) | instskip(NEXT) | instid1(VALU_DEP_2)
	v_fmac_f32_e32 v38, 0x32a5705f, v25
	v_sub_f32_e32 v24, v24, v41
	s_delay_alu instid0(VALU_DEP_1) | instskip(SKIP_1) | instid1(VALU_DEP_2)
	v_add_f32_e32 v24, v24, v38
	v_cvt_i32_f32_e32 v38, v41
	v_exp_f32_e32 v24, v24
	s_waitcnt_depctr 0xfff
	v_ldexp_f32 v24, v24, v38
	s_delay_alu instid0(VALU_DEP_1) | instskip(SKIP_1) | instid1(VALU_DEP_2)
	v_cndmask_b32_e32 v24, 0, v24, vcc_lo
	v_cmp_nlt_f32_e32 vcc_lo, 0x42b17218, v25
	v_dual_add_f32 v25, v168, v7 :: v_dual_cndmask_b32 v24, 0x7f800000, v24
	s_delay_alu instid0(VALU_DEP_1) | instskip(SKIP_1) | instid1(VALU_DEP_1)
	v_fmac_f32_e32 v23, v163, v24
	v_cvt_f16_f32_e32 v24, v24
	v_pk_mul_f16 v38, v24, v130 op_sel_hi:[0,1]
	v_add_f32_e32 v24, v169, v7
	v_add_f32_e32 v130, v40, v6
	v_dual_add_f32 v40, v173, v6 :: v_dual_add_f32 v7, 0x40051340, v25
	s_delay_alu instid0(VALU_DEP_3) | instskip(NEXT) | instid1(VALU_DEP_2)
	v_add_f32_e32 v41, 0x40051340, v24
	v_dual_add_f32 v131, 0x40051340, v130 :: v_dual_add_f32 v6, 0x40051340, v40
	s_delay_alu instid0(VALU_DEP_1) | instskip(NEXT) | instid1(VALU_DEP_2)
	v_max3_f32 v41, v159, v41, v131
	v_max3_f32 v6, v162, v7, v6
	ds_bpermute_b32 v131, v194, v41
	ds_bpermute_b32 v7, v194, v6
	s_waitcnt lgkmcnt(1)
	v_max_f32_e32 v131, v131, v131
	s_waitcnt lgkmcnt(0)
	v_max_f32_e32 v7, v7, v7
	s_delay_alu instid0(VALU_DEP_2) | instskip(NEXT) | instid1(VALU_DEP_2)
	v_max_f32_e32 v41, v41, v131
	v_max_f32_e32 v6, v6, v7
	ds_bpermute_b32 v131, v193, v41
	ds_bpermute_b32 v7, v193, v6
	s_waitcnt lgkmcnt(1)
	v_max_f32_e32 v131, v131, v131
	s_waitcnt lgkmcnt(0)
	v_max_f32_e32 v7, v7, v7
	s_delay_alu instid0(VALU_DEP_2) | instskip(NEXT) | instid1(VALU_DEP_2)
	v_max_f32_e32 v41, v41, v131
	v_max_f32_e32 v6, v6, v7
	;; [unrolled: 9-line block ×4, first 2 shown]
	ds_bpermute_b32 v7, v190, v41
	ds_bpermute_b32 v131, v190, v6
	s_waitcnt lgkmcnt(1)
	v_max_f32_e32 v7, v7, v7
	s_delay_alu instid0(VALU_DEP_1) | instskip(SKIP_2) | instid1(VALU_DEP_2)
	v_max_f32_e32 v7, v41, v7
	s_waitcnt lgkmcnt(0)
	v_max_f32_e32 v41, v131, v131
	v_sub_f32_e32 v24, v24, v7
	s_delay_alu instid0(VALU_DEP_2) | instskip(NEXT) | instid1(VALU_DEP_1)
	v_max_f32_e32 v6, v6, v41
	v_sub_f32_e32 v40, v40, v6
	s_delay_alu instid0(VALU_DEP_1) | instskip(SKIP_1) | instid1(VALU_DEP_2)
	v_mul_f32_e32 v131, 0x3fb8aa3b, v40
	v_cmp_ngt_f32_e32 vcc_lo, 0xc2ce8ed0, v40
	v_fma_f32 v134, 0x3fb8aa3b, v40, -v131
	v_rndne_f32_e32 v137, v131
	s_delay_alu instid0(VALU_DEP_1) | instskip(NEXT) | instid1(VALU_DEP_1)
	v_dual_fmac_f32 v134, 0x32a5705f, v40 :: v_dual_sub_f32 v131, v131, v137
	v_add_f32_e32 v131, v131, v134
	v_cvt_i32_f32_e32 v134, v137
	s_delay_alu instid0(VALU_DEP_2) | instskip(SKIP_2) | instid1(VALU_DEP_1)
	v_exp_f32_e32 v131, v131
	s_waitcnt_depctr 0xfff
	v_ldexp_f32 v131, v131, v134
	v_cndmask_b32_e32 v131, 0, v131, vcc_lo
	v_cmp_nlt_f32_e32 vcc_lo, 0x42b17218, v40
	s_delay_alu instid0(VALU_DEP_2) | instskip(SKIP_2) | instid1(VALU_DEP_2)
	v_cndmask_b32_e32 v40, 0x7f800000, v131, vcc_lo
	v_mul_f32_e32 v131, 0x3fb8aa3b, v24
	v_cmp_ngt_f32_e32 vcc_lo, 0xc2ce8ed0, v24
	v_fma_f32 v134, 0x3fb8aa3b, v24, -v131
	v_rndne_f32_e32 v137, v131
	s_delay_alu instid0(VALU_DEP_1) | instskip(NEXT) | instid1(VALU_DEP_1)
	v_dual_fmac_f32 v134, 0x32a5705f, v24 :: v_dual_sub_f32 v131, v131, v137
	v_add_f32_e32 v131, v131, v134
	v_cvt_i32_f32_e32 v134, v137
	s_delay_alu instid0(VALU_DEP_2) | instskip(SKIP_2) | instid1(VALU_DEP_1)
	v_exp_f32_e32 v131, v131
	s_waitcnt_depctr 0xfff
	v_ldexp_f32 v131, v131, v134
	v_cndmask_b32_e32 v131, 0, v131, vcc_lo
	v_cmp_nlt_f32_e32 vcc_lo, 0x42b17218, v24
	s_delay_alu instid0(VALU_DEP_2) | instskip(SKIP_1) | instid1(VALU_DEP_1)
	v_cndmask_b32_e32 v131, 0x7f800000, v131, vcc_lo
	v_sub_f32_e32 v25, v25, v6
	v_dual_sub_f32 v41, v162, v6 :: v_dual_mul_f32 v24, 0x3fb8aa3b, v25
	v_cmp_ngt_f32_e32 vcc_lo, 0xc2ce8ed0, v25
	s_delay_alu instid0(VALU_DEP_2) | instskip(SKIP_1) | instid1(VALU_DEP_2)
	v_fma_f32 v134, 0x3fb8aa3b, v25, -v24
	v_rndne_f32_e32 v137, v24
	v_fmac_f32_e32 v134, 0x32a5705f, v25
	s_delay_alu instid0(VALU_DEP_2) | instskip(NEXT) | instid1(VALU_DEP_1)
	v_sub_f32_e32 v24, v24, v137
	v_add_f32_e32 v24, v24, v134
	v_cvt_i32_f32_e32 v134, v137
	s_delay_alu instid0(VALU_DEP_2) | instskip(SKIP_3) | instid1(VALU_DEP_2)
	v_exp_f32_e32 v24, v24
	s_waitcnt_depctr 0xfff
	v_ldexp_f32 v24, v24, v134
	v_cvt_f16_f32_e64 v134, v40
	v_cndmask_b32_e32 v24, 0, v24, vcc_lo
	v_cmp_nlt_f32_e32 vcc_lo, 0x42b17218, v25
	s_delay_alu instid0(VALU_DEP_2) | instskip(SKIP_1) | instid1(VALU_DEP_2)
	v_cndmask_b32_e32 v25, 0x7f800000, v24, vcc_lo
	v_cmp_ngt_f32_e32 vcc_lo, 0xc2ce8ed0, v41
	v_add_f32_e32 v24, v25, v40
	v_mul_f32_e32 v40, 0x3fb8aa3b, v41
	s_delay_alu instid0(VALU_DEP_1) | instskip(SKIP_1) | instid1(VALU_DEP_1)
	v_fma_f32 v137, 0x3fb8aa3b, v41, -v40
	v_rndne_f32_e32 v162, v40
	v_dual_fmac_f32 v137, 0x32a5705f, v41 :: v_dual_sub_f32 v40, v40, v162
	s_delay_alu instid0(VALU_DEP_1) | instskip(SKIP_1) | instid1(VALU_DEP_2)
	v_add_f32_e32 v40, v40, v137
	v_cvt_i32_f32_e32 v137, v162
	v_exp_f32_e32 v40, v40
	s_waitcnt_depctr 0xfff
	v_ldexp_f32 v40, v40, v137
	v_cvt_f16_f32_e64 v137, v25
	s_delay_alu instid0(VALU_DEP_2) | instskip(SKIP_1) | instid1(VALU_DEP_2)
	v_dual_sub_f32 v25, v130, v7 :: v_dual_cndmask_b32 v40, 0, v40
	v_cmp_nlt_f32_e32 vcc_lo, 0x42b17218, v41
	v_dual_mul_f32 v130, 0x3fb8aa3b, v25 :: v_dual_sub_f32 v41, v159, v7
	s_delay_alu instid0(VALU_DEP_3) | instskip(NEXT) | instid1(VALU_DEP_2)
	v_cndmask_b32_e32 v40, 0x7f800000, v40, vcc_lo
	v_rndne_f32_e32 v159, v130
	v_cmp_ngt_f32_e32 vcc_lo, 0xc2ce8ed0, v25
	s_delay_alu instid0(VALU_DEP_3) | instskip(SKIP_1) | instid1(VALU_DEP_4)
	v_fmac_f32_e32 v24, v158, v40
	v_fma_f32 v158, 0x3fb8aa3b, v25, -v130
	v_sub_f32_e32 v130, v130, v159
	v_cvt_f16_f32_e32 v40, v40
	s_delay_alu instid0(VALU_DEP_3) | instskip(NEXT) | instid1(VALU_DEP_2)
	v_fmac_f32_e32 v158, 0x32a5705f, v25
	v_pk_mul_f16 v40, v40, v129 op_sel_hi:[0,1]
	v_cvt_f16_f32_e64 v129, v131
	s_delay_alu instid0(VALU_DEP_3) | instskip(SKIP_1) | instid1(VALU_DEP_2)
	v_add_f32_e32 v130, v130, v158
	v_cvt_i32_f32_e32 v158, v159
	v_exp_f32_e32 v130, v130
	s_waitcnt_depctr 0xfff
	v_ldexp_f32 v130, v130, v158
	s_delay_alu instid0(VALU_DEP_1) | instskip(SKIP_1) | instid1(VALU_DEP_2)
	v_cndmask_b32_e32 v130, 0, v130, vcc_lo
	v_cmp_nlt_f32_e32 vcc_lo, 0x42b17218, v25
	v_cndmask_b32_e32 v130, 0x7f800000, v130, vcc_lo
	v_cmp_ngt_f32_e32 vcc_lo, 0xc2ce8ed0, v41
	s_delay_alu instid0(VALU_DEP_2) | instskip(SKIP_2) | instid1(VALU_DEP_1)
	v_add_f32_e32 v25, v131, v130
	v_cvt_f16_f32_e64 v158, v130
	v_mul_f32_e32 v130, 0x3fb8aa3b, v41
	v_fma_f32 v131, 0x3fb8aa3b, v41, -v130
	v_rndne_f32_e32 v159, v130
	s_delay_alu instid0(VALU_DEP_1) | instskip(NEXT) | instid1(VALU_DEP_1)
	v_dual_fmac_f32 v131, 0x32a5705f, v41 :: v_dual_sub_f32 v130, v130, v159
	v_add_f32_e32 v130, v130, v131
	v_cvt_i32_f32_e32 v131, v159
	s_delay_alu instid0(VALU_DEP_2)
	v_exp_f32_e32 v130, v130
	s_waitcnt_depctr 0xfff
	v_ldexp_f32 v130, v130, v131
	v_pack_b32_f16 v131, v137, v129
	v_pack_b32_f16 v129, v31, v27
	v_add_f32_e32 v27, v32, v10
	s_delay_alu instid0(VALU_DEP_4) | instskip(SKIP_1) | instid1(VALU_DEP_3)
	v_cndmask_b32_e32 v130, 0, v130, vcc_lo
	v_cmp_nlt_f32_e32 vcc_lo, 0x42b17218, v41
	v_add_f32_e32 v31, 0x40051340, v27
	s_delay_alu instid0(VALU_DEP_3) | instskip(SKIP_2) | instid1(VALU_DEP_3)
	v_cndmask_b32_e32 v41, 0x7f800000, v130, vcc_lo
	v_pack_b32_f16 v130, v133, v132
	v_add_f32_e32 v132, v16, v195
	v_dual_add_f32 v16, v30, v195 :: v_dual_fmac_f32 v25, v157, v41
	v_cvt_f16_f32_e32 v41, v41
	s_delay_alu instid0(VALU_DEP_3) | instskip(NEXT) | instid1(VALU_DEP_3)
	v_add_f32_e32 v133, 0x40051340, v132
	v_add_f32_e32 v30, 0x40051340, v16
	s_delay_alu instid0(VALU_DEP_3)
	v_pk_mul_f16 v41, v41, v128 op_sel_hi:[0,1]
	v_pack_b32_f16 v128, v13, v12
	v_add_f32_e32 v13, v160, v11
	v_add_f32_e32 v12, v161, v11
	ds_store_b128 v112, v[128:131]
	v_pack_b32_f16 v129, v17, v26
	v_add_f32_e32 v17, v39, v10
	v_pack_b32_f16 v128, v8, v9
	v_dual_add_f32 v8, 0x40051340, v13 :: v_dual_add_f32 v9, 0x40051340, v12
	v_pack_b32_f16 v130, v42, v43
	s_delay_alu instid0(VALU_DEP_4) | instskip(SKIP_3) | instid1(VALU_DEP_4)
	v_add_f32_e32 v26, 0x40051340, v17
	v_pack_b32_f16 v131, v134, v158
	v_add_f32_e32 v10, 0x40051340, v28
	v_max3_f32 v9, v151, v9, v31
	v_max3_f32 v8, v152, v8, v26
	ds_store_b128 v112, v[128:131] offset:512
	ds_bpermute_b32 v31, v194, v9
	ds_bpermute_b32 v26, v194, v8
	s_waitcnt lgkmcnt(0)
	v_dual_max_f32 v31, v31, v31 :: v_dual_max_f32 v26, v26, v26
	s_delay_alu instid0(VALU_DEP_1) | instskip(SKIP_4) | instid1(VALU_DEP_1)
	v_dual_max_f32 v9, v9, v31 :: v_dual_max_f32 v8, v8, v26
	ds_bpermute_b32 v31, v193, v9
	ds_bpermute_b32 v26, v193, v8
	s_waitcnt lgkmcnt(0)
	v_dual_max_f32 v31, v31, v31 :: v_dual_max_f32 v26, v26, v26
	v_dual_max_f32 v9, v9, v31 :: v_dual_max_f32 v8, v8, v26
	ds_bpermute_b32 v31, v192, v9
	ds_bpermute_b32 v26, v192, v8
	s_waitcnt lgkmcnt(0)
	v_dual_max_f32 v31, v31, v31 :: v_dual_max_f32 v26, v26, v26
	s_delay_alu instid0(VALU_DEP_1) | instskip(SKIP_4) | instid1(VALU_DEP_1)
	v_dual_max_f32 v9, v9, v31 :: v_dual_max_f32 v8, v8, v26
	ds_bpermute_b32 v31, v191, v9
	ds_bpermute_b32 v26, v191, v8
	s_waitcnt lgkmcnt(0)
	v_dual_max_f32 v31, v31, v31 :: v_dual_max_f32 v26, v26, v26
	v_dual_max_f32 v9, v9, v31 :: v_dual_max_f32 v8, v8, v26
	ds_bpermute_b32 v31, v190, v9
	ds_bpermute_b32 v26, v190, v8
	s_waitcnt lgkmcnt(0)
	v_dual_max_f32 v31, v31, v31 :: v_dual_max_f32 v26, v26, v26
	s_delay_alu instid0(VALU_DEP_1) | instskip(NEXT) | instid1(VALU_DEP_1)
	v_dual_max_f32 v9, v9, v31 :: v_dual_max_f32 v8, v8, v26
	v_dual_sub_f32 v12, v12, v9 :: v_dual_sub_f32 v17, v17, v8
	v_sub_f32_e32 v13, v13, v8
	s_delay_alu instid0(VALU_DEP_2) | instskip(SKIP_1) | instid1(VALU_DEP_2)
	v_dual_sub_f32 v31, v152, v8 :: v_dual_mul_f32 v26, 0x3fb8aa3b, v17
	v_cmp_ngt_f32_e32 vcc_lo, 0xc2ce8ed0, v17
	v_fma_f32 v32, 0x3fb8aa3b, v17, -v26
	v_rndne_f32_e32 v39, v26
	s_delay_alu instid0(VALU_DEP_2) | instskip(NEXT) | instid1(VALU_DEP_2)
	v_fmac_f32_e32 v32, 0x32a5705f, v17
	v_sub_f32_e32 v26, v26, v39
	s_delay_alu instid0(VALU_DEP_1) | instskip(SKIP_1) | instid1(VALU_DEP_2)
	v_add_f32_e32 v26, v26, v32
	v_cvt_i32_f32_e32 v32, v39
	v_exp_f32_e32 v26, v26
	s_waitcnt_depctr 0xfff
	v_ldexp_f32 v26, v26, v32
	s_delay_alu instid0(VALU_DEP_1) | instskip(SKIP_1) | instid1(VALU_DEP_2)
	v_cndmask_b32_e32 v26, 0, v26, vcc_lo
	v_cmp_nlt_f32_e32 vcc_lo, 0x42b17218, v17
	v_cndmask_b32_e32 v17, 0x7f800000, v26, vcc_lo
	v_mul_f32_e32 v26, 0x3fb8aa3b, v12
	v_cmp_ngt_f32_e32 vcc_lo, 0xc2ce8ed0, v12
	s_delay_alu instid0(VALU_DEP_2) | instskip(SKIP_1) | instid1(VALU_DEP_2)
	v_fma_f32 v32, 0x3fb8aa3b, v12, -v26
	v_rndne_f32_e32 v39, v26
	v_fmac_f32_e32 v32, 0x32a5705f, v12
	s_delay_alu instid0(VALU_DEP_2) | instskip(NEXT) | instid1(VALU_DEP_1)
	v_sub_f32_e32 v26, v26, v39
	v_add_f32_e32 v26, v26, v32
	v_cvt_i32_f32_e32 v32, v39
	s_delay_alu instid0(VALU_DEP_2) | instskip(SKIP_2) | instid1(VALU_DEP_1)
	v_exp_f32_e32 v26, v26
	s_waitcnt_depctr 0xfff
	v_ldexp_f32 v26, v26, v32
	v_cndmask_b32_e32 v26, 0, v26, vcc_lo
	v_cmp_nlt_f32_e32 vcc_lo, 0x42b17218, v12
	s_delay_alu instid0(VALU_DEP_2) | instskip(SKIP_2) | instid1(VALU_DEP_3)
	v_cndmask_b32_e32 v12, 0x7f800000, v26, vcc_lo
	v_mul_f32_e32 v26, 0x3fb8aa3b, v13
	v_cmp_ngt_f32_e32 vcc_lo, 0xc2ce8ed0, v13
	v_cvt_f16_f32_e64 v128, v12
	s_delay_alu instid0(VALU_DEP_3) | instskip(SKIP_1) | instid1(VALU_DEP_2)
	v_fma_f32 v32, 0x3fb8aa3b, v13, -v26
	v_rndne_f32_e32 v39, v26
	v_fmac_f32_e32 v32, 0x32a5705f, v13
	s_delay_alu instid0(VALU_DEP_2) | instskip(NEXT) | instid1(VALU_DEP_1)
	v_sub_f32_e32 v26, v26, v39
	v_add_f32_e32 v26, v26, v32
	v_cvt_i32_f32_e32 v32, v39
	s_delay_alu instid0(VALU_DEP_2) | instskip(SKIP_3) | instid1(VALU_DEP_2)
	v_exp_f32_e32 v26, v26
	s_waitcnt_depctr 0xfff
	v_ldexp_f32 v26, v26, v32
	v_mul_f32_e32 v32, 0x3fb8aa3b, v31
	v_cndmask_b32_e32 v26, 0, v26, vcc_lo
	s_delay_alu instid0(VALU_DEP_2) | instskip(SKIP_2) | instid1(VALU_DEP_2)
	v_fma_f32 v39, 0x3fb8aa3b, v31, -v32
	v_rndne_f32_e32 v42, v32
	v_cmp_nlt_f32_e32 vcc_lo, 0x42b17218, v13
	v_dual_fmac_f32 v39, 0x32a5705f, v31 :: v_dual_sub_f32 v32, v32, v42
	v_cndmask_b32_e32 v13, 0x7f800000, v26, vcc_lo
	v_cmp_ngt_f32_e32 vcc_lo, 0xc2ce8ed0, v31
	s_delay_alu instid0(VALU_DEP_3) | instskip(SKIP_1) | instid1(VALU_DEP_4)
	v_add_f32_e32 v32, v32, v39
	v_cvt_i32_f32_e32 v39, v42
	v_add_f32_e32 v26, v13, v17
	v_cvt_f16_f32_e64 v129, v13
	v_sub_f32_e32 v13, v27, v9
	v_exp_f32_e32 v32, v32
	v_cvt_f16_f32_e32 v17, v17
	s_delay_alu instid0(VALU_DEP_2) | instskip(NEXT) | instid1(VALU_DEP_1)
	v_mul_f32_e32 v27, 0x3fb8aa3b, v13
	v_rndne_f32_e32 v42, v27
	s_waitcnt_depctr 0xfff
	v_ldexp_f32 v32, v32, v39
	s_delay_alu instid0(VALU_DEP_1) | instskip(SKIP_1) | instid1(VALU_DEP_2)
	v_cndmask_b32_e32 v32, 0, v32, vcc_lo
	v_cmp_nlt_f32_e32 vcc_lo, 0x42b17218, v31
	v_cndmask_b32_e32 v31, 0x7f800000, v32, vcc_lo
	v_fma_f32 v32, 0x3fb8aa3b, v13, -v27
	v_sub_f32_e32 v27, v27, v42
	v_cmp_ngt_f32_e32 vcc_lo, 0xc2ce8ed0, v13
	s_delay_alu instid0(VALU_DEP_4) | instskip(NEXT) | instid1(VALU_DEP_4)
	v_fmac_f32_e32 v26, v150, v31
	v_fmac_f32_e32 v32, 0x32a5705f, v13
	v_cvt_f16_f32_e32 v31, v31
	s_delay_alu instid0(VALU_DEP_2) | instskip(SKIP_1) | instid1(VALU_DEP_3)
	v_add_f32_e32 v27, v27, v32
	v_cvt_i32_f32_e32 v32, v42
	v_pk_mul_f16 v39, v31, v127 op_sel_hi:[0,1]
	v_sub_f32_e32 v31, v151, v9
	s_delay_alu instid0(VALU_DEP_4) | instskip(SKIP_2) | instid1(VALU_DEP_1)
	v_exp_f32_e32 v27, v27
	s_waitcnt_depctr 0xfff
	v_ldexp_f32 v27, v27, v32
	v_cndmask_b32_e32 v27, 0, v27, vcc_lo
	v_cmp_nlt_f32_e32 vcc_lo, 0x42b17218, v13
	s_delay_alu instid0(VALU_DEP_2) | instskip(SKIP_1) | instid1(VALU_DEP_2)
	v_cndmask_b32_e32 v13, 0x7f800000, v27, vcc_lo
	v_cmp_ngt_f32_e32 vcc_lo, 0xc2ce8ed0, v31
	v_dual_add_f32 v27, v12, v13 :: v_dual_mul_f32 v12, 0x3fb8aa3b, v31
	v_cvt_f16_f32_e32 v127, v13
	s_delay_alu instid0(VALU_DEP_2) | instskip(SKIP_1) | instid1(VALU_DEP_3)
	v_fma_f32 v13, 0x3fb8aa3b, v31, -v12
	v_rndne_f32_e32 v32, v12
	v_pack_b32_f16 v127, v17, v127
	s_delay_alu instid0(VALU_DEP_2) | instskip(NEXT) | instid1(VALU_DEP_1)
	v_dual_fmac_f32 v13, 0x32a5705f, v31 :: v_dual_sub_f32 v12, v12, v32
	v_add_f32_e32 v12, v12, v13
	v_cvt_i32_f32_e32 v13, v32
	v_add_f32_e32 v32, 0x40051340, v29
	s_delay_alu instid0(VALU_DEP_3) | instskip(SKIP_2) | instid1(VALU_DEP_1)
	v_exp_f32_e32 v12, v12
	s_waitcnt_depctr 0xfff
	v_ldexp_f32 v12, v12, v13
	v_dual_add_f32 v13, v155, v11 :: v_dual_cndmask_b32 v12, 0, v12
	v_cmp_nlt_f32_e32 vcc_lo, 0x42b17218, v31
	s_delay_alu instid0(VALU_DEP_2) | instskip(NEXT) | instid1(VALU_DEP_1)
	v_cndmask_b32_e32 v12, 0x7f800000, v12, vcc_lo
	v_fmac_f32_e32 v27, v149, v12
	v_cvt_f16_f32_e32 v12, v12
	s_delay_alu instid0(VALU_DEP_1) | instskip(SKIP_1) | instid1(VALU_DEP_1)
	v_pk_mul_f16 v42, v12, v126 op_sel_hi:[0,1]
	v_dual_add_f32 v12, v156, v11 :: v_dual_add_f32 v11, 0x40051340, v13
	v_add_f32_e32 v31, 0x40051340, v12
	s_delay_alu instid0(VALU_DEP_2) | instskip(NEXT) | instid1(VALU_DEP_2)
	v_max3_f32 v10, v146, v11, v10
	v_max3_f32 v31, v145, v31, v32
	ds_bpermute_b32 v11, v194, v10
	ds_bpermute_b32 v32, v194, v31
	s_waitcnt lgkmcnt(0)
	v_dual_max_f32 v11, v11, v11 :: v_dual_max_f32 v32, v32, v32
	s_delay_alu instid0(VALU_DEP_1) | instskip(SKIP_4) | instid1(VALU_DEP_1)
	v_dual_max_f32 v10, v10, v11 :: v_dual_max_f32 v31, v31, v32
	ds_bpermute_b32 v11, v193, v10
	ds_bpermute_b32 v32, v193, v31
	s_waitcnt lgkmcnt(0)
	v_dual_max_f32 v11, v11, v11 :: v_dual_max_f32 v32, v32, v32
	v_dual_max_f32 v10, v10, v11 :: v_dual_max_f32 v31, v31, v32
	ds_bpermute_b32 v11, v192, v10
	ds_bpermute_b32 v32, v192, v31
	s_waitcnt lgkmcnt(0)
	v_dual_max_f32 v11, v11, v11 :: v_dual_max_f32 v32, v32, v32
	s_delay_alu instid0(VALU_DEP_1) | instskip(SKIP_4) | instid1(VALU_DEP_1)
	v_dual_max_f32 v10, v10, v11 :: v_dual_max_f32 v31, v31, v32
	ds_bpermute_b32 v11, v191, v10
	ds_bpermute_b32 v32, v191, v31
	s_waitcnt lgkmcnt(0)
	v_dual_max_f32 v11, v11, v11 :: v_dual_max_f32 v32, v32, v32
	v_dual_max_f32 v10, v10, v11 :: v_dual_max_f32 v31, v31, v32
	ds_bpermute_b32 v32, v190, v10
	ds_bpermute_b32 v11, v190, v31
	s_waitcnt lgkmcnt(0)
	v_max_f32_e32 v11, v11, v11
	s_delay_alu instid0(VALU_DEP_1) | instskip(SKIP_1) | instid1(VALU_DEP_2)
	v_max_f32_e32 v11, v31, v11
	v_max_f32_e32 v31, v32, v32
	v_sub_f32_e32 v12, v12, v11
	s_delay_alu instid0(VALU_DEP_2) | instskip(NEXT) | instid1(VALU_DEP_1)
	v_max_f32_e32 v10, v10, v31
	v_sub_f32_e32 v28, v28, v10
	v_sub_f32_e32 v13, v13, v10
	s_delay_alu instid0(VALU_DEP_2) | instskip(SKIP_1) | instid1(VALU_DEP_2)
	v_dual_sub_f32 v31, v146, v10 :: v_dual_mul_f32 v32, 0x3fb8aa3b, v28
	v_cmp_ngt_f32_e32 vcc_lo, 0xc2ce8ed0, v28
	v_fma_f32 v43, 0x3fb8aa3b, v28, -v32
	v_rndne_f32_e32 v126, v32
	s_delay_alu instid0(VALU_DEP_1) | instskip(NEXT) | instid1(VALU_DEP_1)
	v_dual_fmac_f32 v43, 0x32a5705f, v28 :: v_dual_sub_f32 v32, v32, v126
	v_add_f32_e32 v32, v32, v43
	v_cvt_i32_f32_e32 v43, v126
	s_delay_alu instid0(VALU_DEP_2) | instskip(SKIP_2) | instid1(VALU_DEP_1)
	v_exp_f32_e32 v32, v32
	s_waitcnt_depctr 0xfff
	v_ldexp_f32 v32, v32, v43
	v_cndmask_b32_e32 v32, 0, v32, vcc_lo
	v_cmp_nlt_f32_e32 vcc_lo, 0x42b17218, v28
	v_mul_f32_e32 v28, 0x3fb8aa3b, v12
	s_delay_alu instid0(VALU_DEP_3) | instskip(NEXT) | instid1(VALU_DEP_2)
	v_cndmask_b32_e32 v32, 0x7f800000, v32, vcc_lo
	v_fma_f32 v43, 0x3fb8aa3b, v12, -v28
	v_rndne_f32_e32 v126, v28
	v_cmp_ngt_f32_e32 vcc_lo, 0xc2ce8ed0, v12
	s_delay_alu instid0(VALU_DEP_2) | instskip(NEXT) | instid1(VALU_DEP_1)
	v_dual_fmac_f32 v43, 0x32a5705f, v12 :: v_dual_sub_f32 v28, v28, v126
	v_add_f32_e32 v28, v28, v43
	v_cvt_i32_f32_e32 v43, v126
	s_delay_alu instid0(VALU_DEP_2) | instskip(SKIP_2) | instid1(VALU_DEP_1)
	v_exp_f32_e32 v28, v28
	s_waitcnt_depctr 0xfff
	v_ldexp_f32 v28, v28, v43
	v_cndmask_b32_e32 v28, 0, v28, vcc_lo
	v_cmp_nlt_f32_e32 vcc_lo, 0x42b17218, v12
	s_delay_alu instid0(VALU_DEP_2) | instskip(SKIP_2) | instid1(VALU_DEP_2)
	v_cndmask_b32_e32 v12, 0x7f800000, v28, vcc_lo
	v_mul_f32_e32 v28, 0x3fb8aa3b, v13
	v_cmp_ngt_f32_e32 vcc_lo, 0xc2ce8ed0, v13
	v_fma_f32 v43, 0x3fb8aa3b, v13, -v28
	v_rndne_f32_e32 v126, v28
	s_delay_alu instid0(VALU_DEP_1) | instskip(NEXT) | instid1(VALU_DEP_1)
	v_dual_fmac_f32 v43, 0x32a5705f, v13 :: v_dual_sub_f32 v28, v28, v126
	v_add_f32_e32 v28, v28, v43
	v_cvt_i32_f32_e32 v43, v126
	v_cvt_f16_f32_e32 v126, v32
	s_delay_alu instid0(VALU_DEP_3) | instskip(SKIP_2) | instid1(VALU_DEP_1)
	v_exp_f32_e32 v28, v28
	s_waitcnt_depctr 0xfff
	v_ldexp_f32 v28, v28, v43
	v_cndmask_b32_e32 v28, 0, v28, vcc_lo
	v_cmp_nlt_f32_e32 vcc_lo, 0x42b17218, v13
	s_delay_alu instid0(VALU_DEP_2) | instskip(SKIP_1) | instid1(VALU_DEP_2)
	v_cndmask_b32_e32 v13, 0x7f800000, v28, vcc_lo
	v_cmp_ngt_f32_e32 vcc_lo, 0xc2ce8ed0, v31
	v_add_f32_e32 v28, v13, v32
	v_mul_f32_e32 v32, 0x3fb8aa3b, v31
	v_cvt_f16_f32_e64 v131, v13
	v_sub_f32_e32 v13, v29, v11
	s_delay_alu instid0(VALU_DEP_3) | instskip(SKIP_1) | instid1(VALU_DEP_3)
	v_fma_f32 v43, 0x3fb8aa3b, v31, -v32
	v_rndne_f32_e32 v130, v32
	v_mul_f32_e32 v29, 0x3fb8aa3b, v13
	s_delay_alu instid0(VALU_DEP_2) | instskip(NEXT) | instid1(VALU_DEP_1)
	v_dual_fmac_f32 v43, 0x32a5705f, v31 :: v_dual_sub_f32 v32, v32, v130
	v_add_f32_e32 v32, v32, v43
	v_cvt_i32_f32_e32 v43, v130
	v_cvt_f16_f32_e64 v130, v12
	s_delay_alu instid0(VALU_DEP_3) | instskip(SKIP_2) | instid1(VALU_DEP_1)
	v_exp_f32_e32 v32, v32
	s_waitcnt_depctr 0xfff
	v_ldexp_f32 v32, v32, v43
	v_cndmask_b32_e32 v32, 0, v32, vcc_lo
	v_cmp_nlt_f32_e32 vcc_lo, 0x42b17218, v31
	s_delay_alu instid0(VALU_DEP_2) | instskip(SKIP_2) | instid1(VALU_DEP_3)
	v_cndmask_b32_e32 v31, 0x7f800000, v32, vcc_lo
	v_fma_f32 v32, 0x3fb8aa3b, v13, -v29
	v_cmp_ngt_f32_e32 vcc_lo, 0xc2ce8ed0, v13
	v_fmac_f32_e32 v28, v144, v31
	v_cvt_f16_f32_e32 v31, v31
	s_delay_alu instid0(VALU_DEP_4) | instskip(NEXT) | instid1(VALU_DEP_2)
	v_fmac_f32_e32 v32, 0x32a5705f, v13
	v_pk_mul_f16 v43, v31, v125 op_sel_hi:[0,1]
	v_rndne_f32_e32 v125, v29
	v_sub_f32_e32 v31, v145, v11
	s_delay_alu instid0(VALU_DEP_2) | instskip(NEXT) | instid1(VALU_DEP_1)
	v_sub_f32_e32 v29, v29, v125
	v_add_f32_e32 v29, v29, v32
	v_cvt_i32_f32_e32 v32, v125
	s_delay_alu instid0(VALU_DEP_2) | instskip(SKIP_2) | instid1(VALU_DEP_1)
	v_exp_f32_e32 v29, v29
	s_waitcnt_depctr 0xfff
	v_ldexp_f32 v29, v29, v32
	v_cndmask_b32_e32 v29, 0, v29, vcc_lo
	v_cmp_nlt_f32_e32 vcc_lo, 0x42b17218, v13
	s_delay_alu instid0(VALU_DEP_2) | instskip(SKIP_1) | instid1(VALU_DEP_2)
	v_cndmask_b32_e32 v13, 0x7f800000, v29, vcc_lo
	v_cmp_ngt_f32_e32 vcc_lo, 0xc2ce8ed0, v31
	v_dual_add_f32 v29, v12, v13 :: v_dual_mul_f32 v12, 0x3fb8aa3b, v31
	v_cvt_f16_f32_e32 v125, v13
	s_delay_alu instid0(VALU_DEP_2) | instskip(SKIP_1) | instid1(VALU_DEP_1)
	v_fma_f32 v13, 0x3fb8aa3b, v31, -v12
	v_rndne_f32_e32 v32, v12
	v_dual_fmac_f32 v13, 0x32a5705f, v31 :: v_dual_sub_f32 v12, v12, v32
	s_delay_alu instid0(VALU_DEP_1) | instskip(SKIP_2) | instid1(VALU_DEP_3)
	v_add_f32_e32 v12, v12, v13
	v_cvt_i32_f32_e32 v13, v32
	v_add_f32_e32 v32, v153, v196
	v_exp_f32_e32 v12, v12
	s_waitcnt_depctr 0xfff
	v_ldexp_f32 v12, v12, v13
	s_delay_alu instid0(VALU_DEP_1) | instskip(SKIP_2) | instid1(VALU_DEP_3)
	v_cndmask_b32_e32 v12, 0, v12, vcc_lo
	v_cmp_nlt_f32_e32 vcc_lo, 0x42b17218, v31
	v_add_f32_e32 v31, v154, v196
	v_cndmask_b32_e32 v12, 0x7f800000, v12, vcc_lo
	s_delay_alu instid0(VALU_DEP_2) | instskip(NEXT) | instid1(VALU_DEP_2)
	v_add_f32_e32 v13, 0x40051340, v31
	v_fmac_f32_e32 v29, v143, v12
	v_cvt_f16_f32_e32 v12, v12
	s_delay_alu instid0(VALU_DEP_3) | instskip(NEXT) | instid1(VALU_DEP_2)
	v_max3_f32 v13, v141, v13, v133
	v_pk_mul_f16 v124, v12, v124 op_sel_hi:[0,1]
	v_add_f32_e32 v12, 0x40051340, v32
	ds_bpermute_b32 v133, v194, v13
	v_max3_f32 v12, v142, v12, v30
	ds_bpermute_b32 v30, v194, v12
	s_waitcnt lgkmcnt(1)
	v_max_f32_e32 v133, v133, v133
	s_waitcnt lgkmcnt(0)
	s_delay_alu instid0(VALU_DEP_1)
	v_dual_max_f32 v13, v13, v133 :: v_dual_max_f32 v30, v30, v30
	ds_bpermute_b32 v133, v193, v13
	v_max_f32_e32 v12, v12, v30
	ds_bpermute_b32 v30, v193, v12
	s_waitcnt lgkmcnt(1)
	v_max_f32_e32 v133, v133, v133
	s_waitcnt lgkmcnt(0)
	s_delay_alu instid0(VALU_DEP_1)
	v_dual_max_f32 v13, v13, v133 :: v_dual_max_f32 v30, v30, v30
	ds_bpermute_b32 v133, v192, v13
	v_max_f32_e32 v12, v12, v30
	;; [unrolled: 8-line block ×4, first 2 shown]
	ds_bpermute_b32 v30, v190, v12
	s_waitcnt lgkmcnt(1)
	v_max_f32_e32 v133, v133, v133
	s_waitcnt lgkmcnt(0)
	s_delay_alu instid0(VALU_DEP_1) | instskip(NEXT) | instid1(VALU_DEP_1)
	v_dual_max_f32 v13, v13, v133 :: v_dual_max_f32 v30, v30, v30
	v_dual_sub_f32 v31, v31, v13 :: v_dual_max_f32 v12, v12, v30
	s_delay_alu instid0(VALU_DEP_1) | instskip(SKIP_1) | instid1(VALU_DEP_2)
	v_sub_f32_e32 v16, v16, v12
	v_sub_f32_e32 v133, v142, v12
	v_mul_f32_e32 v30, 0x3fb8aa3b, v16
	v_cmp_ngt_f32_e32 vcc_lo, 0xc2ce8ed0, v16
	s_delay_alu instid0(VALU_DEP_2) | instskip(SKIP_1) | instid1(VALU_DEP_2)
	v_fma_f32 v134, 0x3fb8aa3b, v16, -v30
	v_rndne_f32_e32 v137, v30
	v_fmac_f32_e32 v134, 0x32a5705f, v16
	s_delay_alu instid0(VALU_DEP_2) | instskip(NEXT) | instid1(VALU_DEP_1)
	v_sub_f32_e32 v30, v30, v137
	v_add_f32_e32 v30, v30, v134
	v_cvt_i32_f32_e32 v134, v137
	s_delay_alu instid0(VALU_DEP_2) | instskip(SKIP_2) | instid1(VALU_DEP_1)
	v_exp_f32_e32 v30, v30
	s_waitcnt_depctr 0xfff
	v_ldexp_f32 v30, v30, v134
	v_cndmask_b32_e32 v30, 0, v30, vcc_lo
	v_cmp_nlt_f32_e32 vcc_lo, 0x42b17218, v16
	s_delay_alu instid0(VALU_DEP_2) | instskip(SKIP_3) | instid1(VALU_DEP_2)
	v_cndmask_b32_e32 v16, 0x7f800000, v30, vcc_lo
	v_sub_f32_e32 v30, v32, v12
	v_mul_f32_e32 v32, 0x3fb8aa3b, v31
	v_cmp_ngt_f32_e32 vcc_lo, 0xc2ce8ed0, v31
	v_fma_f32 v134, 0x3fb8aa3b, v31, -v32
	v_rndne_f32_e32 v137, v32
	s_delay_alu instid0(VALU_DEP_2) | instskip(NEXT) | instid1(VALU_DEP_2)
	v_fmac_f32_e32 v134, 0x32a5705f, v31
	v_sub_f32_e32 v32, v32, v137
	s_delay_alu instid0(VALU_DEP_1) | instskip(SKIP_1) | instid1(VALU_DEP_2)
	v_add_f32_e32 v32, v32, v134
	v_cvt_i32_f32_e32 v134, v137
	v_exp_f32_e32 v32, v32
	s_waitcnt_depctr 0xfff
	v_ldexp_f32 v32, v32, v134
	s_delay_alu instid0(VALU_DEP_1) | instskip(SKIP_1) | instid1(VALU_DEP_2)
	v_cndmask_b32_e32 v32, 0, v32, vcc_lo
	v_cmp_nlt_f32_e32 vcc_lo, 0x42b17218, v31
	v_cndmask_b32_e32 v31, 0x7f800000, v32, vcc_lo
	v_mul_f32_e32 v32, 0x3fb8aa3b, v30
	v_cmp_ngt_f32_e32 vcc_lo, 0xc2ce8ed0, v30
	s_delay_alu instid0(VALU_DEP_2) | instskip(SKIP_1) | instid1(VALU_DEP_2)
	v_fma_f32 v134, 0x3fb8aa3b, v30, -v32
	v_rndne_f32_e32 v137, v32
	v_fmac_f32_e32 v134, 0x32a5705f, v30
	s_delay_alu instid0(VALU_DEP_2) | instskip(NEXT) | instid1(VALU_DEP_1)
	v_sub_f32_e32 v32, v32, v137
	v_add_f32_e32 v32, v32, v134
	v_cvt_i32_f32_e32 v134, v137
	s_delay_alu instid0(VALU_DEP_2) | instskip(SKIP_3) | instid1(VALU_DEP_2)
	v_exp_f32_e32 v32, v32
	s_waitcnt_depctr 0xfff
	v_ldexp_f32 v32, v32, v134
	v_mul_f32_e32 v134, 0x3fb8aa3b, v133
	v_cndmask_b32_e32 v32, 0, v32, vcc_lo
	s_delay_alu instid0(VALU_DEP_2) | instskip(SKIP_2) | instid1(VALU_DEP_2)
	v_fma_f32 v137, 0x3fb8aa3b, v133, -v134
	v_rndne_f32_e32 v142, v134
	v_cmp_nlt_f32_e32 vcc_lo, 0x42b17218, v30
	v_dual_fmac_f32 v137, 0x32a5705f, v133 :: v_dual_sub_f32 v134, v134, v142
	v_cndmask_b32_e32 v32, 0x7f800000, v32, vcc_lo
	v_cmp_ngt_f32_e32 vcc_lo, 0xc2ce8ed0, v133
	s_delay_alu instid0(VALU_DEP_3) | instskip(SKIP_1) | instid1(VALU_DEP_4)
	v_add_f32_e32 v134, v134, v137
	v_cvt_i32_f32_e32 v137, v142
	v_add_f32_e32 v30, v32, v16
	v_add_f32_e32 v142, v14, v195
	v_cvt_f16_f32_e32 v16, v16
	v_exp_f32_e32 v134, v134
	s_delay_alu instid0(VALU_DEP_2) | instskip(SKIP_2) | instid1(VALU_DEP_1)
	v_add_f32_e32 v14, 0x40051340, v142
	s_waitcnt_depctr 0xfff
	v_ldexp_f32 v134, v134, v137
	v_dual_sub_f32 v137, v141, v13 :: v_dual_cndmask_b32 v134, 0, v134
	v_cmp_nlt_f32_e32 vcc_lo, 0x42b17218, v133
	s_delay_alu instid0(VALU_DEP_2) | instskip(SKIP_2) | instid1(VALU_DEP_3)
	v_cndmask_b32_e32 v133, 0x7f800000, v134, vcc_lo
	v_cvt_f16_f32_e64 v134, v32
	v_sub_f32_e32 v32, v132, v13
	v_fmac_f32_e32 v30, v140, v133
	v_cvt_f16_f32_e64 v133, v133
	s_delay_alu instid0(VALU_DEP_3) | instskip(SKIP_1) | instid1(VALU_DEP_3)
	v_mul_f32_e32 v132, 0x3fb8aa3b, v32
	v_cmp_ngt_f32_e32 vcc_lo, 0xc2ce8ed0, v32
	v_pk_mul_f16 v123, v133, v123 op_sel_hi:[0,1]
	s_delay_alu instid0(VALU_DEP_3) | instskip(SKIP_2) | instid1(VALU_DEP_3)
	v_fma_f32 v140, 0x3fb8aa3b, v32, -v132
	v_rndne_f32_e32 v141, v132
	v_cvt_f16_f32_e64 v133, v31
	v_fmac_f32_e32 v140, 0x32a5705f, v32
	s_delay_alu instid0(VALU_DEP_3) | instskip(NEXT) | instid1(VALU_DEP_1)
	v_sub_f32_e32 v132, v132, v141
	v_add_f32_e32 v132, v132, v140
	v_cvt_i32_f32_e32 v140, v141
	s_delay_alu instid0(VALU_DEP_2) | instskip(SKIP_2) | instid1(VALU_DEP_1)
	v_exp_f32_e32 v132, v132
	s_waitcnt_depctr 0xfff
	v_ldexp_f32 v132, v132, v140
	v_cndmask_b32_e32 v132, 0, v132, vcc_lo
	v_cmp_nlt_f32_e32 vcc_lo, 0x42b17218, v32
	s_delay_alu instid0(VALU_DEP_2) | instskip(SKIP_1) | instid1(VALU_DEP_2)
	v_cndmask_b32_e32 v32, 0x7f800000, v132, vcc_lo
	v_cmp_ngt_f32_e32 vcc_lo, 0xc2ce8ed0, v137
	v_add_f32_e32 v31, v31, v32
	v_cvt_f16_f32_e64 v132, v32
	v_mul_f32_e32 v32, 0x3fb8aa3b, v137
	s_delay_alu instid0(VALU_DEP_1) | instskip(SKIP_1) | instid1(VALU_DEP_2)
	v_fma_f32 v140, 0x3fb8aa3b, v137, -v32
	v_rndne_f32_e32 v141, v32
	v_fmac_f32_e32 v140, 0x32a5705f, v137
	s_delay_alu instid0(VALU_DEP_2) | instskip(NEXT) | instid1(VALU_DEP_1)
	v_sub_f32_e32 v32, v32, v141
	v_add_f32_e32 v32, v32, v140
	v_cvt_i32_f32_e32 v140, v141
	v_add_f32_e32 v141, v15, v195
	s_delay_alu instid0(VALU_DEP_3) | instskip(NEXT) | instid1(VALU_DEP_1)
	v_exp_f32_e32 v32, v32
	v_add_f32_e32 v15, 0x40051340, v141
	s_waitcnt_depctr 0xfff
	v_ldexp_f32 v32, v32, v140
	s_delay_alu instid0(VALU_DEP_1) | instskip(SKIP_2) | instid1(VALU_DEP_3)
	v_cndmask_b32_e32 v32, 0, v32, vcc_lo
	v_cmp_nlt_f32_e32 vcc_lo, 0x42b17218, v137
	v_add_f32_e32 v137, v147, v196
	v_cndmask_b32_e32 v32, 0x7f800000, v32, vcc_lo
	s_delay_alu instid0(VALU_DEP_1) | instskip(SKIP_1) | instid1(VALU_DEP_4)
	v_fmac_f32_e32 v31, v139, v32
	v_cvt_f16_f32_e32 v32, v32
	v_add_f32_e32 v139, 0x40051340, v137
	s_delay_alu instid0(VALU_DEP_2) | instskip(SKIP_1) | instid1(VALU_DEP_3)
	v_pk_mul_f16 v122, v32, v122 op_sel_hi:[0,1]
	v_add_f32_e32 v32, v148, v196
	v_max3_f32 v14, v138, v139, v14
	s_delay_alu instid0(VALU_DEP_2)
	v_add_f32_e32 v140, 0x40051340, v32
	ds_bpermute_b32 v139, v194, v14
	v_max3_f32 v15, v136, v140, v15
	ds_bpermute_b32 v140, v194, v15
	s_waitcnt lgkmcnt(1)
	v_max_f32_e32 v139, v139, v139
	s_delay_alu instid0(VALU_DEP_1)
	v_max_f32_e32 v14, v14, v139
	s_waitcnt lgkmcnt(0)
	v_max_f32_e32 v140, v140, v140
	ds_bpermute_b32 v139, v193, v14
	v_max_f32_e32 v15, v15, v140
	ds_bpermute_b32 v140, v193, v15
	s_waitcnt lgkmcnt(1)
	v_max_f32_e32 v139, v139, v139
	s_delay_alu instid0(VALU_DEP_1)
	v_max_f32_e32 v14, v14, v139
	s_waitcnt lgkmcnt(0)
	v_max_f32_e32 v140, v140, v140
	ds_bpermute_b32 v139, v192, v14
	v_max_f32_e32 v15, v15, v140
	;; [unrolled: 9-line block ×4, first 2 shown]
	ds_bpermute_b32 v140, v190, v15
	s_waitcnt lgkmcnt(1)
	v_max_f32_e32 v139, v139, v139
	s_delay_alu instid0(VALU_DEP_1) | instskip(SKIP_1) | instid1(VALU_DEP_1)
	v_max_f32_e32 v14, v14, v139
	s_waitcnt lgkmcnt(0)
	v_dual_max_f32 v140, v140, v140 :: v_dual_sub_f32 v139, v142, v14
	v_sub_f32_e32 v137, v137, v14
	s_delay_alu instid0(VALU_DEP_2) | instskip(NEXT) | instid1(VALU_DEP_3)
	v_dual_sub_f32 v138, v138, v14 :: v_dual_max_f32 v15, v15, v140
	v_mul_f32_e32 v140, 0x3fb8aa3b, v139
	v_cmp_ngt_f32_e32 vcc_lo, 0xc2ce8ed0, v139
	s_delay_alu instid0(VALU_DEP_3) | instskip(NEXT) | instid1(VALU_DEP_3)
	v_sub_f32_e32 v32, v32, v15
	v_fma_f32 v142, 0x3fb8aa3b, v139, -v140
	v_rndne_f32_e32 v143, v140
	s_delay_alu instid0(VALU_DEP_2) | instskip(NEXT) | instid1(VALU_DEP_2)
	v_fmac_f32_e32 v142, 0x32a5705f, v139
	v_sub_f32_e32 v140, v140, v143
	s_delay_alu instid0(VALU_DEP_1) | instskip(SKIP_1) | instid1(VALU_DEP_2)
	v_add_f32_e32 v140, v140, v142
	v_cvt_i32_f32_e32 v142, v143
	v_exp_f32_e32 v140, v140
	s_waitcnt_depctr 0xfff
	v_ldexp_f32 v140, v140, v142
	s_delay_alu instid0(VALU_DEP_1) | instskip(SKIP_1) | instid1(VALU_DEP_2)
	v_cndmask_b32_e32 v140, 0, v140, vcc_lo
	v_cmp_nlt_f32_e32 vcc_lo, 0x42b17218, v139
	v_cndmask_b32_e32 v139, 0x7f800000, v140, vcc_lo
	v_mul_f32_e32 v140, 0x3fb8aa3b, v32
	v_cmp_ngt_f32_e32 vcc_lo, 0xc2ce8ed0, v32
	s_delay_alu instid0(VALU_DEP_2) | instskip(SKIP_1) | instid1(VALU_DEP_2)
	v_fma_f32 v142, 0x3fb8aa3b, v32, -v140
	v_rndne_f32_e32 v143, v140
	v_fmac_f32_e32 v142, 0x32a5705f, v32
	s_delay_alu instid0(VALU_DEP_2) | instskip(NEXT) | instid1(VALU_DEP_1)
	v_sub_f32_e32 v140, v140, v143
	v_add_f32_e32 v140, v140, v142
	v_cvt_i32_f32_e32 v142, v143
	s_delay_alu instid0(VALU_DEP_2) | instskip(SKIP_2) | instid1(VALU_DEP_1)
	v_exp_f32_e32 v140, v140
	s_waitcnt_depctr 0xfff
	v_ldexp_f32 v140, v140, v142
	v_cndmask_b32_e32 v140, 0, v140, vcc_lo
	v_cmp_nlt_f32_e32 vcc_lo, 0x42b17218, v32
	v_mul_f32_e32 v32, 0x3fb8aa3b, v137
	s_delay_alu instid0(VALU_DEP_3) | instskip(NEXT) | instid1(VALU_DEP_2)
	v_cndmask_b32_e32 v140, 0x7f800000, v140, vcc_lo
	v_fma_f32 v142, 0x3fb8aa3b, v137, -v32
	v_rndne_f32_e32 v143, v32
	v_cmp_ngt_f32_e32 vcc_lo, 0xc2ce8ed0, v137
	s_delay_alu instid0(VALU_DEP_3) | instskip(NEXT) | instid1(VALU_DEP_3)
	v_fmac_f32_e32 v142, 0x32a5705f, v137
	v_sub_f32_e32 v32, v32, v143
	s_delay_alu instid0(VALU_DEP_1) | instskip(SKIP_1) | instid1(VALU_DEP_2)
	v_add_f32_e32 v32, v32, v142
	v_cvt_i32_f32_e32 v142, v143
	v_exp_f32_e32 v32, v32
	s_waitcnt_depctr 0xfff
	v_ldexp_f32 v32, v32, v142
	s_delay_alu instid0(VALU_DEP_1) | instskip(SKIP_2) | instid1(VALU_DEP_3)
	v_cndmask_b32_e32 v32, 0, v32, vcc_lo
	v_cmp_nlt_f32_e32 vcc_lo, 0x42b17218, v137
	v_cvt_f16_f32_e64 v137, v139
	v_cndmask_b32_e32 v142, 0x7f800000, v32, vcc_lo
	v_cmp_ngt_f32_e32 vcc_lo, 0xc2ce8ed0, v138
	s_delay_alu instid0(VALU_DEP_2) | instskip(NEXT) | instid1(VALU_DEP_1)
	v_dual_add_f32 v32, v142, v139 :: v_dual_mul_f32 v139, 0x3fb8aa3b, v138
	v_fma_f32 v143, 0x3fb8aa3b, v138, -v139
	v_rndne_f32_e32 v144, v139
	s_delay_alu instid0(VALU_DEP_2) | instskip(NEXT) | instid1(VALU_DEP_2)
	v_fmac_f32_e32 v143, 0x32a5705f, v138
	v_sub_f32_e32 v139, v139, v144
	s_delay_alu instid0(VALU_DEP_1) | instskip(SKIP_1) | instid1(VALU_DEP_2)
	v_add_f32_e32 v139, v139, v143
	v_cvt_i32_f32_e32 v143, v144
	v_exp_f32_e32 v139, v139
	s_waitcnt_depctr 0xfff
	v_ldexp_f32 v139, v139, v143
	s_delay_alu instid0(VALU_DEP_1) | instskip(SKIP_1) | instid1(VALU_DEP_2)
	v_cndmask_b32_e32 v139, 0, v139, vcc_lo
	v_cmp_nlt_f32_e32 vcc_lo, 0x42b17218, v138
	v_cndmask_b32_e32 v138, 0x7f800000, v139, vcc_lo
	v_sub_f32_e32 v139, v136, v15
	v_cvt_f16_f32_e64 v136, v140
	s_delay_alu instid0(VALU_DEP_3) | instskip(SKIP_2) | instid1(VALU_DEP_2)
	v_fmac_f32_e32 v32, v135, v138
	v_cvt_f16_f32_e64 v135, v138
	v_cvt_f16_f32_e64 v138, v142
	v_pk_mul_f16 v121, v135, v121 op_sel_hi:[0,1]
	v_sub_f32_e32 v135, v141, v15
	s_delay_alu instid0(VALU_DEP_1) | instskip(SKIP_1) | instid1(VALU_DEP_2)
	v_mul_f32_e32 v141, 0x3fb8aa3b, v135
	v_cmp_ngt_f32_e32 vcc_lo, 0xc2ce8ed0, v135
	v_fma_f32 v142, 0x3fb8aa3b, v135, -v141
	v_rndne_f32_e32 v143, v141
	s_delay_alu instid0(VALU_DEP_2) | instskip(NEXT) | instid1(VALU_DEP_2)
	v_fmac_f32_e32 v142, 0x32a5705f, v135
	v_sub_f32_e32 v141, v141, v143
	s_delay_alu instid0(VALU_DEP_1) | instskip(SKIP_1) | instid1(VALU_DEP_2)
	v_add_f32_e32 v141, v141, v142
	v_cvt_i32_f32_e32 v142, v143
	v_exp_f32_e32 v141, v141
	s_waitcnt_depctr 0xfff
	v_ldexp_f32 v141, v141, v142
	s_delay_alu instid0(VALU_DEP_1) | instskip(SKIP_1) | instid1(VALU_DEP_2)
	v_cndmask_b32_e32 v141, 0, v141, vcc_lo
	v_cmp_nlt_f32_e32 vcc_lo, 0x42b17218, v135
	v_cndmask_b32_e32 v135, 0x7f800000, v141, vcc_lo
	v_mul_f32_e32 v141, 0x3fb8aa3b, v139
	v_cmp_ngt_f32_e32 vcc_lo, 0xc2ce8ed0, v139
	s_delay_alu instid0(VALU_DEP_3) | instskip(NEXT) | instid1(VALU_DEP_3)
	v_add_f32_e32 v140, v140, v135
	v_fma_f32 v142, 0x3fb8aa3b, v139, -v141
	v_rndne_f32_e32 v143, v141
	v_cvt_f16_f32_e64 v135, v135
	s_delay_alu instid0(VALU_DEP_3) | instskip(NEXT) | instid1(VALU_DEP_3)
	v_fmac_f32_e32 v142, 0x32a5705f, v139
	v_sub_f32_e32 v141, v141, v143
	s_delay_alu instid0(VALU_DEP_1) | instskip(SKIP_1) | instid1(VALU_DEP_2)
	v_add_f32_e32 v141, v141, v142
	v_cvt_i32_f32_e32 v142, v143
	v_exp_f32_e32 v141, v141
	s_waitcnt_depctr 0xfff
	v_ldexp_f32 v141, v141, v142
	s_delay_alu instid0(VALU_DEP_1) | instskip(SKIP_1) | instid1(VALU_DEP_2)
	v_cndmask_b32_e32 v141, 0, v141, vcc_lo
	v_cmp_nlt_f32_e32 vcc_lo, 0x42b17218, v139
	v_cndmask_b32_e32 v139, 0x7f800000, v141, vcc_lo
	v_mov_b32_e32 v141, v89
	v_mov_b32_e32 v89, v140
	v_pack_b32_f16 v140, v134, v133
	s_delay_alu instid0(VALU_DEP_2)
	v_fmac_f32_e32 v89, v141, v139
	v_pack_b32_f16 v141, v138, v136
	v_pack_b32_f16 v138, v129, v128
	;; [unrolled: 1-line block ×3, first 2 shown]
	v_add_co_u32 v16, vcc_lo, s17, v52
	v_cvt_f16_f32_e64 v139, v139
	v_add_co_ci_u32_e32 v17, vcc_lo, s18, v53, vcc_lo
	s_delay_alu instid0(VALU_DEP_3) | instskip(NEXT) | instid1(VALU_DEP_3)
	v_add_co_u32 v16, vcc_lo, v16, v111
	v_pk_mul_f16 v120, v139, v120 op_sel_hi:[0,1]
	v_pack_b32_f16 v139, v131, v130
	v_pack_b32_f16 v130, v137, v135
	;; [unrolled: 1-line block ×3, first 2 shown]
	v_add_co_ci_u32_e32 v17, vcc_lo, 0, v17, vcc_lo
	ds_store_b128 v112, v[138:141] offset:1024
	ds_store_b128 v112, v[127:130] offset:1536
	global_load_b128 v[125:128], v[16:17], off
	v_add_co_u32 v16, vcc_lo, s17, v54
	v_add_co_ci_u32_e32 v17, vcc_lo, s18, v55, vcc_lo
	s_delay_alu instid0(VALU_DEP_2) | instskip(NEXT) | instid1(VALU_DEP_2)
	v_add_co_u32 v16, vcc_lo, v16, v111
	v_add_co_ci_u32_e32 v17, vcc_lo, 0, v17, vcc_lo
	s_waitcnt vmcnt(0)
	ds_store_b128 v106, v[125:128]
	global_load_b128 v[125:128], v[16:17], off
	v_add_co_u32 v16, vcc_lo, s17, v56
	v_add_co_ci_u32_e32 v17, vcc_lo, s18, v57, vcc_lo
	s_delay_alu instid0(VALU_DEP_2) | instskip(NEXT) | instid1(VALU_DEP_2)
	v_add_co_u32 v16, vcc_lo, v16, v111
	v_add_co_ci_u32_e32 v17, vcc_lo, 0, v17, vcc_lo
	s_waitcnt vmcnt(0)
	ds_store_b128 v108, v[125:128]
	;; [unrolled: 8-line block ×3, first 2 shown]
	global_load_b128 v[125:128], v[16:17], off
	s_waitcnt vmcnt(0)
	ds_store_b128 v110, v[125:128]
	s_waitcnt lgkmcnt(0)
	s_barrier
	buffer_gl0_inv
	ds_load_2addr_b32 v[16:17], v60 offset1:32
	ds_load_b128 v[125:128], v107
	ds_load_b128 v[129:132], v107 offset:16
	ds_load_b128 v[133:136], v107 offset:32
	;; [unrolled: 1-line block ×4, first 2 shown]
	s_waitcnt lgkmcnt(4)
	v_pk_fma_f16 v145, v16, v125, v33 op_sel_hi:[1,0,1]
	v_pk_fma_f16 v125, v16, v125, v34 op_sel:[0,1,0]
	v_pk_fma_f16 v146, v16, v126, v35 op_sel_hi:[1,0,1]
	v_pk_fma_f16 v126, v16, v126, v36 op_sel:[0,1,0]
	ds_load_b128 v[33:36], v107 offset:1040
	v_pk_fma_f16 v37, v16, v127, v37 op_sel_hi:[1,0,1]
	v_pk_fma_f16 v38, v16, v127, v38 op_sel:[0,1,0]
	v_pk_fma_f16 v40, v16, v128, v40 op_sel_hi:[1,0,1]
	v_pk_fma_f16 v41, v16, v128, v41 op_sel:[0,1,0]
	s_waitcnt lgkmcnt(1)
	v_pk_fma_f16 v39, v16, v141, v39 op_sel_hi:[1,0,1]
	v_pk_fma_f16 v42, v16, v141, v42 op_sel:[0,1,0]
	v_pk_fma_f16 v43, v16, v142, v43 op_sel_hi:[1,0,1]
	v_pk_fma_f16 v124, v16, v142, v124 op_sel:[0,1,0]
	;; [unrolled: 2-line block ×8, first 2 shown]
	s_waitcnt lgkmcnt(0)
	v_pk_fma_f16 v39, v17, v33, v39 op_sel_hi:[1,0,1]
	v_pk_fma_f16 v42, v17, v33, v42 op_sel:[0,1,0]
	v_pk_fma_f16 v43, v17, v34, v43 op_sel_hi:[1,0,1]
	v_pk_fma_f16 v124, v17, v34, v124 op_sel:[0,1,0]
	;; [unrolled: 2-line block ×4, first 2 shown]
	ds_load_2addr_b32 v[16:17], v60 offset0:64 offset1:96
	ds_load_b128 v[33:36], v107 offset:1056
	s_waitcnt lgkmcnt(1)
	v_pk_fma_f16 v120, v16, v133, v120 op_sel_hi:[1,0,1]
	v_pk_fma_f16 v125, v16, v133, v125 op_sel:[0,1,0]
	v_pk_fma_f16 v127, v16, v134, v127 op_sel_hi:[1,0,1]
	v_pk_fma_f16 v126, v16, v134, v126 op_sel:[0,1,0]
	;; [unrolled: 2-line block ×4, first 2 shown]
	s_waitcnt lgkmcnt(0)
	v_pk_fma_f16 v39, v16, v33, v39 op_sel_hi:[1,0,1]
	v_pk_fma_f16 v42, v16, v33, v42 op_sel:[0,1,0]
	v_pk_fma_f16 v43, v16, v34, v43 op_sel_hi:[1,0,1]
	v_pk_fma_f16 v124, v16, v34, v124 op_sel:[0,1,0]
	v_pk_fma_f16 v123, v16, v35, v123 op_sel_hi:[1,0,1]
	v_pk_fma_f16 v122, v16, v35, v122 op_sel:[0,1,0]
	v_pk_fma_f16 v121, v16, v36, v121 op_sel_hi:[1,0,1]
	v_pk_fma_f16 v16, v16, v36, v128 op_sel:[0,1,0]
	ds_load_b128 v[33:36], v107 offset:1072
	v_pk_fma_f16 v120, v17, v137, v120 op_sel_hi:[1,0,1]
	v_pk_fma_f16 v125, v17, v137, v125 op_sel:[0,1,0]
	v_pk_fma_f16 v127, v17, v138, v127 op_sel_hi:[1,0,1]
	v_pk_fma_f16 v126, v17, v138, v126 op_sel:[0,1,0]
	;; [unrolled: 2-line block ×4, first 2 shown]
	s_waitcnt lgkmcnt(0)
	v_pk_fma_f16 v131, v17, v33, v39 op_sel_hi:[1,0,1]
	v_pk_fma_f16 v42, v17, v33, v42 op_sel:[0,1,0]
	v_pk_fma_f16 v43, v17, v34, v43 op_sel_hi:[1,0,1]
	v_pk_fma_f16 v124, v17, v34, v124 op_sel:[0,1,0]
	;; [unrolled: 2-line block ×4, first 2 shown]
	ds_load_2addr_b32 v[16:17], v60 offset0:128 offset1:160
	ds_load_b128 v[33:36], v107 offset:64
	ds_load_b128 v[37:40], v107 offset:1088
	s_waitcnt lgkmcnt(1)
	v_pk_fma_f16 v120, v16, v33, v120 op_sel_hi:[1,0,1]
	v_pk_fma_f16 v125, v16, v33, v125 op_sel:[0,1,0]
	v_pk_fma_f16 v127, v16, v34, v127 op_sel_hi:[1,0,1]
	v_pk_fma_f16 v126, v16, v34, v126 op_sel:[0,1,0]
	;; [unrolled: 2-line block ×4, first 2 shown]
	s_waitcnt lgkmcnt(0)
	v_pk_fma_f16 v131, v16, v37, v131 op_sel_hi:[1,0,1]
	v_pk_fma_f16 v42, v16, v37, v42 op_sel:[0,1,0]
	v_pk_fma_f16 v43, v16, v38, v43 op_sel_hi:[1,0,1]
	v_pk_fma_f16 v124, v16, v38, v124 op_sel:[0,1,0]
	;; [unrolled: 2-line block ×4, first 2 shown]
	ds_load_b128 v[33:36], v107 offset:80
	ds_load_b128 v[37:40], v107 offset:1104
	s_waitcnt lgkmcnt(1)
	v_pk_fma_f16 v120, v17, v33, v120 op_sel_hi:[1,0,1]
	v_pk_fma_f16 v125, v17, v33, v125 op_sel:[0,1,0]
	v_pk_fma_f16 v127, v17, v34, v127 op_sel_hi:[1,0,1]
	v_pk_fma_f16 v126, v17, v34, v126 op_sel:[0,1,0]
	;; [unrolled: 2-line block ×4, first 2 shown]
	s_waitcnt lgkmcnt(0)
	v_pk_fma_f16 v131, v17, v37, v131 op_sel_hi:[1,0,1]
	v_pk_fma_f16 v42, v17, v37, v42 op_sel:[0,1,0]
	v_pk_fma_f16 v43, v17, v38, v43 op_sel_hi:[1,0,1]
	v_pk_fma_f16 v124, v17, v38, v124 op_sel:[0,1,0]
	;; [unrolled: 2-line block ×4, first 2 shown]
	ds_load_2addr_b32 v[16:17], v60 offset0:192 offset1:224
	ds_load_b128 v[33:36], v107 offset:96
	ds_load_b128 v[37:40], v107 offset:1120
	s_waitcnt lgkmcnt(1)
	v_pk_fma_f16 v120, v16, v33, v120 op_sel_hi:[1,0,1]
	v_pk_fma_f16 v125, v16, v33, v125 op_sel:[0,1,0]
	v_pk_fma_f16 v127, v16, v34, v127 op_sel_hi:[1,0,1]
	v_pk_fma_f16 v126, v16, v34, v126 op_sel:[0,1,0]
	;; [unrolled: 2-line block ×4, first 2 shown]
	s_waitcnt lgkmcnt(0)
	v_pk_fma_f16 v131, v16, v37, v131 op_sel_hi:[1,0,1]
	v_pk_fma_f16 v42, v16, v37, v42 op_sel:[0,1,0]
	v_pk_fma_f16 v43, v16, v38, v43 op_sel_hi:[1,0,1]
	v_pk_fma_f16 v124, v16, v38, v124 op_sel:[0,1,0]
	;; [unrolled: 2-line block ×4, first 2 shown]
	ds_load_b128 v[33:36], v107 offset:112
	ds_load_b128 v[37:40], v107 offset:1136
	s_waitcnt lgkmcnt(1)
	v_pk_fma_f16 v120, v17, v33, v120 op_sel_hi:[1,0,1]
	v_pk_fma_f16 v125, v17, v33, v125 op_sel:[0,1,0]
	v_pk_fma_f16 v127, v17, v34, v127 op_sel_hi:[1,0,1]
	v_pk_fma_f16 v126, v17, v34, v126 op_sel:[0,1,0]
	;; [unrolled: 2-line block ×4, first 2 shown]
	s_waitcnt lgkmcnt(0)
	v_pk_fma_f16 v131, v17, v37, v131 op_sel_hi:[1,0,1]
	v_pk_fma_f16 v42, v17, v37, v42 op_sel:[0,1,0]
	v_pk_fma_f16 v43, v17, v38, v43 op_sel_hi:[1,0,1]
	v_pk_fma_f16 v124, v17, v38, v124 op_sel:[0,1,0]
	;; [unrolled: 2-line block ×4, first 2 shown]
	ds_load_2addr_b32 v[16:17], v113 offset1:32
	ds_load_b128 v[33:36], v107 offset:128
	ds_load_b128 v[37:40], v107 offset:1152
	s_waitcnt lgkmcnt(1)
	v_pk_fma_f16 v120, v16, v33, v120 op_sel_hi:[1,0,1]
	v_pk_fma_f16 v125, v16, v33, v125 op_sel:[0,1,0]
	v_pk_fma_f16 v127, v16, v34, v127 op_sel_hi:[1,0,1]
	v_pk_fma_f16 v126, v16, v34, v126 op_sel:[0,1,0]
	v_pk_fma_f16 v128, v16, v35, v128 op_sel_hi:[1,0,1]
	v_pk_fma_f16 v129, v16, v35, v129 op_sel:[0,1,0]
	v_pk_fma_f16 v130, v16, v36, v130 op_sel_hi:[1,0,1]
	v_pk_fma_f16 v41, v16, v36, v41 op_sel:[0,1,0]
	s_waitcnt lgkmcnt(0)
	v_pk_fma_f16 v131, v16, v37, v131 op_sel_hi:[1,0,1]
	v_pk_fma_f16 v42, v16, v37, v42 op_sel:[0,1,0]
	v_pk_fma_f16 v43, v16, v38, v43 op_sel_hi:[1,0,1]
	v_pk_fma_f16 v124, v16, v38, v124 op_sel:[0,1,0]
	v_pk_fma_f16 v123, v16, v39, v123 op_sel_hi:[1,0,1]
	v_pk_fma_f16 v122, v16, v39, v122 op_sel:[0,1,0]
	v_pk_fma_f16 v121, v16, v40, v121 op_sel_hi:[1,0,1]
	v_pk_fma_f16 v16, v16, v40, v132 op_sel:[0,1,0]
	ds_load_b128 v[33:36], v107 offset:144
	ds_load_b128 v[37:40], v107 offset:1168
	s_waitcnt lgkmcnt(1)
	v_pk_fma_f16 v120, v17, v33, v120 op_sel_hi:[1,0,1]
	v_pk_fma_f16 v125, v17, v33, v125 op_sel:[0,1,0]
	v_pk_fma_f16 v127, v17, v34, v127 op_sel_hi:[1,0,1]
	v_pk_fma_f16 v126, v17, v34, v126 op_sel:[0,1,0]
	v_pk_fma_f16 v128, v17, v35, v128 op_sel_hi:[1,0,1]
	v_pk_fma_f16 v129, v17, v35, v129 op_sel:[0,1,0]
	v_pk_fma_f16 v130, v17, v36, v130 op_sel_hi:[1,0,1]
	v_pk_fma_f16 v41, v17, v36, v41 op_sel:[0,1,0]
	s_waitcnt lgkmcnt(0)
	v_pk_fma_f16 v131, v17, v37, v131 op_sel_hi:[1,0,1]
	v_pk_fma_f16 v42, v17, v37, v42 op_sel:[0,1,0]
	v_pk_fma_f16 v43, v17, v38, v43 op_sel_hi:[1,0,1]
	v_pk_fma_f16 v124, v17, v38, v124 op_sel:[0,1,0]
	v_pk_fma_f16 v123, v17, v39, v123 op_sel_hi:[1,0,1]
	v_pk_fma_f16 v122, v17, v39, v122 op_sel:[0,1,0]
	v_pk_fma_f16 v121, v17, v40, v121 op_sel_hi:[1,0,1]
	v_pk_fma_f16 v132, v17, v40, v16 op_sel:[0,1,0]
	ds_load_2addr_b32 v[16:17], v113 offset0:64 offset1:96
	ds_load_b128 v[33:36], v107 offset:160
	ds_load_b128 v[37:40], v107 offset:1184
	s_waitcnt lgkmcnt(1)
	v_pk_fma_f16 v120, v16, v33, v120 op_sel_hi:[1,0,1]
	v_pk_fma_f16 v125, v16, v33, v125 op_sel:[0,1,0]
	v_pk_fma_f16 v127, v16, v34, v127 op_sel_hi:[1,0,1]
	v_pk_fma_f16 v126, v16, v34, v126 op_sel:[0,1,0]
	v_pk_fma_f16 v128, v16, v35, v128 op_sel_hi:[1,0,1]
	v_pk_fma_f16 v129, v16, v35, v129 op_sel:[0,1,0]
	v_pk_fma_f16 v130, v16, v36, v130 op_sel_hi:[1,0,1]
	v_pk_fma_f16 v41, v16, v36, v41 op_sel:[0,1,0]
	s_waitcnt lgkmcnt(0)
	v_pk_fma_f16 v131, v16, v37, v131 op_sel_hi:[1,0,1]
	v_pk_fma_f16 v42, v16, v37, v42 op_sel:[0,1,0]
	v_pk_fma_f16 v43, v16, v38, v43 op_sel_hi:[1,0,1]
	v_pk_fma_f16 v124, v16, v38, v124 op_sel:[0,1,0]
	v_pk_fma_f16 v123, v16, v39, v123 op_sel_hi:[1,0,1]
	v_pk_fma_f16 v122, v16, v39, v122 op_sel:[0,1,0]
	v_pk_fma_f16 v121, v16, v40, v121 op_sel_hi:[1,0,1]
	v_pk_fma_f16 v16, v16, v40, v132 op_sel:[0,1,0]
	ds_load_b128 v[33:36], v107 offset:176
	ds_load_b128 v[37:40], v107 offset:1200
	s_waitcnt lgkmcnt(1)
	v_pk_fma_f16 v120, v17, v33, v120 op_sel_hi:[1,0,1]
	v_pk_fma_f16 v125, v17, v33, v125 op_sel:[0,1,0]
	v_pk_fma_f16 v127, v17, v34, v127 op_sel_hi:[1,0,1]
	v_pk_fma_f16 v126, v17, v34, v126 op_sel:[0,1,0]
	v_pk_fma_f16 v128, v17, v35, v128 op_sel_hi:[1,0,1]
	v_pk_fma_f16 v129, v17, v35, v129 op_sel:[0,1,0]
	v_pk_fma_f16 v130, v17, v36, v130 op_sel_hi:[1,0,1]
	v_pk_fma_f16 v41, v17, v36, v41 op_sel:[0,1,0]
	s_waitcnt lgkmcnt(0)
	v_pk_fma_f16 v131, v17, v37, v131 op_sel_hi:[1,0,1]
	v_pk_fma_f16 v42, v17, v37, v42 op_sel:[0,1,0]
	v_pk_fma_f16 v43, v17, v38, v43 op_sel_hi:[1,0,1]
	v_pk_fma_f16 v124, v17, v38, v124 op_sel:[0,1,0]
	v_pk_fma_f16 v123, v17, v39, v123 op_sel_hi:[1,0,1]
	v_pk_fma_f16 v122, v17, v39, v122 op_sel:[0,1,0]
	v_pk_fma_f16 v121, v17, v40, v121 op_sel_hi:[1,0,1]
	v_pk_fma_f16 v132, v17, v40, v16 op_sel:[0,1,0]
	ds_load_2addr_b32 v[16:17], v113 offset0:128 offset1:160
	;; [unrolled: 41-line block ×3, first 2 shown]
	ds_load_b128 v[33:36], v107 offset:224
	ds_load_b128 v[37:40], v107 offset:1248
	s_waitcnt lgkmcnt(1)
	v_pk_fma_f16 v120, v16, v33, v120 op_sel_hi:[1,0,1]
	v_pk_fma_f16 v125, v16, v33, v125 op_sel:[0,1,0]
	v_pk_fma_f16 v127, v16, v34, v127 op_sel_hi:[1,0,1]
	v_pk_fma_f16 v126, v16, v34, v126 op_sel:[0,1,0]
	;; [unrolled: 2-line block ×4, first 2 shown]
	s_waitcnt lgkmcnt(0)
	v_pk_fma_f16 v131, v16, v37, v131 op_sel_hi:[1,0,1]
	v_pk_fma_f16 v42, v16, v37, v42 op_sel:[0,1,0]
	v_pk_fma_f16 v43, v16, v38, v43 op_sel_hi:[1,0,1]
	v_pk_fma_f16 v124, v16, v38, v124 op_sel:[0,1,0]
	;; [unrolled: 2-line block ×4, first 2 shown]
	ds_load_b128 v[33:36], v107 offset:240
	ds_load_b128 v[37:40], v107 offset:1264
	s_waitcnt lgkmcnt(1)
	v_pk_fma_f16 v120, v17, v33, v120 op_sel_hi:[1,0,1]
	v_pk_fma_f16 v125, v17, v33, v125 op_sel:[0,1,0]
	v_pk_fma_f16 v127, v17, v34, v127 op_sel_hi:[1,0,1]
	v_pk_fma_f16 v126, v17, v34, v126 op_sel:[0,1,0]
	;; [unrolled: 2-line block ×4, first 2 shown]
	s_waitcnt lgkmcnt(0)
	v_pk_fma_f16 v131, v17, v37, v131 op_sel_hi:[1,0,1]
	v_pk_fma_f16 v42, v17, v37, v42 op_sel:[0,1,0]
	v_pk_fma_f16 v43, v17, v38, v43 op_sel_hi:[1,0,1]
	v_pk_fma_f16 v124, v17, v38, v124 op_sel:[0,1,0]
	v_pk_fma_f16 v123, v17, v39, v123 op_sel_hi:[1,0,1]
	v_pk_fma_f16 v122, v17, v39, v122 op_sel:[0,1,0]
	v_pk_fma_f16 v121, v17, v40, v121 op_sel_hi:[1,0,1]
	v_pk_fma_f16 v132, v17, v40, v16 op_sel:[0,1,0]
	ds_load_2addr_b32 v[16:17], v114 offset1:32
	ds_load_b128 v[33:36], v107 offset:256
	ds_load_b128 v[37:40], v107 offset:1280
	s_waitcnt lgkmcnt(1)
	v_pk_fma_f16 v120, v16, v33, v120 op_sel_hi:[1,0,1]
	v_pk_fma_f16 v125, v16, v33, v125 op_sel:[0,1,0]
	v_pk_fma_f16 v127, v16, v34, v127 op_sel_hi:[1,0,1]
	v_pk_fma_f16 v126, v16, v34, v126 op_sel:[0,1,0]
	v_pk_fma_f16 v128, v16, v35, v128 op_sel_hi:[1,0,1]
	v_pk_fma_f16 v129, v16, v35, v129 op_sel:[0,1,0]
	v_pk_fma_f16 v130, v16, v36, v130 op_sel_hi:[1,0,1]
	v_pk_fma_f16 v41, v16, v36, v41 op_sel:[0,1,0]
	s_waitcnt lgkmcnt(0)
	v_pk_fma_f16 v131, v16, v37, v131 op_sel_hi:[1,0,1]
	v_pk_fma_f16 v42, v16, v37, v42 op_sel:[0,1,0]
	v_pk_fma_f16 v43, v16, v38, v43 op_sel_hi:[1,0,1]
	v_pk_fma_f16 v124, v16, v38, v124 op_sel:[0,1,0]
	v_pk_fma_f16 v123, v16, v39, v123 op_sel_hi:[1,0,1]
	v_pk_fma_f16 v122, v16, v39, v122 op_sel:[0,1,0]
	v_pk_fma_f16 v121, v16, v40, v121 op_sel_hi:[1,0,1]
	v_pk_fma_f16 v16, v16, v40, v132 op_sel:[0,1,0]
	ds_load_b128 v[33:36], v107 offset:272
	ds_load_b128 v[37:40], v107 offset:1296
	s_waitcnt lgkmcnt(1)
	v_pk_fma_f16 v120, v17, v33, v120 op_sel_hi:[1,0,1]
	v_pk_fma_f16 v125, v17, v33, v125 op_sel:[0,1,0]
	v_pk_fma_f16 v127, v17, v34, v127 op_sel_hi:[1,0,1]
	v_pk_fma_f16 v126, v17, v34, v126 op_sel:[0,1,0]
	v_pk_fma_f16 v128, v17, v35, v128 op_sel_hi:[1,0,1]
	v_pk_fma_f16 v129, v17, v35, v129 op_sel:[0,1,0]
	v_pk_fma_f16 v130, v17, v36, v130 op_sel_hi:[1,0,1]
	v_pk_fma_f16 v41, v17, v36, v41 op_sel:[0,1,0]
	s_waitcnt lgkmcnt(0)
	v_pk_fma_f16 v131, v17, v37, v131 op_sel_hi:[1,0,1]
	v_pk_fma_f16 v42, v17, v37, v42 op_sel:[0,1,0]
	v_pk_fma_f16 v43, v17, v38, v43 op_sel_hi:[1,0,1]
	v_pk_fma_f16 v124, v17, v38, v124 op_sel:[0,1,0]
	v_pk_fma_f16 v123, v17, v39, v123 op_sel_hi:[1,0,1]
	v_pk_fma_f16 v122, v17, v39, v122 op_sel:[0,1,0]
	v_pk_fma_f16 v121, v17, v40, v121 op_sel_hi:[1,0,1]
	v_pk_fma_f16 v132, v17, v40, v16 op_sel:[0,1,0]
	ds_load_2addr_b32 v[16:17], v114 offset0:64 offset1:96
	ds_load_b128 v[33:36], v107 offset:288
	ds_load_b128 v[37:40], v107 offset:1312
	s_waitcnt lgkmcnt(1)
	v_pk_fma_f16 v120, v16, v33, v120 op_sel_hi:[1,0,1]
	v_pk_fma_f16 v125, v16, v33, v125 op_sel:[0,1,0]
	v_pk_fma_f16 v127, v16, v34, v127 op_sel_hi:[1,0,1]
	v_pk_fma_f16 v126, v16, v34, v126 op_sel:[0,1,0]
	v_pk_fma_f16 v128, v16, v35, v128 op_sel_hi:[1,0,1]
	v_pk_fma_f16 v129, v16, v35, v129 op_sel:[0,1,0]
	v_pk_fma_f16 v130, v16, v36, v130 op_sel_hi:[1,0,1]
	v_pk_fma_f16 v41, v16, v36, v41 op_sel:[0,1,0]
	s_waitcnt lgkmcnt(0)
	v_pk_fma_f16 v131, v16, v37, v131 op_sel_hi:[1,0,1]
	v_pk_fma_f16 v42, v16, v37, v42 op_sel:[0,1,0]
	v_pk_fma_f16 v43, v16, v38, v43 op_sel_hi:[1,0,1]
	v_pk_fma_f16 v124, v16, v38, v124 op_sel:[0,1,0]
	v_pk_fma_f16 v123, v16, v39, v123 op_sel_hi:[1,0,1]
	v_pk_fma_f16 v122, v16, v39, v122 op_sel:[0,1,0]
	v_pk_fma_f16 v121, v16, v40, v121 op_sel_hi:[1,0,1]
	v_pk_fma_f16 v16, v16, v40, v132 op_sel:[0,1,0]
	ds_load_b128 v[33:36], v107 offset:304
	ds_load_b128 v[37:40], v107 offset:1328
	s_waitcnt lgkmcnt(1)
	v_pk_fma_f16 v120, v17, v33, v120 op_sel_hi:[1,0,1]
	v_pk_fma_f16 v125, v17, v33, v125 op_sel:[0,1,0]
	v_pk_fma_f16 v127, v17, v34, v127 op_sel_hi:[1,0,1]
	v_pk_fma_f16 v126, v17, v34, v126 op_sel:[0,1,0]
	v_pk_fma_f16 v128, v17, v35, v128 op_sel_hi:[1,0,1]
	v_pk_fma_f16 v129, v17, v35, v129 op_sel:[0,1,0]
	v_pk_fma_f16 v130, v17, v36, v130 op_sel_hi:[1,0,1]
	v_pk_fma_f16 v41, v17, v36, v41 op_sel:[0,1,0]
	s_waitcnt lgkmcnt(0)
	v_pk_fma_f16 v131, v17, v37, v131 op_sel_hi:[1,0,1]
	v_pk_fma_f16 v42, v17, v37, v42 op_sel:[0,1,0]
	v_pk_fma_f16 v43, v17, v38, v43 op_sel_hi:[1,0,1]
	v_pk_fma_f16 v124, v17, v38, v124 op_sel:[0,1,0]
	v_pk_fma_f16 v123, v17, v39, v123 op_sel_hi:[1,0,1]
	v_pk_fma_f16 v122, v17, v39, v122 op_sel:[0,1,0]
	v_pk_fma_f16 v121, v17, v40, v121 op_sel_hi:[1,0,1]
	v_pk_fma_f16 v132, v17, v40, v16 op_sel:[0,1,0]
	ds_load_2addr_b32 v[16:17], v114 offset0:128 offset1:160
	;; [unrolled: 41-line block ×3, first 2 shown]
	ds_load_b128 v[33:36], v107 offset:352
	ds_load_b128 v[37:40], v107 offset:1376
	s_waitcnt lgkmcnt(1)
	v_pk_fma_f16 v120, v16, v33, v120 op_sel_hi:[1,0,1]
	v_pk_fma_f16 v125, v16, v33, v125 op_sel:[0,1,0]
	v_pk_fma_f16 v127, v16, v34, v127 op_sel_hi:[1,0,1]
	v_pk_fma_f16 v126, v16, v34, v126 op_sel:[0,1,0]
	;; [unrolled: 2-line block ×4, first 2 shown]
	s_waitcnt lgkmcnt(0)
	v_pk_fma_f16 v131, v16, v37, v131 op_sel_hi:[1,0,1]
	v_pk_fma_f16 v42, v16, v37, v42 op_sel:[0,1,0]
	v_pk_fma_f16 v43, v16, v38, v43 op_sel_hi:[1,0,1]
	v_pk_fma_f16 v124, v16, v38, v124 op_sel:[0,1,0]
	v_pk_fma_f16 v123, v16, v39, v123 op_sel_hi:[1,0,1]
	v_pk_fma_f16 v122, v16, v39, v122 op_sel:[0,1,0]
	v_pk_fma_f16 v121, v16, v40, v121 op_sel_hi:[1,0,1]
	v_pk_fma_f16 v16, v16, v40, v132 op_sel:[0,1,0]
	ds_load_b128 v[33:36], v107 offset:368
	ds_load_b128 v[37:40], v107 offset:1392
	s_waitcnt lgkmcnt(1)
	v_pk_fma_f16 v120, v17, v33, v120 op_sel_hi:[1,0,1]
	v_pk_fma_f16 v125, v17, v33, v125 op_sel:[0,1,0]
	v_pk_fma_f16 v127, v17, v34, v127 op_sel_hi:[1,0,1]
	v_pk_fma_f16 v126, v17, v34, v126 op_sel:[0,1,0]
	;; [unrolled: 2-line block ×4, first 2 shown]
	s_waitcnt lgkmcnt(0)
	v_pk_fma_f16 v131, v17, v37, v131 op_sel_hi:[1,0,1]
	v_pk_fma_f16 v42, v17, v37, v42 op_sel:[0,1,0]
	v_pk_fma_f16 v43, v17, v38, v43 op_sel_hi:[1,0,1]
	v_pk_fma_f16 v124, v17, v38, v124 op_sel:[0,1,0]
	;; [unrolled: 2-line block ×4, first 2 shown]
	ds_load_2addr_b32 v[16:17], v115 offset1:32
	ds_load_b128 v[33:36], v107 offset:384
	ds_load_b128 v[37:40], v107 offset:1408
	s_waitcnt lgkmcnt(1)
	v_pk_fma_f16 v120, v16, v33, v120 op_sel_hi:[1,0,1]
	v_pk_fma_f16 v125, v16, v33, v125 op_sel:[0,1,0]
	v_pk_fma_f16 v127, v16, v34, v127 op_sel_hi:[1,0,1]
	v_pk_fma_f16 v126, v16, v34, v126 op_sel:[0,1,0]
	v_pk_fma_f16 v128, v16, v35, v128 op_sel_hi:[1,0,1]
	v_pk_fma_f16 v129, v16, v35, v129 op_sel:[0,1,0]
	v_pk_fma_f16 v130, v16, v36, v130 op_sel_hi:[1,0,1]
	v_pk_fma_f16 v41, v16, v36, v41 op_sel:[0,1,0]
	s_waitcnt lgkmcnt(0)
	v_pk_fma_f16 v131, v16, v37, v131 op_sel_hi:[1,0,1]
	v_pk_fma_f16 v42, v16, v37, v42 op_sel:[0,1,0]
	v_pk_fma_f16 v43, v16, v38, v43 op_sel_hi:[1,0,1]
	v_pk_fma_f16 v124, v16, v38, v124 op_sel:[0,1,0]
	v_pk_fma_f16 v123, v16, v39, v123 op_sel_hi:[1,0,1]
	v_pk_fma_f16 v122, v16, v39, v122 op_sel:[0,1,0]
	v_pk_fma_f16 v121, v16, v40, v121 op_sel_hi:[1,0,1]
	v_pk_fma_f16 v16, v16, v40, v132 op_sel:[0,1,0]
	ds_load_b128 v[33:36], v107 offset:400
	ds_load_b128 v[37:40], v107 offset:1424
	s_waitcnt lgkmcnt(1)
	v_pk_fma_f16 v120, v17, v33, v120 op_sel_hi:[1,0,1]
	v_pk_fma_f16 v125, v17, v33, v125 op_sel:[0,1,0]
	v_pk_fma_f16 v127, v17, v34, v127 op_sel_hi:[1,0,1]
	v_pk_fma_f16 v126, v17, v34, v126 op_sel:[0,1,0]
	v_pk_fma_f16 v128, v17, v35, v128 op_sel_hi:[1,0,1]
	v_pk_fma_f16 v129, v17, v35, v129 op_sel:[0,1,0]
	v_pk_fma_f16 v130, v17, v36, v130 op_sel_hi:[1,0,1]
	v_pk_fma_f16 v41, v17, v36, v41 op_sel:[0,1,0]
	s_waitcnt lgkmcnt(0)
	v_pk_fma_f16 v131, v17, v37, v131 op_sel_hi:[1,0,1]
	v_pk_fma_f16 v42, v17, v37, v42 op_sel:[0,1,0]
	v_pk_fma_f16 v43, v17, v38, v43 op_sel_hi:[1,0,1]
	v_pk_fma_f16 v124, v17, v38, v124 op_sel:[0,1,0]
	v_pk_fma_f16 v123, v17, v39, v123 op_sel_hi:[1,0,1]
	v_pk_fma_f16 v122, v17, v39, v122 op_sel:[0,1,0]
	v_pk_fma_f16 v121, v17, v40, v121 op_sel_hi:[1,0,1]
	v_pk_fma_f16 v132, v17, v40, v16 op_sel:[0,1,0]
	ds_load_2addr_b32 v[16:17], v115 offset0:64 offset1:96
	ds_load_b128 v[33:36], v107 offset:416
	ds_load_b128 v[37:40], v107 offset:1440
	s_waitcnt lgkmcnt(1)
	v_pk_fma_f16 v120, v16, v33, v120 op_sel_hi:[1,0,1]
	v_pk_fma_f16 v125, v16, v33, v125 op_sel:[0,1,0]
	v_pk_fma_f16 v127, v16, v34, v127 op_sel_hi:[1,0,1]
	v_pk_fma_f16 v126, v16, v34, v126 op_sel:[0,1,0]
	v_pk_fma_f16 v128, v16, v35, v128 op_sel_hi:[1,0,1]
	v_pk_fma_f16 v129, v16, v35, v129 op_sel:[0,1,0]
	v_pk_fma_f16 v130, v16, v36, v130 op_sel_hi:[1,0,1]
	v_pk_fma_f16 v41, v16, v36, v41 op_sel:[0,1,0]
	s_waitcnt lgkmcnt(0)
	v_pk_fma_f16 v131, v16, v37, v131 op_sel_hi:[1,0,1]
	v_pk_fma_f16 v42, v16, v37, v42 op_sel:[0,1,0]
	v_pk_fma_f16 v43, v16, v38, v43 op_sel_hi:[1,0,1]
	v_pk_fma_f16 v124, v16, v38, v124 op_sel:[0,1,0]
	v_pk_fma_f16 v123, v16, v39, v123 op_sel_hi:[1,0,1]
	v_pk_fma_f16 v122, v16, v39, v122 op_sel:[0,1,0]
	v_pk_fma_f16 v121, v16, v40, v121 op_sel_hi:[1,0,1]
	v_pk_fma_f16 v16, v16, v40, v132 op_sel:[0,1,0]
	ds_load_b128 v[33:36], v107 offset:432
	ds_load_b128 v[37:40], v107 offset:1456
	s_waitcnt lgkmcnt(1)
	v_pk_fma_f16 v120, v17, v33, v120 op_sel_hi:[1,0,1]
	v_pk_fma_f16 v125, v17, v33, v125 op_sel:[0,1,0]
	v_pk_fma_f16 v127, v17, v34, v127 op_sel_hi:[1,0,1]
	v_pk_fma_f16 v126, v17, v34, v126 op_sel:[0,1,0]
	v_pk_fma_f16 v128, v17, v35, v128 op_sel_hi:[1,0,1]
	v_pk_fma_f16 v129, v17, v35, v129 op_sel:[0,1,0]
	v_pk_fma_f16 v130, v17, v36, v130 op_sel_hi:[1,0,1]
	v_pk_fma_f16 v41, v17, v36, v41 op_sel:[0,1,0]
	s_waitcnt lgkmcnt(0)
	v_pk_fma_f16 v131, v17, v37, v131 op_sel_hi:[1,0,1]
	v_pk_fma_f16 v42, v17, v37, v42 op_sel:[0,1,0]
	v_pk_fma_f16 v43, v17, v38, v43 op_sel_hi:[1,0,1]
	v_pk_fma_f16 v124, v17, v38, v124 op_sel:[0,1,0]
	v_pk_fma_f16 v123, v17, v39, v123 op_sel_hi:[1,0,1]
	v_pk_fma_f16 v122, v17, v39, v122 op_sel:[0,1,0]
	v_pk_fma_f16 v121, v17, v40, v121 op_sel_hi:[1,0,1]
	v_pk_fma_f16 v132, v17, v40, v16 op_sel:[0,1,0]
	ds_load_2addr_b32 v[16:17], v115 offset0:128 offset1:160
	;; [unrolled: 41-line block ×3, first 2 shown]
	ds_load_b128 v[33:36], v107 offset:480
	ds_load_b128 v[37:40], v107 offset:1504
	s_waitcnt lgkmcnt(1)
	v_pk_fma_f16 v120, v16, v33, v120 op_sel_hi:[1,0,1]
	v_pk_fma_f16 v125, v16, v33, v125 op_sel:[0,1,0]
	v_pk_fma_f16 v127, v16, v34, v127 op_sel_hi:[1,0,1]
	v_pk_fma_f16 v126, v16, v34, v126 op_sel:[0,1,0]
	;; [unrolled: 2-line block ×4, first 2 shown]
	s_waitcnt lgkmcnt(0)
	v_pk_fma_f16 v131, v16, v37, v131 op_sel_hi:[1,0,1]
	v_pk_fma_f16 v42, v16, v37, v42 op_sel:[0,1,0]
	v_pk_fma_f16 v43, v16, v38, v43 op_sel_hi:[1,0,1]
	v_pk_fma_f16 v124, v16, v38, v124 op_sel:[0,1,0]
	;; [unrolled: 2-line block ×4, first 2 shown]
	ds_load_b128 v[33:36], v107 offset:496
	ds_load_b128 v[37:40], v107 offset:1520
	s_waitcnt lgkmcnt(1)
	v_pk_fma_f16 v120, v17, v33, v120 op_sel_hi:[1,0,1]
	v_pk_fma_f16 v125, v17, v33, v125 op_sel:[0,1,0]
	v_pk_fma_f16 v127, v17, v34, v127 op_sel_hi:[1,0,1]
	v_pk_fma_f16 v126, v17, v34, v126 op_sel:[0,1,0]
	;; [unrolled: 2-line block ×4, first 2 shown]
	s_waitcnt lgkmcnt(0)
	v_pk_fma_f16 v131, v17, v37, v131 op_sel_hi:[1,0,1]
	v_pk_fma_f16 v42, v17, v37, v42 op_sel:[0,1,0]
	v_pk_fma_f16 v43, v17, v38, v43 op_sel_hi:[1,0,1]
	v_pk_fma_f16 v124, v17, v38, v124 op_sel:[0,1,0]
	;; [unrolled: 2-line block ×4, first 2 shown]
	ds_load_2addr_b32 v[16:17], v116 offset1:32
	ds_load_b128 v[33:36], v107 offset:512
	ds_load_b128 v[37:40], v107 offset:1536
	s_waitcnt lgkmcnt(1)
	v_pk_fma_f16 v120, v16, v33, v120 op_sel_hi:[1,0,1]
	v_pk_fma_f16 v125, v16, v33, v125 op_sel:[0,1,0]
	v_pk_fma_f16 v127, v16, v34, v127 op_sel_hi:[1,0,1]
	v_pk_fma_f16 v126, v16, v34, v126 op_sel:[0,1,0]
	v_pk_fma_f16 v128, v16, v35, v128 op_sel_hi:[1,0,1]
	v_pk_fma_f16 v129, v16, v35, v129 op_sel:[0,1,0]
	v_pk_fma_f16 v130, v16, v36, v130 op_sel_hi:[1,0,1]
	v_pk_fma_f16 v41, v16, v36, v41 op_sel:[0,1,0]
	s_waitcnt lgkmcnt(0)
	v_pk_fma_f16 v131, v16, v37, v131 op_sel_hi:[1,0,1]
	v_pk_fma_f16 v42, v16, v37, v42 op_sel:[0,1,0]
	v_pk_fma_f16 v43, v16, v38, v43 op_sel_hi:[1,0,1]
	v_pk_fma_f16 v124, v16, v38, v124 op_sel:[0,1,0]
	v_pk_fma_f16 v123, v16, v39, v123 op_sel_hi:[1,0,1]
	v_pk_fma_f16 v122, v16, v39, v122 op_sel:[0,1,0]
	v_pk_fma_f16 v121, v16, v40, v121 op_sel_hi:[1,0,1]
	v_pk_fma_f16 v16, v16, v40, v132 op_sel:[0,1,0]
	ds_load_b128 v[33:36], v107 offset:528
	ds_load_b128 v[37:40], v107 offset:1552
	s_waitcnt lgkmcnt(1)
	v_pk_fma_f16 v120, v17, v33, v120 op_sel_hi:[1,0,1]
	v_pk_fma_f16 v125, v17, v33, v125 op_sel:[0,1,0]
	v_pk_fma_f16 v127, v17, v34, v127 op_sel_hi:[1,0,1]
	v_pk_fma_f16 v126, v17, v34, v126 op_sel:[0,1,0]
	v_pk_fma_f16 v128, v17, v35, v128 op_sel_hi:[1,0,1]
	v_pk_fma_f16 v129, v17, v35, v129 op_sel:[0,1,0]
	v_pk_fma_f16 v130, v17, v36, v130 op_sel_hi:[1,0,1]
	v_pk_fma_f16 v41, v17, v36, v41 op_sel:[0,1,0]
	s_waitcnt lgkmcnt(0)
	v_pk_fma_f16 v131, v17, v37, v131 op_sel_hi:[1,0,1]
	v_pk_fma_f16 v42, v17, v37, v42 op_sel:[0,1,0]
	v_pk_fma_f16 v43, v17, v38, v43 op_sel_hi:[1,0,1]
	v_pk_fma_f16 v124, v17, v38, v124 op_sel:[0,1,0]
	v_pk_fma_f16 v123, v17, v39, v123 op_sel_hi:[1,0,1]
	v_pk_fma_f16 v122, v17, v39, v122 op_sel:[0,1,0]
	v_pk_fma_f16 v121, v17, v40, v121 op_sel_hi:[1,0,1]
	v_pk_fma_f16 v132, v17, v40, v16 op_sel:[0,1,0]
	ds_load_2addr_b32 v[16:17], v116 offset0:64 offset1:96
	ds_load_b128 v[33:36], v107 offset:544
	ds_load_b128 v[37:40], v107 offset:1568
	s_waitcnt lgkmcnt(1)
	v_pk_fma_f16 v120, v16, v33, v120 op_sel_hi:[1,0,1]
	v_pk_fma_f16 v125, v16, v33, v125 op_sel:[0,1,0]
	v_pk_fma_f16 v127, v16, v34, v127 op_sel_hi:[1,0,1]
	v_pk_fma_f16 v126, v16, v34, v126 op_sel:[0,1,0]
	v_pk_fma_f16 v128, v16, v35, v128 op_sel_hi:[1,0,1]
	v_pk_fma_f16 v129, v16, v35, v129 op_sel:[0,1,0]
	v_pk_fma_f16 v130, v16, v36, v130 op_sel_hi:[1,0,1]
	v_pk_fma_f16 v41, v16, v36, v41 op_sel:[0,1,0]
	s_waitcnt lgkmcnt(0)
	v_pk_fma_f16 v131, v16, v37, v131 op_sel_hi:[1,0,1]
	v_pk_fma_f16 v42, v16, v37, v42 op_sel:[0,1,0]
	v_pk_fma_f16 v43, v16, v38, v43 op_sel_hi:[1,0,1]
	v_pk_fma_f16 v124, v16, v38, v124 op_sel:[0,1,0]
	v_pk_fma_f16 v123, v16, v39, v123 op_sel_hi:[1,0,1]
	v_pk_fma_f16 v122, v16, v39, v122 op_sel:[0,1,0]
	v_pk_fma_f16 v121, v16, v40, v121 op_sel_hi:[1,0,1]
	v_pk_fma_f16 v16, v16, v40, v132 op_sel:[0,1,0]
	ds_load_b128 v[33:36], v107 offset:560
	ds_load_b128 v[37:40], v107 offset:1584
	s_waitcnt lgkmcnt(1)
	v_pk_fma_f16 v120, v17, v33, v120 op_sel_hi:[1,0,1]
	v_pk_fma_f16 v125, v17, v33, v125 op_sel:[0,1,0]
	v_pk_fma_f16 v127, v17, v34, v127 op_sel_hi:[1,0,1]
	v_pk_fma_f16 v126, v17, v34, v126 op_sel:[0,1,0]
	v_pk_fma_f16 v128, v17, v35, v128 op_sel_hi:[1,0,1]
	v_pk_fma_f16 v129, v17, v35, v129 op_sel:[0,1,0]
	v_pk_fma_f16 v130, v17, v36, v130 op_sel_hi:[1,0,1]
	v_pk_fma_f16 v41, v17, v36, v41 op_sel:[0,1,0]
	s_waitcnt lgkmcnt(0)
	v_pk_fma_f16 v131, v17, v37, v131 op_sel_hi:[1,0,1]
	v_pk_fma_f16 v42, v17, v37, v42 op_sel:[0,1,0]
	v_pk_fma_f16 v43, v17, v38, v43 op_sel_hi:[1,0,1]
	v_pk_fma_f16 v124, v17, v38, v124 op_sel:[0,1,0]
	v_pk_fma_f16 v123, v17, v39, v123 op_sel_hi:[1,0,1]
	v_pk_fma_f16 v122, v17, v39, v122 op_sel:[0,1,0]
	v_pk_fma_f16 v121, v17, v40, v121 op_sel_hi:[1,0,1]
	v_pk_fma_f16 v132, v17, v40, v16 op_sel:[0,1,0]
	ds_load_2addr_b32 v[16:17], v116 offset0:128 offset1:160
	;; [unrolled: 41-line block ×3, first 2 shown]
	ds_load_b128 v[33:36], v107 offset:608
	ds_load_b128 v[37:40], v107 offset:1632
	s_waitcnt lgkmcnt(1)
	v_pk_fma_f16 v120, v16, v33, v120 op_sel_hi:[1,0,1]
	v_pk_fma_f16 v125, v16, v33, v125 op_sel:[0,1,0]
	v_pk_fma_f16 v127, v16, v34, v127 op_sel_hi:[1,0,1]
	v_pk_fma_f16 v126, v16, v34, v126 op_sel:[0,1,0]
	;; [unrolled: 2-line block ×4, first 2 shown]
	s_waitcnt lgkmcnt(0)
	v_pk_fma_f16 v131, v16, v37, v131 op_sel_hi:[1,0,1]
	v_pk_fma_f16 v42, v16, v37, v42 op_sel:[0,1,0]
	v_pk_fma_f16 v43, v16, v38, v43 op_sel_hi:[1,0,1]
	v_pk_fma_f16 v124, v16, v38, v124 op_sel:[0,1,0]
	;; [unrolled: 2-line block ×4, first 2 shown]
	ds_load_b128 v[33:36], v107 offset:624
	ds_load_b128 v[37:40], v107 offset:1648
	s_waitcnt lgkmcnt(1)
	v_pk_fma_f16 v120, v17, v33, v120 op_sel_hi:[1,0,1]
	v_pk_fma_f16 v125, v17, v33, v125 op_sel:[0,1,0]
	v_pk_fma_f16 v127, v17, v34, v127 op_sel_hi:[1,0,1]
	v_pk_fma_f16 v126, v17, v34, v126 op_sel:[0,1,0]
	;; [unrolled: 2-line block ×4, first 2 shown]
	s_waitcnt lgkmcnt(0)
	v_pk_fma_f16 v131, v17, v37, v131 op_sel_hi:[1,0,1]
	v_pk_fma_f16 v42, v17, v37, v42 op_sel:[0,1,0]
	v_pk_fma_f16 v43, v17, v38, v43 op_sel_hi:[1,0,1]
	v_pk_fma_f16 v124, v17, v38, v124 op_sel:[0,1,0]
	;; [unrolled: 2-line block ×4, first 2 shown]
	ds_load_2addr_b32 v[16:17], v117 offset1:32
	ds_load_b128 v[33:36], v107 offset:640
	ds_load_b128 v[37:40], v107 offset:1664
	s_waitcnt lgkmcnt(1)
	v_pk_fma_f16 v120, v16, v33, v120 op_sel_hi:[1,0,1]
	v_pk_fma_f16 v125, v16, v33, v125 op_sel:[0,1,0]
	v_pk_fma_f16 v127, v16, v34, v127 op_sel_hi:[1,0,1]
	v_pk_fma_f16 v126, v16, v34, v126 op_sel:[0,1,0]
	v_pk_fma_f16 v128, v16, v35, v128 op_sel_hi:[1,0,1]
	v_pk_fma_f16 v129, v16, v35, v129 op_sel:[0,1,0]
	v_pk_fma_f16 v130, v16, v36, v130 op_sel_hi:[1,0,1]
	v_pk_fma_f16 v41, v16, v36, v41 op_sel:[0,1,0]
	s_waitcnt lgkmcnt(0)
	v_pk_fma_f16 v131, v16, v37, v131 op_sel_hi:[1,0,1]
	v_pk_fma_f16 v42, v16, v37, v42 op_sel:[0,1,0]
	v_pk_fma_f16 v43, v16, v38, v43 op_sel_hi:[1,0,1]
	v_pk_fma_f16 v124, v16, v38, v124 op_sel:[0,1,0]
	v_pk_fma_f16 v123, v16, v39, v123 op_sel_hi:[1,0,1]
	v_pk_fma_f16 v122, v16, v39, v122 op_sel:[0,1,0]
	v_pk_fma_f16 v121, v16, v40, v121 op_sel_hi:[1,0,1]
	v_pk_fma_f16 v16, v16, v40, v132 op_sel:[0,1,0]
	ds_load_b128 v[33:36], v107 offset:656
	ds_load_b128 v[37:40], v107 offset:1680
	s_waitcnt lgkmcnt(1)
	v_pk_fma_f16 v120, v17, v33, v120 op_sel_hi:[1,0,1]
	v_pk_fma_f16 v125, v17, v33, v125 op_sel:[0,1,0]
	v_pk_fma_f16 v127, v17, v34, v127 op_sel_hi:[1,0,1]
	v_pk_fma_f16 v126, v17, v34, v126 op_sel:[0,1,0]
	v_pk_fma_f16 v128, v17, v35, v128 op_sel_hi:[1,0,1]
	v_pk_fma_f16 v129, v17, v35, v129 op_sel:[0,1,0]
	v_pk_fma_f16 v130, v17, v36, v130 op_sel_hi:[1,0,1]
	v_pk_fma_f16 v41, v17, v36, v41 op_sel:[0,1,0]
	s_waitcnt lgkmcnt(0)
	v_pk_fma_f16 v131, v17, v37, v131 op_sel_hi:[1,0,1]
	v_pk_fma_f16 v42, v17, v37, v42 op_sel:[0,1,0]
	v_pk_fma_f16 v43, v17, v38, v43 op_sel_hi:[1,0,1]
	v_pk_fma_f16 v124, v17, v38, v124 op_sel:[0,1,0]
	v_pk_fma_f16 v123, v17, v39, v123 op_sel_hi:[1,0,1]
	v_pk_fma_f16 v122, v17, v39, v122 op_sel:[0,1,0]
	v_pk_fma_f16 v121, v17, v40, v121 op_sel_hi:[1,0,1]
	v_pk_fma_f16 v132, v17, v40, v16 op_sel:[0,1,0]
	ds_load_2addr_b32 v[16:17], v117 offset0:64 offset1:96
	ds_load_b128 v[33:36], v107 offset:672
	ds_load_b128 v[37:40], v107 offset:1696
	s_waitcnt lgkmcnt(1)
	v_pk_fma_f16 v120, v16, v33, v120 op_sel_hi:[1,0,1]
	v_pk_fma_f16 v125, v16, v33, v125 op_sel:[0,1,0]
	v_pk_fma_f16 v127, v16, v34, v127 op_sel_hi:[1,0,1]
	v_pk_fma_f16 v126, v16, v34, v126 op_sel:[0,1,0]
	v_pk_fma_f16 v128, v16, v35, v128 op_sel_hi:[1,0,1]
	v_pk_fma_f16 v129, v16, v35, v129 op_sel:[0,1,0]
	v_pk_fma_f16 v130, v16, v36, v130 op_sel_hi:[1,0,1]
	v_pk_fma_f16 v41, v16, v36, v41 op_sel:[0,1,0]
	s_waitcnt lgkmcnt(0)
	v_pk_fma_f16 v131, v16, v37, v131 op_sel_hi:[1,0,1]
	v_pk_fma_f16 v42, v16, v37, v42 op_sel:[0,1,0]
	v_pk_fma_f16 v43, v16, v38, v43 op_sel_hi:[1,0,1]
	v_pk_fma_f16 v124, v16, v38, v124 op_sel:[0,1,0]
	v_pk_fma_f16 v123, v16, v39, v123 op_sel_hi:[1,0,1]
	v_pk_fma_f16 v122, v16, v39, v122 op_sel:[0,1,0]
	v_pk_fma_f16 v121, v16, v40, v121 op_sel_hi:[1,0,1]
	v_pk_fma_f16 v16, v16, v40, v132 op_sel:[0,1,0]
	ds_load_b128 v[33:36], v107 offset:688
	ds_load_b128 v[37:40], v107 offset:1712
	s_waitcnt lgkmcnt(1)
	v_pk_fma_f16 v120, v17, v33, v120 op_sel_hi:[1,0,1]
	v_pk_fma_f16 v125, v17, v33, v125 op_sel:[0,1,0]
	v_pk_fma_f16 v127, v17, v34, v127 op_sel_hi:[1,0,1]
	v_pk_fma_f16 v126, v17, v34, v126 op_sel:[0,1,0]
	v_pk_fma_f16 v128, v17, v35, v128 op_sel_hi:[1,0,1]
	v_pk_fma_f16 v129, v17, v35, v129 op_sel:[0,1,0]
	v_pk_fma_f16 v130, v17, v36, v130 op_sel_hi:[1,0,1]
	v_pk_fma_f16 v41, v17, v36, v41 op_sel:[0,1,0]
	s_waitcnt lgkmcnt(0)
	v_pk_fma_f16 v131, v17, v37, v131 op_sel_hi:[1,0,1]
	v_pk_fma_f16 v42, v17, v37, v42 op_sel:[0,1,0]
	v_pk_fma_f16 v43, v17, v38, v43 op_sel_hi:[1,0,1]
	v_pk_fma_f16 v124, v17, v38, v124 op_sel:[0,1,0]
	v_pk_fma_f16 v123, v17, v39, v123 op_sel_hi:[1,0,1]
	v_pk_fma_f16 v122, v17, v39, v122 op_sel:[0,1,0]
	v_pk_fma_f16 v121, v17, v40, v121 op_sel_hi:[1,0,1]
	v_pk_fma_f16 v132, v17, v40, v16 op_sel:[0,1,0]
	ds_load_2addr_b32 v[16:17], v117 offset0:128 offset1:160
	;; [unrolled: 41-line block ×3, first 2 shown]
	ds_load_b128 v[33:36], v107 offset:736
	ds_load_b128 v[37:40], v107 offset:1760
	s_waitcnt lgkmcnt(1)
	v_pk_fma_f16 v120, v16, v33, v120 op_sel_hi:[1,0,1]
	v_pk_fma_f16 v125, v16, v33, v125 op_sel:[0,1,0]
	v_pk_fma_f16 v127, v16, v34, v127 op_sel_hi:[1,0,1]
	v_pk_fma_f16 v126, v16, v34, v126 op_sel:[0,1,0]
	;; [unrolled: 2-line block ×4, first 2 shown]
	s_waitcnt lgkmcnt(0)
	v_pk_fma_f16 v131, v16, v37, v131 op_sel_hi:[1,0,1]
	v_pk_fma_f16 v42, v16, v37, v42 op_sel:[0,1,0]
	v_pk_fma_f16 v43, v16, v38, v43 op_sel_hi:[1,0,1]
	v_pk_fma_f16 v124, v16, v38, v124 op_sel:[0,1,0]
	;; [unrolled: 2-line block ×4, first 2 shown]
	ds_load_b128 v[33:36], v107 offset:752
	ds_load_b128 v[37:40], v107 offset:1776
	s_waitcnt lgkmcnt(1)
	v_pk_fma_f16 v120, v17, v33, v120 op_sel_hi:[1,0,1]
	v_pk_fma_f16 v125, v17, v33, v125 op_sel:[0,1,0]
	v_pk_fma_f16 v127, v17, v34, v127 op_sel_hi:[1,0,1]
	v_pk_fma_f16 v126, v17, v34, v126 op_sel:[0,1,0]
	;; [unrolled: 2-line block ×4, first 2 shown]
	s_waitcnt lgkmcnt(0)
	v_pk_fma_f16 v131, v17, v37, v131 op_sel_hi:[1,0,1]
	v_pk_fma_f16 v42, v17, v37, v42 op_sel:[0,1,0]
	v_pk_fma_f16 v43, v17, v38, v43 op_sel_hi:[1,0,1]
	v_pk_fma_f16 v124, v17, v38, v124 op_sel:[0,1,0]
	;; [unrolled: 2-line block ×4, first 2 shown]
	ds_load_2addr_b32 v[16:17], v118 offset1:32
	ds_load_b128 v[33:36], v107 offset:768
	ds_load_b128 v[37:40], v107 offset:1792
	s_waitcnt lgkmcnt(1)
	v_pk_fma_f16 v120, v16, v33, v120 op_sel_hi:[1,0,1]
	v_pk_fma_f16 v125, v16, v33, v125 op_sel:[0,1,0]
	v_pk_fma_f16 v127, v16, v34, v127 op_sel_hi:[1,0,1]
	v_pk_fma_f16 v126, v16, v34, v126 op_sel:[0,1,0]
	v_pk_fma_f16 v128, v16, v35, v128 op_sel_hi:[1,0,1]
	v_pk_fma_f16 v129, v16, v35, v129 op_sel:[0,1,0]
	v_pk_fma_f16 v130, v16, v36, v130 op_sel_hi:[1,0,1]
	v_pk_fma_f16 v41, v16, v36, v41 op_sel:[0,1,0]
	s_waitcnt lgkmcnt(0)
	v_pk_fma_f16 v131, v16, v37, v131 op_sel_hi:[1,0,1]
	v_pk_fma_f16 v42, v16, v37, v42 op_sel:[0,1,0]
	v_pk_fma_f16 v43, v16, v38, v43 op_sel_hi:[1,0,1]
	v_pk_fma_f16 v124, v16, v38, v124 op_sel:[0,1,0]
	v_pk_fma_f16 v123, v16, v39, v123 op_sel_hi:[1,0,1]
	v_pk_fma_f16 v122, v16, v39, v122 op_sel:[0,1,0]
	v_pk_fma_f16 v121, v16, v40, v121 op_sel_hi:[1,0,1]
	v_pk_fma_f16 v16, v16, v40, v132 op_sel:[0,1,0]
	ds_load_b128 v[33:36], v107 offset:784
	ds_load_b128 v[37:40], v107 offset:1808
	s_waitcnt lgkmcnt(1)
	v_pk_fma_f16 v120, v17, v33, v120 op_sel_hi:[1,0,1]
	v_pk_fma_f16 v125, v17, v33, v125 op_sel:[0,1,0]
	v_pk_fma_f16 v127, v17, v34, v127 op_sel_hi:[1,0,1]
	v_pk_fma_f16 v126, v17, v34, v126 op_sel:[0,1,0]
	v_pk_fma_f16 v128, v17, v35, v128 op_sel_hi:[1,0,1]
	v_pk_fma_f16 v129, v17, v35, v129 op_sel:[0,1,0]
	v_pk_fma_f16 v130, v17, v36, v130 op_sel_hi:[1,0,1]
	v_pk_fma_f16 v41, v17, v36, v41 op_sel:[0,1,0]
	s_waitcnt lgkmcnt(0)
	v_pk_fma_f16 v131, v17, v37, v131 op_sel_hi:[1,0,1]
	v_pk_fma_f16 v42, v17, v37, v42 op_sel:[0,1,0]
	v_pk_fma_f16 v43, v17, v38, v43 op_sel_hi:[1,0,1]
	v_pk_fma_f16 v124, v17, v38, v124 op_sel:[0,1,0]
	v_pk_fma_f16 v123, v17, v39, v123 op_sel_hi:[1,0,1]
	v_pk_fma_f16 v122, v17, v39, v122 op_sel:[0,1,0]
	v_pk_fma_f16 v121, v17, v40, v121 op_sel_hi:[1,0,1]
	v_pk_fma_f16 v132, v17, v40, v16 op_sel:[0,1,0]
	ds_load_2addr_b32 v[16:17], v118 offset0:64 offset1:96
	ds_load_b128 v[33:36], v107 offset:800
	ds_load_b128 v[37:40], v107 offset:1824
	s_waitcnt lgkmcnt(1)
	v_pk_fma_f16 v120, v16, v33, v120 op_sel_hi:[1,0,1]
	v_pk_fma_f16 v125, v16, v33, v125 op_sel:[0,1,0]
	v_pk_fma_f16 v127, v16, v34, v127 op_sel_hi:[1,0,1]
	v_pk_fma_f16 v126, v16, v34, v126 op_sel:[0,1,0]
	v_pk_fma_f16 v128, v16, v35, v128 op_sel_hi:[1,0,1]
	v_pk_fma_f16 v129, v16, v35, v129 op_sel:[0,1,0]
	v_pk_fma_f16 v130, v16, v36, v130 op_sel_hi:[1,0,1]
	v_pk_fma_f16 v41, v16, v36, v41 op_sel:[0,1,0]
	s_waitcnt lgkmcnt(0)
	v_pk_fma_f16 v131, v16, v37, v131 op_sel_hi:[1,0,1]
	v_pk_fma_f16 v42, v16, v37, v42 op_sel:[0,1,0]
	v_pk_fma_f16 v43, v16, v38, v43 op_sel_hi:[1,0,1]
	v_pk_fma_f16 v124, v16, v38, v124 op_sel:[0,1,0]
	v_pk_fma_f16 v123, v16, v39, v123 op_sel_hi:[1,0,1]
	v_pk_fma_f16 v122, v16, v39, v122 op_sel:[0,1,0]
	v_pk_fma_f16 v121, v16, v40, v121 op_sel_hi:[1,0,1]
	v_pk_fma_f16 v16, v16, v40, v132 op_sel:[0,1,0]
	ds_load_b128 v[33:36], v107 offset:816
	ds_load_b128 v[37:40], v107 offset:1840
	s_waitcnt lgkmcnt(1)
	v_pk_fma_f16 v120, v17, v33, v120 op_sel_hi:[1,0,1]
	v_pk_fma_f16 v125, v17, v33, v125 op_sel:[0,1,0]
	v_pk_fma_f16 v127, v17, v34, v127 op_sel_hi:[1,0,1]
	v_pk_fma_f16 v126, v17, v34, v126 op_sel:[0,1,0]
	v_pk_fma_f16 v128, v17, v35, v128 op_sel_hi:[1,0,1]
	v_pk_fma_f16 v129, v17, v35, v129 op_sel:[0,1,0]
	v_pk_fma_f16 v130, v17, v36, v130 op_sel_hi:[1,0,1]
	v_pk_fma_f16 v41, v17, v36, v41 op_sel:[0,1,0]
	s_waitcnt lgkmcnt(0)
	v_pk_fma_f16 v131, v17, v37, v131 op_sel_hi:[1,0,1]
	v_pk_fma_f16 v42, v17, v37, v42 op_sel:[0,1,0]
	v_pk_fma_f16 v43, v17, v38, v43 op_sel_hi:[1,0,1]
	v_pk_fma_f16 v124, v17, v38, v124 op_sel:[0,1,0]
	v_pk_fma_f16 v123, v17, v39, v123 op_sel_hi:[1,0,1]
	v_pk_fma_f16 v122, v17, v39, v122 op_sel:[0,1,0]
	v_pk_fma_f16 v121, v17, v40, v121 op_sel_hi:[1,0,1]
	v_pk_fma_f16 v132, v17, v40, v16 op_sel:[0,1,0]
	ds_load_2addr_b32 v[16:17], v118 offset0:128 offset1:160
	;; [unrolled: 41-line block ×3, first 2 shown]
	ds_load_b128 v[33:36], v107 offset:864
	ds_load_b128 v[37:40], v107 offset:1888
	s_waitcnt lgkmcnt(1)
	v_pk_fma_f16 v120, v16, v33, v120 op_sel_hi:[1,0,1]
	v_pk_fma_f16 v125, v16, v33, v125 op_sel:[0,1,0]
	v_pk_fma_f16 v127, v16, v34, v127 op_sel_hi:[1,0,1]
	v_pk_fma_f16 v126, v16, v34, v126 op_sel:[0,1,0]
	;; [unrolled: 2-line block ×4, first 2 shown]
	s_waitcnt lgkmcnt(0)
	v_pk_fma_f16 v131, v16, v37, v131 op_sel_hi:[1,0,1]
	v_pk_fma_f16 v42, v16, v37, v42 op_sel:[0,1,0]
	v_pk_fma_f16 v43, v16, v38, v43 op_sel_hi:[1,0,1]
	v_pk_fma_f16 v124, v16, v38, v124 op_sel:[0,1,0]
	v_pk_fma_f16 v123, v16, v39, v123 op_sel_hi:[1,0,1]
	v_pk_fma_f16 v122, v16, v39, v122 op_sel:[0,1,0]
	v_pk_fma_f16 v121, v16, v40, v121 op_sel_hi:[1,0,1]
	v_pk_fma_f16 v16, v16, v40, v132 op_sel:[0,1,0]
	ds_load_b128 v[33:36], v107 offset:880
	ds_load_b128 v[37:40], v107 offset:1904
	s_waitcnt lgkmcnt(1)
	v_pk_fma_f16 v120, v17, v33, v120 op_sel_hi:[1,0,1]
	v_pk_fma_f16 v125, v17, v33, v125 op_sel:[0,1,0]
	v_pk_fma_f16 v127, v17, v34, v127 op_sel_hi:[1,0,1]
	v_pk_fma_f16 v126, v17, v34, v126 op_sel:[0,1,0]
	;; [unrolled: 2-line block ×4, first 2 shown]
	s_waitcnt lgkmcnt(0)
	v_pk_fma_f16 v131, v17, v37, v131 op_sel_hi:[1,0,1]
	v_pk_fma_f16 v42, v17, v37, v42 op_sel:[0,1,0]
	v_pk_fma_f16 v43, v17, v38, v43 op_sel_hi:[1,0,1]
	v_pk_fma_f16 v124, v17, v38, v124 op_sel:[0,1,0]
	;; [unrolled: 2-line block ×4, first 2 shown]
	ds_load_2addr_b32 v[16:17], v119 offset1:32
	ds_load_b128 v[33:36], v107 offset:896
	ds_load_b128 v[37:40], v107 offset:1920
	s_waitcnt lgkmcnt(1)
	v_pk_fma_f16 v120, v16, v33, v120 op_sel_hi:[1,0,1]
	v_pk_fma_f16 v125, v16, v33, v125 op_sel:[0,1,0]
	v_pk_fma_f16 v127, v16, v34, v127 op_sel_hi:[1,0,1]
	v_pk_fma_f16 v126, v16, v34, v126 op_sel:[0,1,0]
	v_pk_fma_f16 v128, v16, v35, v128 op_sel_hi:[1,0,1]
	v_pk_fma_f16 v129, v16, v35, v129 op_sel:[0,1,0]
	v_pk_fma_f16 v130, v16, v36, v130 op_sel_hi:[1,0,1]
	v_pk_fma_f16 v41, v16, v36, v41 op_sel:[0,1,0]
	s_waitcnt lgkmcnt(0)
	v_pk_fma_f16 v131, v16, v37, v131 op_sel_hi:[1,0,1]
	v_pk_fma_f16 v42, v16, v37, v42 op_sel:[0,1,0]
	v_pk_fma_f16 v43, v16, v38, v43 op_sel_hi:[1,0,1]
	v_pk_fma_f16 v124, v16, v38, v124 op_sel:[0,1,0]
	v_pk_fma_f16 v123, v16, v39, v123 op_sel_hi:[1,0,1]
	v_pk_fma_f16 v122, v16, v39, v122 op_sel:[0,1,0]
	v_pk_fma_f16 v121, v16, v40, v121 op_sel_hi:[1,0,1]
	v_pk_fma_f16 v16, v16, v40, v132 op_sel:[0,1,0]
	ds_load_b128 v[33:36], v107 offset:912
	ds_load_b128 v[37:40], v107 offset:1936
	s_waitcnt lgkmcnt(1)
	v_pk_fma_f16 v120, v17, v33, v120 op_sel_hi:[1,0,1]
	v_pk_fma_f16 v125, v17, v33, v125 op_sel:[0,1,0]
	v_pk_fma_f16 v127, v17, v34, v127 op_sel_hi:[1,0,1]
	v_pk_fma_f16 v126, v17, v34, v126 op_sel:[0,1,0]
	v_pk_fma_f16 v128, v17, v35, v128 op_sel_hi:[1,0,1]
	v_pk_fma_f16 v129, v17, v35, v129 op_sel:[0,1,0]
	v_pk_fma_f16 v130, v17, v36, v130 op_sel_hi:[1,0,1]
	v_pk_fma_f16 v41, v17, v36, v41 op_sel:[0,1,0]
	s_waitcnt lgkmcnt(0)
	v_pk_fma_f16 v131, v17, v37, v131 op_sel_hi:[1,0,1]
	v_pk_fma_f16 v42, v17, v37, v42 op_sel:[0,1,0]
	v_pk_fma_f16 v43, v17, v38, v43 op_sel_hi:[1,0,1]
	v_pk_fma_f16 v124, v17, v38, v124 op_sel:[0,1,0]
	v_pk_fma_f16 v123, v17, v39, v123 op_sel_hi:[1,0,1]
	v_pk_fma_f16 v122, v17, v39, v122 op_sel:[0,1,0]
	v_pk_fma_f16 v121, v17, v40, v121 op_sel_hi:[1,0,1]
	v_pk_fma_f16 v132, v17, v40, v16 op_sel:[0,1,0]
	ds_load_2addr_b32 v[16:17], v119 offset0:64 offset1:96
	ds_load_b128 v[33:36], v107 offset:928
	ds_load_b128 v[37:40], v107 offset:1952
	s_waitcnt lgkmcnt(1)
	v_pk_fma_f16 v120, v16, v33, v120 op_sel_hi:[1,0,1]
	v_pk_fma_f16 v125, v16, v33, v125 op_sel:[0,1,0]
	v_pk_fma_f16 v127, v16, v34, v127 op_sel_hi:[1,0,1]
	v_pk_fma_f16 v126, v16, v34, v126 op_sel:[0,1,0]
	v_pk_fma_f16 v128, v16, v35, v128 op_sel_hi:[1,0,1]
	v_pk_fma_f16 v129, v16, v35, v129 op_sel:[0,1,0]
	v_pk_fma_f16 v130, v16, v36, v130 op_sel_hi:[1,0,1]
	v_pk_fma_f16 v41, v16, v36, v41 op_sel:[0,1,0]
	s_waitcnt lgkmcnt(0)
	v_pk_fma_f16 v131, v16, v37, v131 op_sel_hi:[1,0,1]
	v_pk_fma_f16 v42, v16, v37, v42 op_sel:[0,1,0]
	v_pk_fma_f16 v43, v16, v38, v43 op_sel_hi:[1,0,1]
	v_pk_fma_f16 v124, v16, v38, v124 op_sel:[0,1,0]
	v_pk_fma_f16 v123, v16, v39, v123 op_sel_hi:[1,0,1]
	v_pk_fma_f16 v122, v16, v39, v122 op_sel:[0,1,0]
	v_pk_fma_f16 v121, v16, v40, v121 op_sel_hi:[1,0,1]
	v_pk_fma_f16 v16, v16, v40, v132 op_sel:[0,1,0]
	ds_load_b128 v[33:36], v107 offset:944
	ds_load_b128 v[37:40], v107 offset:1968
	s_waitcnt lgkmcnt(1)
	v_pk_fma_f16 v120, v17, v33, v120 op_sel_hi:[1,0,1]
	v_pk_fma_f16 v125, v17, v33, v125 op_sel:[0,1,0]
	v_pk_fma_f16 v127, v17, v34, v127 op_sel_hi:[1,0,1]
	v_pk_fma_f16 v126, v17, v34, v126 op_sel:[0,1,0]
	v_pk_fma_f16 v128, v17, v35, v128 op_sel_hi:[1,0,1]
	v_pk_fma_f16 v129, v17, v35, v129 op_sel:[0,1,0]
	v_pk_fma_f16 v130, v17, v36, v130 op_sel_hi:[1,0,1]
	v_pk_fma_f16 v41, v17, v36, v41 op_sel:[0,1,0]
	s_waitcnt lgkmcnt(0)
	v_pk_fma_f16 v131, v17, v37, v131 op_sel_hi:[1,0,1]
	v_pk_fma_f16 v42, v17, v37, v42 op_sel:[0,1,0]
	v_pk_fma_f16 v43, v17, v38, v43 op_sel_hi:[1,0,1]
	v_pk_fma_f16 v124, v17, v38, v124 op_sel:[0,1,0]
	v_pk_fma_f16 v123, v17, v39, v123 op_sel_hi:[1,0,1]
	v_pk_fma_f16 v122, v17, v39, v122 op_sel:[0,1,0]
	v_pk_fma_f16 v121, v17, v40, v121 op_sel_hi:[1,0,1]
	v_pk_fma_f16 v132, v17, v40, v16 op_sel:[0,1,0]
	ds_load_2addr_b32 v[16:17], v119 offset0:128 offset1:160
	;; [unrolled: 41-line block ×3, first 2 shown]
	ds_load_b128 v[33:36], v107 offset:992
	ds_load_b128 v[37:40], v107 offset:2016
	s_waitcnt lgkmcnt(1)
	v_pk_fma_f16 v120, v16, v33, v120 op_sel_hi:[1,0,1]
	v_pk_fma_f16 v125, v16, v33, v125 op_sel:[0,1,0]
	v_pk_fma_f16 v127, v16, v34, v127 op_sel_hi:[1,0,1]
	v_pk_fma_f16 v126, v16, v34, v126 op_sel:[0,1,0]
	;; [unrolled: 2-line block ×4, first 2 shown]
	s_waitcnt lgkmcnt(0)
	v_pk_fma_f16 v136, v16, v37, v131 op_sel_hi:[1,0,1]
	v_pk_fma_f16 v42, v16, v37, v42 op_sel:[0,1,0]
	v_pk_fma_f16 v43, v16, v38, v43 op_sel_hi:[1,0,1]
	v_pk_fma_f16 v124, v16, v38, v124 op_sel:[0,1,0]
	;; [unrolled: 2-line block ×4, first 2 shown]
	ds_load_b128 v[33:36], v107 offset:1008
	ds_load_b128 v[37:40], v107 offset:2032
	s_waitcnt lgkmcnt(0)
	s_barrier
	buffer_gl0_inv
	s_load_b32 s17, s[4:5], 0x4
	v_pk_fma_f16 v137, v17, v33, v120 op_sel_hi:[1,0,1]
	v_pk_fma_f16 v134, v17, v33, v125 op_sel:[0,1,0]
	v_pk_fma_f16 v133, v17, v34, v127 op_sel_hi:[1,0,1]
	v_pk_fma_f16 v132, v17, v34, v126 op_sel:[0,1,0]
	v_pk_fma_f16 v131, v17, v35, v128 op_sel_hi:[1,0,1]
	s_waitcnt lgkmcnt(0)
	s_lshl_b32 s17, s17, 6
	v_pk_fma_f16 v130, v17, v35, v129 op_sel:[0,1,0]
	v_pk_fma_f16 v129, v17, v36, v135 op_sel_hi:[1,0,1]
	v_pk_fma_f16 v128, v17, v36, v41 op_sel:[0,1,0]
	v_pk_fma_f16 v127, v17, v37, v136 op_sel_hi:[1,0,1]
	;; [unrolled: 2-line block ×5, first 2 shown]
	v_pk_fma_f16 v120, v17, v40, v16 op_sel:[0,1,0]
	s_add_i32 s3, s17, s3
	s_delay_alu instid0(SALU_CYCLE_1)
	s_cmp_ge_i32 s3, s34
	s_cbranch_scc0 .LBB17_9
; %bb.10:
	v_mov_b32_e32 v33, v62
.LBB17_11:
	v_cmp_lt_i32_e32 vcc_lo, v94, v90
	s_cmp_lg_u64 s[24:25], 0
	s_cselect_b32 s3, -1, 0
	s_cmp_eq_u32 s14, 0
	v_cndmask_b32_e32 v16, v33, v94, vcc_lo
	v_cmp_lt_i32_e32 vcc_lo, v95, v90
	v_lshlrev_b32_e32 v96, 1, v61
	s_cselect_b32 s4, -1, 0
	s_delay_alu instid0(SALU_CYCLE_1) | instskip(SKIP_2) | instid1(VALU_DEP_2)
	s_and_b32 s3, s4, s3
	v_cndmask_b32_e32 v17, v33, v95, vcc_lo
	v_cmp_lt_i32_e32 vcc_lo, v92, v90
	v_dual_cndmask_b32 v34, v33, v92 :: v_dual_lshlrev_b32 v17, 2, v17
	v_cmp_lt_i32_e32 vcc_lo, v93, v90
	v_dual_cndmask_b32 v35, v33, v93 :: v_dual_lshlrev_b32 v16, 2, v16
	ds_bpermute_b32 v36, v16, v18
	ds_bpermute_b32 v37, v16, v19
	;; [unrolled: 1-line block ×5, first 2 shown]
	v_cmp_lt_i32_e32 vcc_lo, v91, v90
	ds_bpermute_b32 v41, v16, v23
	ds_bpermute_b32 v45, v16, v27
	v_lshlrev_b32_e32 v35, 2, v35
	ds_bpermute_b32 v42, v16, v24
	v_dual_cndmask_b32 v33, v33, v91 :: v_dual_lshlrev_b32 v34, 2, v34
	ds_bpermute_b32 v46, v16, v28
	ds_bpermute_b32 v43, v16, v25
	;; [unrolled: 1-line block ×3, first 2 shown]
	v_lshlrev_b32_e32 v33, 2, v33
	ds_bpermute_b32 v47, v16, v29
	ds_bpermute_b32 v48, v16, v30
	;; [unrolled: 1-line block ×3, first 2 shown]
	s_and_b32 vcc_lo, exec_lo, s3
	s_waitcnt lgkmcnt(12)
	v_dual_add_f32 v18, v18, v36 :: v_dual_add_f32 v19, v19, v37
	s_waitcnt lgkmcnt(10)
	v_dual_add_f32 v20, v20, v38 :: v_dual_add_f32 v21, v21, v39
	s_waitcnt lgkmcnt(9)
	v_add_f32_e32 v22, v22, v40
	ds_bpermute_b32 v37, v17, v18
	ds_bpermute_b32 v36, v16, v32
	;; [unrolled: 1-line block ×6, first 2 shown]
	s_waitcnt lgkmcnt(12)
	v_dual_add_f32 v23, v23, v41 :: v_dual_add_f32 v24, v24, v42
	s_waitcnt lgkmcnt(11)
	v_dual_add_f32 v27, v27, v45 :: v_dual_add_f32 v28, v28, v46
	ds_bpermute_b32 v41, v17, v22
	ds_bpermute_b32 v42, v17, v23
	s_waitcnt lgkmcnt(11)
	v_dual_add_f32 v25, v25, v43 :: v_dual_add_f32 v26, v26, v44
	ds_bpermute_b32 v46, v17, v27
	s_waitcnt lgkmcnt(10)
	v_dual_add_f32 v29, v29, v47 :: v_dual_add_f32 v30, v30, v48
	ds_bpermute_b32 v43, v17, v24
	ds_bpermute_b32 v44, v17, v25
	s_waitcnt lgkmcnt(11)
	v_add_f32_e32 v31, v31, v49
	s_waitcnt lgkmcnt(10)
	v_add_f32_e32 v18, v18, v37
	;; [unrolled: 2-line block ×3, first 2 shown]
	s_waitcnt lgkmcnt(7)
	v_dual_add_f32 v20, v20, v39 :: v_dual_add_f32 v21, v21, v40
	s_waitcnt lgkmcnt(5)
	v_dual_add_f32 v16, v89, v16 :: v_dual_add_f32 v19, v19, v38
	ds_bpermute_b32 v39, v34, v18
	ds_bpermute_b32 v36, v34, v20
	;; [unrolled: 1-line block ×4, first 2 shown]
	s_waitcnt lgkmcnt(8)
	v_add_f32_e32 v22, v22, v41
	ds_bpermute_b32 v41, v34, v21
	ds_bpermute_b32 v38, v17, v29
	;; [unrolled: 1-line block ×3, first 2 shown]
	s_waitcnt lgkmcnt(9)
	v_add_f32_e32 v27, v27, v46
	ds_bpermute_b32 v48, v17, v30
	ds_bpermute_b32 v40, v17, v31
	v_add_f32_e32 v23, v23, v42
	ds_bpermute_b32 v49, v17, v32
	ds_bpermute_b32 v17, v17, v16
	s_waitcnt lgkmcnt(11)
	v_dual_add_f32 v24, v24, v43 :: v_dual_add_f32 v25, v25, v44
	ds_bpermute_b32 v42, v34, v24
	s_waitcnt lgkmcnt(11)
	v_add_f32_e32 v18, v18, v39
	s_waitcnt lgkmcnt(10)
	v_add_f32_e32 v20, v20, v36
	;; [unrolled: 2-line block ×4, first 2 shown]
	ds_bpermute_b32 v37, v34, v22
	s_waitcnt lgkmcnt(8)
	v_add_f32_e32 v21, v21, v41
	s_waitcnt lgkmcnt(7)
	v_add_f32_e32 v29, v29, v38
	;; [unrolled: 2-line block ×3, first 2 shown]
	ds_bpermute_b32 v38, v34, v23
	s_waitcnt lgkmcnt(6)
	v_add_f32_e32 v30, v30, v48
	s_waitcnt lgkmcnt(5)
	v_add_f32_e32 v31, v31, v40
	ds_bpermute_b32 v36, v35, v18
	ds_bpermute_b32 v44, v35, v21
	s_waitcnt lgkmcnt(5)
	v_add_f32_e32 v16, v16, v17
	ds_bpermute_b32 v17, v34, v25
	ds_bpermute_b32 v39, v35, v19
	;; [unrolled: 1-line block ×7, first 2 shown]
	v_add_f32_e32 v32, v32, v49
	ds_bpermute_b32 v48, v34, v31
	s_waitcnt lgkmcnt(12)
	v_add_f32_e32 v24, v24, v42
	s_waitcnt lgkmcnt(10)
	v_dual_add_f32 v22, v22, v37 :: v_dual_add_f32 v23, v23, v38
	ds_bpermute_b32 v47, v34, v30
	s_waitcnt lgkmcnt(10)
	v_add_f32_e32 v18, v18, v36
	s_waitcnt lgkmcnt(9)
	v_add_f32_e32 v21, v21, v44
	;; [unrolled: 2-line block ×4, first 2 shown]
	ds_bpermute_b32 v39, v35, v23
	s_waitcnt lgkmcnt(7)
	v_add_f32_e32 v26, v26, v40
	ds_bpermute_b32 v49, v34, v32
	ds_bpermute_b32 v40, v35, v17
	;; [unrolled: 1-line block ×3, first 2 shown]
	s_waitcnt lgkmcnt(9)
	v_add_f32_e32 v27, v27, v41
	s_waitcnt lgkmcnt(7)
	v_dual_add_f32 v28, v28, v45 :: v_dual_add_f32 v29, v29, v46
	ds_bpermute_b32 v36, v35, v22
	s_waitcnt lgkmcnt(6)
	v_dual_add_f32 v20, v20, v43 :: v_dual_add_f32 v31, v31, v48
	ds_bpermute_b32 v43, v35, v27
	ds_bpermute_b32 v45, v35, v29
	s_waitcnt lgkmcnt(7)
	v_add_f32_e32 v30, v30, v47
	ds_bpermute_b32 v42, v35, v24
	ds_bpermute_b32 v37, v33, v18
	ds_bpermute_b32 v38, v33, v19
	ds_bpermute_b32 v25, v33, v20
	s_waitcnt lgkmcnt(10)
	v_add_f32_e32 v23, v23, v39
	ds_bpermute_b32 v41, v35, v26
	s_waitcnt lgkmcnt(9)
	v_dual_add_f32 v32, v32, v49 :: v_dual_add_f32 v17, v17, v40
	ds_bpermute_b32 v44, v35, v28
	s_waitcnt lgkmcnt(9)
	v_add_f32_e32 v16, v16, v34
	ds_bpermute_b32 v34, v35, v31
	ds_bpermute_b32 v39, v33, v21
	s_waitcnt lgkmcnt(9)
	v_dual_add_f32 v22, v22, v36 :: v_dual_add_f32 v27, v27, v43
	ds_bpermute_b32 v36, v35, v32
	s_waitcnt lgkmcnt(9)
	v_add_f32_e32 v43, v29, v45
	ds_bpermute_b32 v46, v35, v30
	ds_bpermute_b32 v35, v35, v16
	s_waitcnt lgkmcnt(10)
	v_add_f32_e32 v24, v24, v42
	ds_bpermute_b32 v42, v33, v23
	ds_bpermute_b32 v49, v33, v43
	s_waitcnt lgkmcnt(11)
	v_add_f32_e32 v62, v18, v37
	s_waitcnt lgkmcnt(10)
	v_add_f32_e32 v60, v19, v38
	;; [unrolled: 2-line block ×3, first 2 shown]
	ds_bpermute_b32 v47, v33, v24
	ds_bpermute_b32 v41, v33, v17
	s_waitcnt lgkmcnt(9)
	v_add_f32_e32 v28, v28, v44
	ds_bpermute_b32 v44, v33, v27
	s_waitcnt lgkmcnt(9)
	v_add_f32_e32 v31, v31, v34
	ds_bpermute_b32 v29, v33, v26
	ds_bpermute_b32 v40, v33, v22
	;; [unrolled: 1-line block ×3, first 2 shown]
	v_add_f32_e32 v58, v20, v25
	s_waitcnt lgkmcnt(11)
	v_add_f32_e32 v56, v21, v39
	s_waitcnt lgkmcnt(10)
	;; [unrolled: 2-line block ×4, first 2 shown]
	v_add_f32_e32 v16, v16, v35
	ds_bpermute_b32 v35, v33, v31
	ds_bpermute_b32 v36, v33, v32
	s_waitcnt lgkmcnt(9)
	v_add_f32_e32 v52, v23, v42
	s_waitcnt lgkmcnt(8)
	v_add_f32_e32 v42, v43, v49
	ds_bpermute_b32 v18, v33, v16
	s_waitcnt lgkmcnt(8)
	v_add_f32_e32 v50, v24, v47
	s_waitcnt lgkmcnt(7)
	v_add_f32_e32 v48, v17, v41
	;; [unrolled: 2-line block ×4, first 2 shown]
	s_waitcnt lgkmcnt(3)
	v_dual_add_f32 v54, v22, v40 :: v_dual_add_f32 v29, v28, v45
	ds_bpermute_b32 v34, v33, v30
	s_waitcnt lgkmcnt(3)
	v_add_f32_e32 v38, v31, v35
	s_waitcnt lgkmcnt(2)
	v_add_f32_e32 v36, v32, v36
	;; [unrolled: 2-line block ×3, first 2 shown]
	v_add_f32_e32 v34, v16, v18
	s_cbranch_vccz .LBB17_13
; %bb.12:
	s_ashr_i32 s3, s2, 31
	v_dual_mov_b32 v16, 0 :: v_dual_max_f32 v17, v1, v1
	s_lshl_b64 s[4:5], s[2:3], 2
	v_dual_max_f32 v18, v2, v2 :: v_dual_max_f32 v21, v5, v5
	s_add_u32 s4, s24, s4
	s_addc_u32 s5, s25, s5
	v_max_f32_e32 v19, v3, v3
	global_load_b128 v[30:33], v16, s[4:5]
	v_max_f32_e32 v16, v0, v0
	v_dual_max_f32 v20, v4, v4 :: v_dual_max_f32 v23, v7, v7
	v_dual_max_f32 v24, v8, v8 :: v_dual_max_f32 v27, v11, v11
	v_max_f32_e32 v26, v10, v10
	v_dual_max_f32 v22, v6, v6 :: v_dual_max_f32 v25, v9, v9
	s_waitcnt vmcnt(0)
	v_dual_max_f32 v28, v30, v30 :: v_dual_max_f32 v37, v32, v32
	v_max_f32_e32 v39, v31, v31
	v_max_f32_e32 v35, v33, v33
	;; [unrolled: 1-line block ×3, first 2 shown]
	s_delay_alu instid0(VALU_DEP_4) | instskip(NEXT) | instid1(VALU_DEP_4)
	v_max_f32_e32 v16, v16, v28
	v_dual_max_f32 v18, v18, v37 :: v_dual_max_f32 v17, v17, v39
	v_dual_max_f32 v20, v20, v28 :: v_dual_max_f32 v21, v21, v39
	;; [unrolled: 1-line block ×4, first 2 shown]
	v_max_f32_e32 v28, v41, v28
	v_sub_f32_e32 v41, v30, v16
	v_dual_max_f32 v19, v19, v35 :: v_dual_max_f32 v22, v22, v37
	v_dual_max_f32 v25, v25, v39 :: v_dual_sub_f32 v0, v0, v16
	v_dual_sub_f32 v1, v1, v17 :: v_dual_sub_f32 v2, v2, v18
	v_dual_sub_f32 v5, v5, v21 :: v_dual_sub_f32 v10, v10, v26
	;; [unrolled: 1-line block ×3, first 2 shown]
	v_mul_f32_e32 v92, 0x3fb8aa3b, v41
	v_dual_sub_f32 v43, v31, v17 :: v_dual_sub_f32 v4, v4, v20
	v_dual_sub_f32 v3, v3, v19 :: v_dual_sub_f32 v6, v6, v22
	v_dual_sub_f32 v11, v11, v27 :: v_dual_mul_f32 v112, 0x3fb8aa3b, v10
	v_mul_f32_e32 v91, 0x3fb8aa3b, v0
	v_rndne_f32_e32 v119, v92
	v_mul_f32_e32 v93, 0x3fb8aa3b, v1
	v_dual_sub_f32 v51, v31, v21 :: v_dual_sub_f32 v12, v12, v28
	v_dual_sub_f32 v53, v32, v22 :: v_dual_mul_f32 v98, 0x3fb8aa3b, v3
	v_dual_sub_f32 v7, v7, v23 :: v_dual_mul_f32 v100, 0x3fb8aa3b, v4
	v_mul_f32_e32 v114, 0x3fb8aa3b, v11
	v_fma_f32 v116, 0x3fb8aa3b, v0, -v91
	v_rndne_f32_e32 v117, v91
	v_fma_f32 v118, 0x3fb8aa3b, v41, -v92
	v_sub_f32_e32 v92, v92, v119
	v_rndne_f32_e32 v136, v93
	v_dual_sub_f32 v47, v33, v19 :: v_dual_sub_f32 v8, v8, v24
	v_dual_sub_f32 v55, v33, v23 :: v_dual_mul_f32 v102, 0x3fb8aa3b, v5
	v_dual_sub_f32 v57, v30, v24 :: v_dual_mul_f32 v104, 0x3fb8aa3b, v6
	;; [unrolled: 1-line block ×3, first 2 shown]
	s_delay_alu instid0(VALU_DEP_4)
	v_dual_sub_f32 v59, v31, v25 :: v_dual_mul_f32 v108, 0x3fb8aa3b, v8
	v_fma_f32 v135, 0x3fb8aa3b, v1, -v93
	v_fma_f32 v144, 0x3fb8aa3b, v3, -v98
	v_rndne_f32_e32 v149, v100
	v_mul_f32_e32 v103, 0x3fb8aa3b, v51
	v_dual_fmac_f32 v116, 0x32a5705f, v0 :: v_dual_sub_f32 v91, v91, v117
	v_dual_fmac_f32 v118, 0x32a5705f, v41 :: v_dual_sub_f32 v93, v93, v136
	v_mul_f32_e32 v97, 0x3fb8aa3b, v45
	v_dual_sub_f32 v49, v30, v20 :: v_dual_mul_f32 v94, 0x3fb8aa3b, v43
	v_dual_sub_f32 v89, v32, v26 :: v_dual_mul_f32 v110, 0x3fb8aa3b, v9
	v_rndne_f32_e32 v145, v98
	v_fma_f32 v148, 0x3fb8aa3b, v4, -v100
	v_fma_f32 v152, 0x3fb8aa3b, v5, -v102
	v_rndne_f32_e32 v157, v104
	v_mul_f32_e32 v111, 0x3fb8aa3b, v59
	v_dual_fmac_f32 v144, 0x32a5705f, v3 :: v_dual_add_f32 v91, v91, v116
	v_sub_f32_e32 v100, v100, v149
	v_fma_f32 v154, 0x3fb8aa3b, v51, -v103
	v_rndne_f32_e32 v155, v103
	v_add_f32_e32 v92, v92, v118
	v_fma_f32 v142, 0x3fb8aa3b, v45, -v97
	v_rndne_f32_e32 v143, v97
	v_dual_mul_f32 v99, 0x3fb8aa3b, v47 :: v_dual_sub_f32 v98, v98, v145
	v_mul_f32_e32 v105, 0x3fb8aa3b, v53
	v_fma_f32 v138, 0x3fb8aa3b, v43, -v94
	v_rndne_f32_e32 v139, v94
	v_mul_f32_e32 v95, 0x3fb8aa3b, v2
	v_fma_f32 v156, 0x3fb8aa3b, v6, -v104
	v_rndne_f32_e32 v169, v110
	v_dual_fmac_f32 v135, 0x32a5705f, v1 :: v_dual_fmac_f32 v138, 0x32a5705f, v43
	v_dual_fmac_f32 v142, 0x32a5705f, v45 :: v_dual_sub_f32 v97, v97, v143
	v_dual_fmac_f32 v152, 0x32a5705f, v5 :: v_dual_sub_f32 v103, v103, v155
	v_fmac_f32_e32 v154, 0x32a5705f, v51
	s_delay_alu instid0(VALU_DEP_3)
	v_dual_sub_f32 v104, v104, v157 :: v_dual_add_f32 v97, v97, v142
	v_fma_f32 v170, 0x3fb8aa3b, v59, -v111
	v_exp_f32_e32 v91, v91
	v_rndne_f32_e32 v153, v102
	v_mul_f32_e32 v107, 0x3fb8aa3b, v55
	v_fma_f32 v168, 0x3fb8aa3b, v9, -v110
	v_cvt_i32_f32_e32 v117, v117
	v_sub_f32_e32 v94, v94, v139
	v_sub_f32_e32 v102, v102, v153
	v_fma_f32 v140, 0x3fb8aa3b, v2, -v95
	v_rndne_f32_e32 v141, v95
	v_dual_sub_f32 v110, v110, v169 :: v_dual_add_f32 v93, v93, v135
	v_dual_fmac_f32 v170, 0x32a5705f, v59 :: v_dual_add_f32 v103, v103, v154
	v_add_f32_e32 v98, v98, v144
	v_fma_f32 v158, 0x3fb8aa3b, v53, -v105
	v_rndne_f32_e32 v159, v105
	v_exp_f32_e32 v92, v92
	v_dual_mul_f32 v101, 0x3fb8aa3b, v49 :: v_dual_add_f32 v94, v94, v138
	v_fma_f32 v146, 0x3fb8aa3b, v47, -v99
	v_rndne_f32_e32 v163, v107
	v_fma_f32 v172, 0x3fb8aa3b, v10, -v112
	v_rndne_f32_e32 v173, v112
	v_cvt_i32_f32_e32 v119, v119
	v_dual_fmac_f32 v140, 0x32a5705f, v2 :: v_dual_sub_f32 v95, v95, v141
	v_dual_fmac_f32 v156, 0x32a5705f, v6 :: v_dual_sub_f32 v105, v105, v159
	v_fmac_f32_e32 v158, 0x32a5705f, v53
	v_exp_f32_e32 v93, v93
	v_exp_f32_e32 v103, v103
	v_ldexp_f32 v91, v91, v117
	v_cmp_ngt_f32_e32 vcc_lo, 0xc2ce8ed0, v0
	v_rndne_f32_e32 v161, v106
	v_mul_f32_e32 v115, 0x3fb8aa3b, v90
	v_fma_f32 v162, 0x3fb8aa3b, v55, -v107
	v_cvt_i32_f32_e32 v136, v136
	v_dual_fmac_f32 v146, 0x32a5705f, v47 :: v_dual_add_f32 v95, v95, v140
	v_cvt_i32_f32_e32 v155, v155
	v_dual_sub_f32 v107, v107, v163 :: v_dual_fmac_f32 v172, 0x32a5705f, v10
	v_dual_cndmask_b32 v91, 0, v91 :: v_dual_sub_f32 v112, v112, v173
	v_add_f32_e32 v105, v105, v158
	v_exp_f32_e32 v94, v94
	v_ldexp_f32 v92, v92, v119
	v_cmp_ngt_f32_e32 vcc_lo, 0xc2ce8ed0, v41
	v_dual_mul_f32 v113, 0x3fb8aa3b, v89 :: v_dual_add_f32 v102, v102, v152
	v_rndne_f32_e32 v147, v99
	v_fma_f32 v150, 0x3fb8aa3b, v49, -v101
	v_rndne_f32_e32 v151, v101
	v_fma_f32 v160, 0x3fb8aa3b, v7, -v106
	v_cvt_i32_f32_e32 v139, v139
	v_sub_f32_e32 v106, v106, v161
	v_fma_f32 v178, 0x3fb8aa3b, v90, -v115
	v_exp_f32_e32 v95, v95
	v_exp_f32_e32 v105, v105
	v_ldexp_f32 v93, v93, v136
	v_ldexp_f32 v103, v103, v155
	v_cndmask_b32_e32 v92, 0, v92, vcc_lo
	v_cmp_ngt_f32_e32 vcc_lo, 0xc2ce8ed0, v1
	v_fma_f32 v164, 0x3fb8aa3b, v8, -v108
	v_rndne_f32_e32 v165, v108
	v_fma_f32 v174, 0x3fb8aa3b, v89, -v113
	v_cvt_i32_f32_e32 v141, v141
	v_dual_sub_f32 v99, v99, v147 :: v_dual_fmac_f32 v148, 0x32a5705f, v4
	v_mul_f32_e32 v109, 0x3fb8aa3b, v57
	v_dual_fmac_f32 v150, 0x32a5705f, v49 :: v_dual_sub_f32 v101, v101, v151
	v_cvt_i32_f32_e32 v159, v159
	v_fmac_f32_e32 v162, 0x32a5705f, v55
	v_dual_fmac_f32 v178, 0x32a5705f, v90 :: v_dual_cndmask_b32 v93, 0, v93
	v_exp_f32_e32 v97, v97
	v_ldexp_f32 v94, v94, v139
	v_cmp_ngt_f32_e32 vcc_lo, 0xc2ce8ed0, v43
	v_rndne_f32_e32 v171, v111
	v_cvt_i32_f32_e32 v143, v143
	v_dual_fmac_f32 v160, 0x32a5705f, v7 :: v_dual_add_f32 v99, v99, v146
	s_delay_alu instid0(VALU_DEP_3)
	v_dual_sub_f32 v108, v108, v165 :: v_dual_sub_f32 v111, v111, v171
	v_add_f32_e32 v100, v100, v148
	v_fma_f32 v166, 0x3fb8aa3b, v57, -v109
	v_rndne_f32_e32 v167, v109
	v_dual_fmac_f32 v164, 0x32a5705f, v8 :: v_dual_add_f32 v101, v101, v150
	v_dual_fmac_f32 v174, 0x32a5705f, v89 :: v_dual_add_f32 v107, v107, v162
	v_exp_f32_e32 v98, v98
	v_ldexp_f32 v95, v95, v141
	v_ldexp_f32 v105, v105, v159
	v_cndmask_b32_e32 v94, 0, v94, vcc_lo
	v_cmp_ngt_f32_e32 vcc_lo, 0xc2ce8ed0, v2
	v_rndne_f32_e32 v175, v113
	v_fma_f32 v176, 0x3fb8aa3b, v11, -v114
	v_rndne_f32_e32 v179, v115
	v_cvt_i32_f32_e32 v145, v145
	s_delay_alu instid0(VALU_DEP_4) | instskip(SKIP_1) | instid1(VALU_DEP_4)
	v_dual_fmac_f32 v166, 0x32a5705f, v57 :: v_dual_sub_f32 v113, v113, v175
	v_dual_sub_f32 v109, v109, v167 :: v_dual_fmac_f32 v168, 0x32a5705f, v9
	v_dual_sub_f32 v115, v115, v179 :: v_dual_add_f32 v108, v108, v164
	v_cndmask_b32_e32 v95, 0, v95, vcc_lo
	v_exp_f32_e32 v99, v99
	v_exp_f32_e32 v107, v107
	v_ldexp_f32 v97, v97, v143
	v_cmp_ngt_f32_e32 vcc_lo, 0xc2ce8ed0, v45
	v_cvt_i32_f32_e32 v147, v147
	v_cvt_i32_f32_e32 v163, v163
	v_dual_fmac_f32 v176, 0x32a5705f, v11 :: v_dual_add_f32 v109, v109, v166
	v_dual_add_f32 v110, v110, v168 :: v_dual_cndmask_b32 v97, 0, v97
	v_exp_f32_e32 v100, v100
	v_ldexp_f32 v98, v98, v145
	v_cmp_ngt_f32_e32 vcc_lo, 0xc2ce8ed0, v3
	v_rndne_f32_e32 v177, v114
	v_cvt_i32_f32_e32 v149, v149
	v_exp_f32_e32 v101, v101
	v_exp_f32_e32 v109, v109
	v_ldexp_f32 v99, v99, v147
	v_ldexp_f32 v107, v107, v163
	v_cndmask_b32_e32 v98, 0, v98, vcc_lo
	v_cmp_ngt_f32_e32 vcc_lo, 0xc2ce8ed0, v47
	v_cvt_i32_f32_e32 v151, v151
	v_cvt_i32_f32_e32 v167, v167
	v_dual_sub_f32 v114, v114, v177 :: v_dual_add_f32 v111, v111, v170
	v_dual_add_f32 v112, v112, v172 :: v_dual_cndmask_b32 v99, 0, v99
	v_exp_f32_e32 v102, v102
	v_ldexp_f32 v100, v100, v149
	v_cmp_ngt_f32_e32 vcc_lo, 0xc2ce8ed0, v4
	v_cvt_i32_f32_e32 v153, v153
	v_dual_add_f32 v104, v104, v156 :: v_dual_add_f32 v113, v113, v174
	v_exp_f32_e32 v111, v111
	v_ldexp_f32 v101, v101, v151
	v_ldexp_f32 v109, v109, v167
	v_cndmask_b32_e32 v100, 0, v100, vcc_lo
	v_cmp_ngt_f32_e32 vcc_lo, 0xc2ce8ed0, v49
	v_cvt_i32_f32_e32 v171, v171
	v_add_f32_e32 v114, v114, v176
	v_exp_f32_e32 v104, v104
	v_ldexp_f32 v102, v102, v153
	v_cndmask_b32_e32 v101, 0, v101, vcc_lo
	v_cmp_ngt_f32_e32 vcc_lo, 0xc2ce8ed0, v5
	v_cvt_i32_f32_e32 v157, v157
	v_dual_add_f32 v106, v106, v160 :: v_dual_add_f32 v115, v115, v178
	v_exp_f32_e32 v113, v113
	v_ldexp_f32 v111, v111, v171
	v_cndmask_b32_e32 v102, 0, v102, vcc_lo
	v_cmp_ngt_f32_e32 vcc_lo, 0xc2ce8ed0, v51
	v_cvt_i32_f32_e32 v175, v175
	v_exp_f32_e32 v106, v106
	v_ldexp_f32 v104, v104, v157
	v_cvt_i32_f32_e32 v161, v161
	v_cndmask_b32_e32 v103, 0, v103, vcc_lo
	v_cmp_ngt_f32_e32 vcc_lo, 0xc2ce8ed0, v6
	v_ldexp_f32 v113, v113, v175
	v_exp_f32_e32 v108, v108
	v_cvt_i32_f32_e32 v165, v165
	v_exp_f32_e32 v110, v110
	v_cndmask_b32_e32 v104, 0, v104, vcc_lo
	v_cmp_ngt_f32_e32 vcc_lo, 0xc2ce8ed0, v53
	v_ldexp_f32 v106, v106, v161
	v_cvt_i32_f32_e32 v169, v169
	v_exp_f32_e32 v112, v112
	v_cvt_i32_f32_e32 v173, v173
	v_cndmask_b32_e32 v105, 0, v105, vcc_lo
	v_cmp_ngt_f32_e32 vcc_lo, 0xc2ce8ed0, v7
	v_ldexp_f32 v108, v108, v165
	v_ldexp_f32 v110, v110, v169
	v_exp_f32_e32 v114, v114
	v_cvt_i32_f32_e32 v177, v177
	v_cndmask_b32_e32 v106, 0, v106, vcc_lo
	v_cmp_ngt_f32_e32 vcc_lo, 0xc2ce8ed0, v55
	v_ldexp_f32 v112, v112, v173
	v_exp_f32_e32 v115, v115
	v_cndmask_b32_e32 v107, 0, v107, vcc_lo
	v_cmp_ngt_f32_e32 vcc_lo, 0xc2ce8ed0, v8
	v_cndmask_b32_e32 v108, 0, v108, vcc_lo
	v_cmp_ngt_f32_e32 vcc_lo, 0xc2ce8ed0, v57
	;; [unrolled: 2-line block ×6, first 2 shown]
	v_cndmask_b32_e32 v113, 0, v113, vcc_lo
	v_cmp_nlt_f32_e32 vcc_lo, 0x42b17218, v0
	v_cndmask_b32_e32 v0, 0x7f800000, v91, vcc_lo
	v_cmp_nlt_f32_e32 vcc_lo, 0x42b17218, v41
	;; [unrolled: 2-line block ×9, first 2 shown]
	s_delay_alu instid0(VALU_DEP_2) | instskip(SKIP_2) | instid1(VALU_DEP_3)
	v_dual_fmac_f32 v47, v56, v3 :: v_dual_cndmask_b32 v4, 0x7f800000, v100
	v_cmp_nlt_f32_e32 vcc_lo, 0x42b17218, v49
	v_cvt_f16_f32_e32 v3, v3
	v_dual_mov_b32 v56, v47 :: v_dual_cndmask_b32 v49, 0x7f800000, v101
	v_cmp_nlt_f32_e32 vcc_lo, 0x42b17218, v5
	s_delay_alu instid0(VALU_DEP_3) | instskip(SKIP_4) | instid1(VALU_DEP_2)
	v_pk_mul_f16 v132, v132, v3 op_sel_hi:[1,0]
	v_cndmask_b32_e32 v5, 0x7f800000, v102, vcc_lo
	v_cmp_nlt_f32_e32 vcc_lo, 0x42b17218, v51
	v_cndmask_b32_e32 v51, 0x7f800000, v103, vcc_lo
	v_cmp_nlt_f32_e32 vcc_lo, 0x42b17218, v6
	v_dual_fmac_f32 v51, v52, v5 :: v_dual_cndmask_b32 v6, 0x7f800000, v104
	v_cmp_nlt_f32_e32 vcc_lo, 0x42b17218, v53
	v_fmac_f32_e32 v45, v58, v2
	v_cvt_f16_f32_e32 v2, v2
	v_cvt_f16_f32_e32 v5, v5
	v_cndmask_b32_e32 v53, 0x7f800000, v105, vcc_lo
	v_cmp_nlt_f32_e32 vcc_lo, 0x42b17218, v7
	s_delay_alu instid0(VALU_DEP_4)
	v_pk_mul_f16 v133, v133, v2 op_sel_hi:[1,0]
	v_cvt_i32_f32_e32 v2, v179
	v_pk_mul_f16 v130, v130, v5 op_sel_hi:[1,0]
	v_fmac_f32_e32 v53, v50, v6
	v_fmac_f32_e32 v49, v54, v4
	v_fmac_f32_e32 v41, v62, v0
	v_cndmask_b32_e32 v7, 0x7f800000, v106, vcc_lo
	v_cmp_nlt_f32_e32 vcc_lo, 0x42b17218, v55
	v_cvt_f16_f32_e32 v0, v0
	v_cvt_f16_f32_e32 v4, v4
	v_ldexp_f32 v2, v115, v2
	v_dual_mov_b32 v62, v41 :: v_dual_cndmask_b32 v55, 0x7f800000, v107
	s_delay_alu instid0(VALU_DEP_4)
	v_pk_mul_f16 v137, v137, v0 op_sel_hi:[1,0]
	v_mul_f32_e32 v0, 0x3fb8aa3b, v12
	v_cmp_nlt_f32_e32 vcc_lo, 0x42b17218, v8
	v_pk_mul_f16 v131, v131, v4 op_sel_hi:[1,0]
	v_fmac_f32_e32 v55, v48, v7
	v_cvt_f16_f32_e32 v6, v6
	v_rndne_f32_e32 v4, v0
	v_fma_f32 v3, 0x3fb8aa3b, v12, -v0
	v_cvt_f16_f32_e32 v7, v7
	v_mov_b32_e32 v58, v45
	v_pk_mul_f16 v129, v129, v6 op_sel_hi:[1,0]
	v_sub_f32_e32 v0, v0, v4
	v_max_f32_e32 v6, v13, v13
	v_dual_fmac_f32 v43, v60, v1 :: v_dual_cndmask_b32 v8, 0x7f800000, v108
	v_cmp_nlt_f32_e32 vcc_lo, 0x42b17218, v57
	v_cvt_f16_f32_e32 v1, v1
	v_cvt_i32_f32_e32 v4, v4
	v_pk_mul_f16 v128, v128, v7 op_sel_hi:[1,0]
	v_dual_mov_b32 v60, v43 :: v_dual_cndmask_b32 v57, 0x7f800000, v109
	v_cmp_nlt_f32_e32 vcc_lo, 0x42b17218, v9
	v_pk_mul_f16 v134, v134, v1 op_sel_hi:[1,0]
	v_ldexp_f32 v1, v114, v177
	v_mov_b32_e32 v54, v49
	v_dual_mov_b32 v50, v53 :: v_dual_cndmask_b32 v9, 0x7f800000, v110
	v_cmp_nlt_f32_e32 vcc_lo, 0x42b17218, v59
	v_dual_mov_b32 v48, v55 :: v_dual_cndmask_b32 v59, 0x7f800000, v111
	v_cmp_nlt_f32_e32 vcc_lo, 0x42b17218, v10
	s_delay_alu instid0(VALU_DEP_2) | instskip(SKIP_4) | instid1(VALU_DEP_3)
	v_dual_fmac_f32 v59, v44, v9 :: v_dual_cndmask_b32 v10, 0x7f800000, v112
	v_cmp_nlt_f32_e32 vcc_lo, 0x42b17218, v89
	v_cvt_f16_f32_e32 v9, v9
	v_cndmask_b32_e32 v89, 0x7f800000, v113, vcc_lo
	v_cmp_ngt_f32_e32 vcc_lo, 0xc2ce8ed0, v11
	v_pk_mul_f16 v126, v126, v9 op_sel_hi:[1,0]
	s_delay_alu instid0(VALU_DEP_3) | instskip(SKIP_4) | instid1(VALU_DEP_4)
	v_fmac_f32_e32 v89, v29, v10
	v_cndmask_b32_e32 v1, 0, v1, vcc_lo
	v_cmp_nlt_f32_e32 vcc_lo, 0x42b17218, v11
	v_max_f32_e32 v29, v6, v39
	v_cvt_f16_f32_e32 v44, v10
	v_dual_mov_b32 v52, v51 :: v_dual_cndmask_b32 v1, 0x7f800000, v1
	v_cmp_ngt_f32_e32 vcc_lo, 0xc2ce8ed0, v90
	v_fmac_f32_e32 v57, v46, v8
	v_cvt_f16_f32_e32 v8, v8
	v_pk_mul_f16 v125, v125, v44 op_sel_hi:[1,0]
	v_cvt_f16_f32_e32 v6, v1
	v_cndmask_b32_e32 v2, 0, v2, vcc_lo
	v_cmp_nlt_f32_e32 vcc_lo, 0x42b17218, v90
	v_sub_f32_e32 v5, v30, v28
	v_pk_mul_f16 v127, v127, v8 op_sel_hi:[1,0]
	v_sub_f32_e32 v8, v13, v29
	v_pk_mul_f16 v124, v124, v6 op_sel_hi:[1,0]
	v_cndmask_b32_e32 v90, 0x7f800000, v2, vcc_lo
	v_fmac_f32_e32 v3, 0x32a5705f, v12
	v_cmp_ngt_f32_e32 vcc_lo, 0xc2ce8ed0, v12
	v_mov_b32_e32 v46, v57
	v_mov_b32_e32 v44, v59
	v_fmac_f32_e32 v90, v42, v1
	v_add_f32_e32 v0, v0, v3
	s_delay_alu instid0(VALU_DEP_2) | instskip(NEXT) | instid1(VALU_DEP_2)
	v_mov_b32_e32 v42, v90
	v_exp_f32_e32 v0, v0
	s_waitcnt_depctr 0xfff
	v_ldexp_f32 v0, v0, v4
	s_delay_alu instid0(VALU_DEP_1) | instskip(NEXT) | instid1(VALU_DEP_1)
	v_dual_mul_f32 v3, 0x3fb8aa3b, v5 :: v_dual_cndmask_b32 v0, 0, v0
	v_fma_f32 v2, 0x3fb8aa3b, v5, -v3
	v_rndne_f32_e32 v7, v3
	v_cmp_nlt_f32_e32 vcc_lo, 0x42b17218, v12
	v_max_f32_e32 v12, v14, v14
	s_delay_alu instid0(VALU_DEP_3) | instskip(SKIP_2) | instid1(VALU_DEP_4)
	v_dual_fmac_f32 v2, 0x32a5705f, v5 :: v_dual_sub_f32 v3, v3, v7
	v_cndmask_b32_e32 v0, 0x7f800000, v0, vcc_lo
	v_cvt_i32_f32_e32 v7, v7
	v_max_f32_e32 v30, v12, v37
	v_cmp_ngt_f32_e32 vcc_lo, 0xc2ce8ed0, v5
	v_dual_add_f32 v1, v3, v2 :: v_dual_mul_f32 v2, 0x3fb8aa3b, v8
	s_delay_alu instid0(VALU_DEP_1) | instskip(SKIP_1) | instid1(VALU_DEP_2)
	v_fma_f32 v4, 0x3fb8aa3b, v8, -v2
	v_rndne_f32_e32 v6, v2
	v_fmac_f32_e32 v4, 0x32a5705f, v8
	s_delay_alu instid0(VALU_DEP_4) | instskip(NEXT) | instid1(VALU_DEP_2)
	v_exp_f32_e32 v1, v1
	v_sub_f32_e32 v2, v2, v6
	s_delay_alu instid0(VALU_DEP_1)
	v_add_f32_e32 v2, v2, v4
	s_waitcnt_depctr 0xfff
	v_ldexp_f32 v1, v1, v7
	v_exp_f32_e32 v2, v2
	v_sub_f32_e32 v7, v14, v30
	v_sub_f32_e32 v3, v31, v29
	s_delay_alu instid0(VALU_DEP_3) | instskip(SKIP_3) | instid1(VALU_DEP_4)
	v_cndmask_b32_e32 v1, 0, v1, vcc_lo
	v_cmp_nlt_f32_e32 vcc_lo, 0x42b17218, v5
	v_cvt_i32_f32_e32 v5, v6
	v_mul_f32_e32 v6, 0x3fb8aa3b, v7
	v_cndmask_b32_e32 v37, 0x7f800000, v1, vcc_lo
	v_cvt_f16_f32_e32 v1, v0
	v_cmp_ngt_f32_e32 vcc_lo, 0xc2ce8ed0, v8
	s_delay_alu instid0(VALU_DEP_3) | instskip(SKIP_3) | instid1(VALU_DEP_3)
	v_fmac_f32_e32 v37, v40, v0
	v_ldexp_f32 v0, v2, v5
	v_mul_f32_e32 v9, 0x3fb8aa3b, v3
	v_pk_mul_f16 v123, v123, v1 op_sel_hi:[1,0]
	v_cndmask_b32_e32 v0, 0, v0, vcc_lo
	s_delay_alu instid0(VALU_DEP_3) | instskip(SKIP_2) | instid1(VALU_DEP_2)
	v_fma_f32 v10, 0x3fb8aa3b, v3, -v9
	v_rndne_f32_e32 v11, v9
	v_cmp_nlt_f32_e32 vcc_lo, 0x42b17218, v8
	v_sub_f32_e32 v4, v9, v11
	v_cndmask_b32_e32 v0, 0x7f800000, v0, vcc_lo
	v_cmp_ngt_f32_e32 vcc_lo, 0xc2ce8ed0, v3
	v_fmac_f32_e32 v10, 0x32a5705f, v3
	v_cvt_i32_f32_e32 v1, v11
	v_fma_f32 v2, 0x3fb8aa3b, v7, -v6
	v_rndne_f32_e32 v9, v6
	s_delay_alu instid0(VALU_DEP_4) | instskip(NEXT) | instid1(VALU_DEP_3)
	v_add_f32_e32 v4, v4, v10
	v_fmac_f32_e32 v2, 0x32a5705f, v7
	s_delay_alu instid0(VALU_DEP_2) | instskip(SKIP_4) | instid1(VALU_DEP_2)
	v_exp_f32_e32 v4, v4
	s_waitcnt_depctr 0xfff
	v_ldexp_f32 v1, v4, v1
	v_sub_f32_e32 v4, v6, v9
	v_cvt_i32_f32_e32 v9, v9
	v_dual_cndmask_b32 v1, 0, v1 :: v_dual_add_f32 v2, v4, v2
	v_sub_f32_e32 v4, v32, v30
	v_cmp_nlt_f32_e32 vcc_lo, 0x42b17218, v3
	v_max_f32_e32 v5, v15, v15
	s_delay_alu instid0(VALU_DEP_4) | instskip(NEXT) | instid1(VALU_DEP_1)
	v_exp_f32_e32 v2, v2
	v_dual_cndmask_b32 v32, 0x7f800000, v1 :: v_dual_max_f32 v31, v5, v35
	v_cmp_ngt_f32_e32 vcc_lo, 0xc2ce8ed0, v7
	s_delay_alu instid0(VALU_DEP_2)
	v_fmac_f32_e32 v32, v38, v0
	v_cvt_f16_f32_e32 v0, v0
	s_waitcnt_depctr 0xfff
	v_ldexp_f32 v2, v2, v9
	v_dual_mul_f32 v3, 0x3fb8aa3b, v4 :: v_dual_mov_b32 v38, v32
	v_pk_mul_f16 v122, v122, v0 op_sel_hi:[1,0]
	s_delay_alu instid0(VALU_DEP_3) | instskip(NEXT) | instid1(VALU_DEP_3)
	v_cndmask_b32_e32 v2, 0, v2, vcc_lo
	v_fma_f32 v12, 0x3fb8aa3b, v4, -v3
	v_sub_f32_e32 v5, v15, v31
	v_rndne_f32_e32 v13, v3
	v_cmp_nlt_f32_e32 vcc_lo, 0x42b17218, v7
	s_delay_alu instid0(VALU_DEP_4) | instskip(NEXT) | instid1(VALU_DEP_4)
	v_fmac_f32_e32 v12, 0x32a5705f, v4
	v_mul_f32_e32 v6, 0x3fb8aa3b, v5
	s_delay_alu instid0(VALU_DEP_4) | instskip(SKIP_2) | instid1(VALU_DEP_4)
	v_dual_sub_f32 v3, v3, v13 :: v_dual_cndmask_b32 v2, 0x7f800000, v2
	v_cmp_ngt_f32_e32 vcc_lo, 0xc2ce8ed0, v5
	v_mov_b32_e32 v40, v37
	v_fma_f32 v8, 0x3fb8aa3b, v5, -v6
	v_rndne_f32_e32 v10, v6
	s_delay_alu instid0(VALU_DEP_2) | instskip(NEXT) | instid1(VALU_DEP_2)
	v_dual_add_f32 v3, v3, v12 :: v_dual_fmac_f32 v8, 0x32a5705f, v5
	v_dual_sub_f32 v6, v6, v10 :: v_dual_sub_f32 v1, v33, v31
	v_cvt_i32_f32_e32 v9, v10
	s_delay_alu instid0(VALU_DEP_3) | instskip(SKIP_1) | instid1(VALU_DEP_3)
	v_exp_f32_e32 v3, v3
	v_cvt_i32_f32_e32 v10, v13
	v_add_f32_e32 v6, v6, v8
	s_delay_alu instid0(VALU_DEP_1) | instskip(SKIP_3) | instid1(VALU_DEP_1)
	v_exp_f32_e32 v6, v6
	s_waitcnt_depctr 0xfff
	v_ldexp_f32 v3, v3, v10
	v_ldexp_f32 v6, v6, v9
	v_dual_mul_f32 v11, 0x3fb8aa3b, v1 :: v_dual_cndmask_b32 v6, 0, v6
	s_delay_alu instid0(VALU_DEP_1) | instskip(SKIP_2) | instid1(VALU_DEP_3)
	v_fma_f32 v14, 0x3fb8aa3b, v1, -v11
	v_rndne_f32_e32 v15, v11
	v_cmp_ngt_f32_e32 vcc_lo, 0xc2ce8ed0, v4
	v_fmac_f32_e32 v14, 0x32a5705f, v1
	s_delay_alu instid0(VALU_DEP_3) | instskip(SKIP_3) | instid1(VALU_DEP_4)
	v_sub_f32_e32 v8, v11, v15
	v_cvt_i32_f32_e32 v9, v15
	v_cndmask_b32_e32 v3, 0, v3, vcc_lo
	v_cmp_nlt_f32_e32 vcc_lo, 0x42b17218, v5
	v_add_f32_e32 v8, v8, v14
	v_cndmask_b32_e32 v5, 0x7f800000, v6, vcc_lo
	v_cmp_ngt_f32_e32 vcc_lo, 0xc2ce8ed0, v1
	s_delay_alu instid0(VALU_DEP_3) | instskip(SKIP_2) | instid1(VALU_DEP_1)
	v_exp_f32_e32 v8, v8
	s_waitcnt_depctr 0xfff
	v_ldexp_f32 v7, v8, v9
	v_cndmask_b32_e32 v6, 0, v7, vcc_lo
	v_cmp_nlt_f32_e32 vcc_lo, 0x42b17218, v4
	v_cndmask_b32_e32 v33, 0x7f800000, v3, vcc_lo
	v_cmp_nlt_f32_e32 vcc_lo, 0x42b17218, v1
	v_cvt_f16_f32_e32 v3, v2
	v_cvt_f16_f32_e32 v1, v5
	s_delay_alu instid0(VALU_DEP_4) | instskip(SKIP_1) | instid1(VALU_DEP_4)
	v_fmac_f32_e32 v33, v36, v2
	v_cndmask_b32_e32 v35, 0x7f800000, v6, vcc_lo
	v_pk_mul_f16 v121, v121, v3 op_sel_hi:[1,0]
	s_delay_alu instid0(VALU_DEP_4) | instskip(NEXT) | instid1(VALU_DEP_3)
	v_pk_mul_f16 v120, v120, v1 op_sel_hi:[1,0]
	v_dual_mov_b32 v36, v33 :: v_dual_fmac_f32 v35, v34, v5
	v_mov_b32_e32 v0, v16
	v_dual_mov_b32 v8, v24 :: v_dual_mov_b32 v1, v17
	v_mov_b32_e32 v10, v26
	v_dual_mov_b32 v2, v18 :: v_dual_mov_b32 v3, v19
	;; [unrolled: 2-line block ×4, first 2 shown]
	v_mov_b32_e32 v9, v25
	v_mov_b32_e32 v11, v27
	;; [unrolled: 1-line block ×4, first 2 shown]
	v_dual_mov_b32 v29, v89 :: v_dual_mov_b32 v34, v35
.LBB17_13:
	s_mov_b32 s3, exec_lo
	v_cmpx_gt_i32_e64 s6, v88
	s_cbranch_execz .LBB17_90
; %bb.14:
	s_load_b32 s1, s[0:1], 0xd4
	v_mov_b32_e32 v18, 1.0
	s_waitcnt lgkmcnt(0)
	s_cmp_lg_u32 s1, 1
	s_cselect_b32 s5, -1, 0
	s_cmp_eq_u32 s1, 1
	s_cselect_b32 s4, -1, 0
	s_and_b32 vcc_lo, exec_lo, s5
	s_cbranch_vccnz .LBB17_16
; %bb.15:
	v_div_scale_f32 v16, null, v62, v62, 1.0
	s_delay_alu instid0(VALU_DEP_1) | instskip(SKIP_2) | instid1(VALU_DEP_1)
	v_rcp_f32_e32 v17, v16
	s_waitcnt_depctr 0xfff
	v_fma_f32 v18, -v16, v17, 1.0
	v_fmac_f32_e32 v17, v18, v17
	v_div_scale_f32 v18, vcc_lo, 1.0, v62, 1.0
	s_delay_alu instid0(VALU_DEP_1) | instskip(NEXT) | instid1(VALU_DEP_1)
	v_mul_f32_e32 v19, v18, v17
	v_fma_f32 v20, -v16, v19, v18
	s_delay_alu instid0(VALU_DEP_1) | instskip(NEXT) | instid1(VALU_DEP_1)
	v_fmac_f32_e32 v19, v20, v17
	v_fma_f32 v16, -v16, v19, v18
	s_delay_alu instid0(VALU_DEP_1) | instskip(NEXT) | instid1(VALU_DEP_1)
	v_div_fmas_f32 v16, v16, v17, v19
	v_div_fixup_f32 v18, v16, v62, 1.0
.LBB17_16:
	s_mul_i32 s3, s12, s6
	v_cvt_f32_f16_e64 v22, v137
	s_add_i32 s3, s3, s15
	v_cmp_eq_u32_e32 vcc_lo, 0, v61
	v_dual_mov_b32 v21, 0 :: v_dual_add_nc_u32 v16, s3, v87
	s_and_b32 s5, vcc_lo, s5
	s_delay_alu instid0(VALU_DEP_1) | instskip(NEXT) | instid1(VALU_DEP_1)
	v_mul_lo_u32 v19, v16, s7
	v_add_nc_u32_e32 v20, s2, v19
	s_delay_alu instid0(VALU_DEP_1) | instskip(SKIP_1) | instid1(VALU_DEP_1)
	v_mad_u64_u32 v[16:17], null, s1, v20, s[14:15]
	v_lshrrev_b32_e32 v17, 16, v137
	v_cvt_f32_f16_e32 v23, v17
	v_mul_f32_e32 v17, v18, v22
	s_delay_alu instid0(VALU_DEP_4) | instskip(NEXT) | instid1(VALU_DEP_3)
	v_lshl_add_u32 v20, v16, 6, v96
	v_mul_f32_e32 v18, v18, v23
	s_delay_alu instid0(VALU_DEP_2) | instskip(NEXT) | instid1(VALU_DEP_1)
	v_lshlrev_b64 v[20:21], 2, v[20:21]
	v_add_co_u32 v20, s0, s28, v20
	s_delay_alu instid0(VALU_DEP_1)
	v_add_co_ci_u32_e64 v21, s0, s29, v21, s0
	global_store_b64 v[20:21], v[17:18], off
	s_and_saveexec_b32 s0, s5
	s_cbranch_execz .LBB17_18
; %bb.17:
	v_ashrrev_i32_e32 v17, 31, v16
	v_mov_b32_e32 v61, v0
	s_delay_alu instid0(VALU_DEP_2) | instskip(NEXT) | instid1(VALU_DEP_1)
	v_lshlrev_b64 v[16:17], 3, v[16:17]
	v_add_co_u32 v16, vcc_lo, s30, v16
	s_delay_alu instid0(VALU_DEP_2)
	v_add_co_ci_u32_e32 v17, vcc_lo, s31, v17, vcc_lo
	global_store_b64 v[16:17], v[61:62], off
.LBB17_18:
	s_or_b32 exec_lo, exec_lo, s0
	v_cndmask_b32_e64 v18, 0, 1, s4
	v_mov_b32_e32 v0, 1.0
	s_and_not1_b32 vcc_lo, exec_lo, s4
	s_cbranch_vccnz .LBB17_20
; %bb.19:
	v_div_scale_f32 v0, null, v60, v60, 1.0
	s_delay_alu instid0(VALU_DEP_1) | instskip(SKIP_2) | instid1(VALU_DEP_1)
	v_rcp_f32_e32 v16, v0
	s_waitcnt_depctr 0xfff
	v_fma_f32 v17, -v0, v16, 1.0
	v_fmac_f32_e32 v16, v17, v16
	v_div_scale_f32 v17, vcc_lo, 1.0, v60, 1.0
	s_delay_alu instid0(VALU_DEP_1) | instskip(NEXT) | instid1(VALU_DEP_1)
	v_mul_f32_e32 v20, v17, v16
	v_fma_f32 v21, -v0, v20, v17
	s_delay_alu instid0(VALU_DEP_1) | instskip(NEXT) | instid1(VALU_DEP_1)
	v_fmac_f32_e32 v20, v21, v16
	v_fma_f32 v0, -v0, v20, v17
	s_delay_alu instid0(VALU_DEP_1) | instskip(NEXT) | instid1(VALU_DEP_1)
	v_div_fmas_f32 v0, v0, v16, v20
	v_div_fixup_f32 v0, v0, v60, 1.0
.LBB17_20:
	s_add_i32 s8, s2, 1
	v_cvt_f32_f16_e64 v22, v134
	v_dual_mov_b32 v21, 0 :: v_dual_add_nc_u32 v20, s8, v19
	s_delay_alu instid0(VALU_DEP_2) | instskip(NEXT) | instid1(VALU_DEP_2)
	v_mul_f32_e32 v22, v0, v22
	v_mad_u64_u32 v[16:17], null, s1, v20, s[14:15]
	v_lshrrev_b32_e32 v17, 16, v134
	s_delay_alu instid0(VALU_DEP_1) | instskip(NEXT) | instid1(VALU_DEP_3)
	v_cvt_f32_f16_e32 v17, v17
	v_lshl_add_u32 v20, v16, 6, v96
	s_delay_alu instid0(VALU_DEP_2) | instskip(NEXT) | instid1(VALU_DEP_2)
	v_mul_f32_e32 v23, v0, v17
	v_lshlrev_b64 v[20:21], 2, v[20:21]
	s_delay_alu instid0(VALU_DEP_1) | instskip(NEXT) | instid1(VALU_DEP_2)
	v_add_co_u32 v20, vcc_lo, s28, v20
	v_add_co_ci_u32_e32 v21, vcc_lo, s29, v21, vcc_lo
	global_store_b64 v[20:21], v[22:23], off
	s_and_saveexec_b32 s0, s5
	s_cbranch_execz .LBB17_22
; %bb.21:
	v_ashrrev_i32_e32 v17, 31, v16
	v_mov_b32_e32 v59, v1
	s_delay_alu instid0(VALU_DEP_2) | instskip(NEXT) | instid1(VALU_DEP_1)
	v_lshlrev_b64 v[16:17], 3, v[16:17]
	v_add_co_u32 v16, vcc_lo, s30, v16
	s_delay_alu instid0(VALU_DEP_2)
	v_add_co_ci_u32_e32 v17, vcc_lo, s31, v17, vcc_lo
	global_store_b64 v[16:17], v[59:60], off
.LBB17_22:
	s_or_b32 exec_lo, exec_lo, s0
	v_cmp_ne_u32_e32 vcc_lo, 1, v18
	v_mov_b32_e32 v16, 1.0
	s_cbranch_vccnz .LBB17_24
; %bb.23:
	v_div_scale_f32 v0, null, v58, v58, 1.0
	s_delay_alu instid0(VALU_DEP_1) | instskip(SKIP_2) | instid1(VALU_DEP_1)
	v_rcp_f32_e32 v1, v0
	s_waitcnt_depctr 0xfff
	v_fma_f32 v16, -v0, v1, 1.0
	v_fmac_f32_e32 v1, v16, v1
	v_div_scale_f32 v16, vcc_lo, 1.0, v58, 1.0
	s_delay_alu instid0(VALU_DEP_1) | instskip(NEXT) | instid1(VALU_DEP_1)
	v_mul_f32_e32 v17, v16, v1
	v_fma_f32 v20, -v0, v17, v16
	s_delay_alu instid0(VALU_DEP_1) | instskip(NEXT) | instid1(VALU_DEP_1)
	v_fmac_f32_e32 v17, v20, v1
	v_fma_f32 v0, -v0, v17, v16
	s_delay_alu instid0(VALU_DEP_1) | instskip(NEXT) | instid1(VALU_DEP_1)
	v_div_fmas_f32 v0, v0, v1, v17
	v_div_fixup_f32 v16, v0, v58, 1.0
.LBB17_24:
	s_add_i32 s4, s2, 2
	s_delay_alu instid0(SALU_CYCLE_1) | instskip(NEXT) | instid1(VALU_DEP_1)
	v_add_nc_u32_e32 v17, s4, v19
	v_mad_u64_u32 v[0:1], null, s1, v17, s[14:15]
	v_cvt_f32_f16_e64 v17, v133
	v_mov_b32_e32 v21, 0
	v_lshrrev_b32_e32 v1, 16, v133
	s_delay_alu instid0(VALU_DEP_3) | instskip(SKIP_1) | instid1(VALU_DEP_3)
	v_mul_f32_e32 v22, v16, v17
	v_lshl_add_u32 v20, v0, 6, v96
	v_cvt_f32_f16_e32 v1, v1
	s_delay_alu instid0(VALU_DEP_2) | instskip(NEXT) | instid1(VALU_DEP_2)
	v_lshlrev_b64 v[20:21], 2, v[20:21]
	v_mul_f32_e32 v23, v16, v1
	s_delay_alu instid0(VALU_DEP_2) | instskip(NEXT) | instid1(VALU_DEP_3)
	v_add_co_u32 v16, vcc_lo, s28, v20
	v_add_co_ci_u32_e32 v17, vcc_lo, s29, v21, vcc_lo
	global_store_b64 v[16:17], v[22:23], off
	s_and_saveexec_b32 s0, s5
	s_cbranch_execz .LBB17_26
; %bb.25:
	v_ashrrev_i32_e32 v1, 31, v0
	v_mov_b32_e32 v57, v2
	s_delay_alu instid0(VALU_DEP_2) | instskip(NEXT) | instid1(VALU_DEP_1)
	v_lshlrev_b64 v[0:1], 3, v[0:1]
	v_add_co_u32 v0, vcc_lo, s30, v0
	s_delay_alu instid0(VALU_DEP_2)
	v_add_co_ci_u32_e32 v1, vcc_lo, s31, v1, vcc_lo
	global_store_b64 v[0:1], v[57:58], off
.LBB17_26:
	s_or_b32 exec_lo, exec_lo, s0
	v_cmp_ne_u32_e32 vcc_lo, 1, v18
	v_mov_b32_e32 v2, 1.0
	s_cbranch_vccnz .LBB17_28
; %bb.27:
	v_div_scale_f32 v0, null, v56, v56, 1.0
	s_delay_alu instid0(VALU_DEP_1) | instskip(SKIP_2) | instid1(VALU_DEP_1)
	v_rcp_f32_e32 v1, v0
	s_waitcnt_depctr 0xfff
	v_fma_f32 v2, -v0, v1, 1.0
	v_fmac_f32_e32 v1, v2, v1
	v_div_scale_f32 v2, vcc_lo, 1.0, v56, 1.0
	s_delay_alu instid0(VALU_DEP_1) | instskip(NEXT) | instid1(VALU_DEP_1)
	v_mul_f32_e32 v16, v2, v1
	v_fma_f32 v17, -v0, v16, v2
	s_delay_alu instid0(VALU_DEP_1) | instskip(NEXT) | instid1(VALU_DEP_1)
	v_fmac_f32_e32 v16, v17, v1
	v_fma_f32 v0, -v0, v16, v2
	s_delay_alu instid0(VALU_DEP_1) | instskip(NEXT) | instid1(VALU_DEP_1)
	v_div_fmas_f32 v0, v0, v1, v16
	v_div_fixup_f32 v2, v0, v56, 1.0
.LBB17_28:
	s_add_i32 s0, s2, 3
	s_delay_alu instid0(SALU_CYCLE_1) | instskip(SKIP_1) | instid1(VALU_DEP_2)
	v_dual_mov_b32 v17, 0 :: v_dual_add_nc_u32 v16, s0, v19
	v_cvt_f32_f16_e64 v19, v132
	v_mad_u64_u32 v[0:1], null, s1, v16, s[14:15]
	v_lshrrev_b32_e32 v1, 16, v132
	s_delay_alu instid0(VALU_DEP_1) | instskip(NEXT) | instid1(VALU_DEP_3)
	v_cvt_f32_f16_e32 v20, v1
	v_lshl_add_u32 v16, v0, 6, v96
	v_mul_f32_e32 v1, v2, v19
	s_delay_alu instid0(VALU_DEP_3) | instskip(NEXT) | instid1(VALU_DEP_3)
	v_mul_f32_e32 v2, v2, v20
	v_lshlrev_b64 v[16:17], 2, v[16:17]
	s_delay_alu instid0(VALU_DEP_1) | instskip(NEXT) | instid1(VALU_DEP_2)
	v_add_co_u32 v16, vcc_lo, s28, v16
	v_add_co_ci_u32_e32 v17, vcc_lo, s29, v17, vcc_lo
	global_store_b64 v[16:17], v[1:2], off
	s_and_saveexec_b32 s9, s5
	s_cbranch_execz .LBB17_30
; %bb.29:
	v_ashrrev_i32_e32 v1, 31, v0
	v_mov_b32_e32 v55, v3
	s_delay_alu instid0(VALU_DEP_2) | instskip(NEXT) | instid1(VALU_DEP_1)
	v_lshlrev_b64 v[0:1], 3, v[0:1]
	v_add_co_u32 v0, vcc_lo, s30, v0
	s_delay_alu instid0(VALU_DEP_2)
	v_add_co_ci_u32_e32 v1, vcc_lo, s31, v1, vcc_lo
	global_store_b64 v[0:1], v[55:56], off
.LBB17_30:
	s_or_b32 exec_lo, exec_lo, s9
	v_cmp_gt_i32_e32 vcc_lo, s6, v86
	s_and_b32 exec_lo, exec_lo, vcc_lo
	s_cbranch_execz .LBB17_90
; %bb.31:
	v_cmp_ne_u32_e32 vcc_lo, 1, v18
	v_mov_b32_e32 v2, 1.0
	s_cbranch_vccnz .LBB17_33
; %bb.32:
	v_div_scale_f32 v0, null, v54, v54, 1.0
	s_delay_alu instid0(VALU_DEP_1) | instskip(SKIP_2) | instid1(VALU_DEP_1)
	v_rcp_f32_e32 v1, v0
	s_waitcnt_depctr 0xfff
	v_fma_f32 v2, -v0, v1, 1.0
	v_fmac_f32_e32 v1, v2, v1
	v_div_scale_f32 v2, vcc_lo, 1.0, v54, 1.0
	s_delay_alu instid0(VALU_DEP_1) | instskip(NEXT) | instid1(VALU_DEP_1)
	v_mul_f32_e32 v3, v2, v1
	v_fma_f32 v16, -v0, v3, v2
	s_delay_alu instid0(VALU_DEP_1) | instskip(NEXT) | instid1(VALU_DEP_1)
	v_fmac_f32_e32 v3, v16, v1
	v_fma_f32 v0, -v0, v3, v2
	s_delay_alu instid0(VALU_DEP_1) | instskip(NEXT) | instid1(VALU_DEP_1)
	v_div_fmas_f32 v0, v0, v1, v3
	v_div_fixup_f32 v2, v0, v54, 1.0
.LBB17_33:
	v_add_nc_u32_e32 v0, s3, v85
	v_cvt_f32_f16_e64 v3, v131
	s_delay_alu instid0(VALU_DEP_2) | instskip(SKIP_1) | instid1(VALU_DEP_2)
	v_mad_u64_u32 v[16:17], null, v0, s7, s[2:3]
	v_mov_b32_e32 v17, 0
	v_mad_u64_u32 v[0:1], null, s1, v16, s[14:15]
	v_lshrrev_b32_e32 v1, 16, v131
	s_delay_alu instid0(VALU_DEP_1) | instskip(NEXT) | instid1(VALU_DEP_3)
	v_cvt_f32_f16_e32 v19, v1
	v_lshl_add_u32 v16, v0, 6, v96
	v_mul_f32_e32 v1, v2, v3
	s_delay_alu instid0(VALU_DEP_3) | instskip(NEXT) | instid1(VALU_DEP_3)
	v_mul_f32_e32 v2, v2, v19
	v_lshlrev_b64 v[16:17], 2, v[16:17]
	s_delay_alu instid0(VALU_DEP_1) | instskip(NEXT) | instid1(VALU_DEP_2)
	v_add_co_u32 v16, vcc_lo, s28, v16
	v_add_co_ci_u32_e32 v17, vcc_lo, s29, v17, vcc_lo
	global_store_b64 v[16:17], v[1:2], off
	s_and_saveexec_b32 s9, s5
	s_cbranch_execz .LBB17_35
; %bb.34:
	v_ashrrev_i32_e32 v1, 31, v0
	v_mov_b32_e32 v53, v4
	s_delay_alu instid0(VALU_DEP_2) | instskip(NEXT) | instid1(VALU_DEP_1)
	v_lshlrev_b64 v[0:1], 3, v[0:1]
	v_add_co_u32 v0, vcc_lo, s30, v0
	s_delay_alu instid0(VALU_DEP_2)
	v_add_co_ci_u32_e32 v1, vcc_lo, s31, v1, vcc_lo
	global_store_b64 v[0:1], v[53:54], off
.LBB17_35:
	s_or_b32 exec_lo, exec_lo, s9
	v_cmp_gt_i32_e32 vcc_lo, s6, v84
	s_and_b32 exec_lo, exec_lo, vcc_lo
	s_cbranch_execz .LBB17_90
; %bb.36:
	v_cmp_ne_u32_e32 vcc_lo, 1, v18
	v_mov_b32_e32 v2, 1.0
	s_cbranch_vccnz .LBB17_38
; %bb.37:
	v_div_scale_f32 v0, null, v52, v52, 1.0
	s_delay_alu instid0(VALU_DEP_1) | instskip(SKIP_2) | instid1(VALU_DEP_1)
	v_rcp_f32_e32 v1, v0
	s_waitcnt_depctr 0xfff
	v_fma_f32 v2, -v0, v1, 1.0
	v_fmac_f32_e32 v1, v2, v1
	v_div_scale_f32 v2, vcc_lo, 1.0, v52, 1.0
	s_delay_alu instid0(VALU_DEP_1) | instskip(NEXT) | instid1(VALU_DEP_1)
	v_mul_f32_e32 v3, v2, v1
	v_fma_f32 v4, -v0, v3, v2
	s_delay_alu instid0(VALU_DEP_1) | instskip(NEXT) | instid1(VALU_DEP_1)
	v_fmac_f32_e32 v3, v4, v1
	v_fma_f32 v0, -v0, v3, v2
	s_delay_alu instid0(VALU_DEP_1) | instskip(NEXT) | instid1(VALU_DEP_1)
	v_div_fmas_f32 v0, v0, v1, v3
	v_div_fixup_f32 v2, v0, v52, 1.0
.LBB17_38:
	v_cvt_f32_f16_e64 v16, v130
	v_add_nc_u32_e32 v0, s3, v83
	s_delay_alu instid0(VALU_DEP_1) | instskip(SKIP_1) | instid1(VALU_DEP_2)
	v_mad_u64_u32 v[3:4], null, v0, s7, s[8:9]
	v_mov_b32_e32 v4, 0
	v_mad_u64_u32 v[0:1], null, s1, v3, s[14:15]
	v_lshrrev_b32_e32 v1, 16, v130
	s_delay_alu instid0(VALU_DEP_1) | instskip(SKIP_1) | instid1(VALU_DEP_4)
	v_cvt_f32_f16_e32 v17, v1
	v_mul_f32_e32 v1, v2, v16
	v_lshl_add_u32 v3, v0, 6, v96
	s_delay_alu instid0(VALU_DEP_3) | instskip(NEXT) | instid1(VALU_DEP_2)
	v_mul_f32_e32 v2, v2, v17
	v_lshlrev_b64 v[3:4], 2, v[3:4]
	s_delay_alu instid0(VALU_DEP_1) | instskip(NEXT) | instid1(VALU_DEP_2)
	v_add_co_u32 v3, vcc_lo, s28, v3
	v_add_co_ci_u32_e32 v4, vcc_lo, s29, v4, vcc_lo
	global_store_b64 v[3:4], v[1:2], off
	s_and_saveexec_b32 s9, s5
	s_cbranch_execz .LBB17_40
; %bb.39:
	v_ashrrev_i32_e32 v1, 31, v0
	v_mov_b32_e32 v51, v5
	s_delay_alu instid0(VALU_DEP_2) | instskip(NEXT) | instid1(VALU_DEP_1)
	v_lshlrev_b64 v[0:1], 3, v[0:1]
	v_add_co_u32 v0, vcc_lo, s30, v0
	s_delay_alu instid0(VALU_DEP_2)
	v_add_co_ci_u32_e32 v1, vcc_lo, s31, v1, vcc_lo
	global_store_b64 v[0:1], v[51:52], off
.LBB17_40:
	s_or_b32 exec_lo, exec_lo, s9
	v_cmp_gt_i32_e32 vcc_lo, s6, v82
	s_and_b32 exec_lo, exec_lo, vcc_lo
	s_cbranch_execz .LBB17_90
; %bb.41:
	v_cmp_ne_u32_e32 vcc_lo, 1, v18
	v_mov_b32_e32 v2, 1.0
	s_cbranch_vccnz .LBB17_43
; %bb.42:
	v_div_scale_f32 v0, null, v50, v50, 1.0
	s_delay_alu instid0(VALU_DEP_1) | instskip(SKIP_2) | instid1(VALU_DEP_1)
	v_rcp_f32_e32 v1, v0
	s_waitcnt_depctr 0xfff
	v_fma_f32 v2, -v0, v1, 1.0
	v_fmac_f32_e32 v1, v2, v1
	v_div_scale_f32 v2, vcc_lo, 1.0, v50, 1.0
	s_delay_alu instid0(VALU_DEP_1) | instskip(NEXT) | instid1(VALU_DEP_1)
	v_mul_f32_e32 v3, v2, v1
	v_fma_f32 v4, -v0, v3, v2
	s_delay_alu instid0(VALU_DEP_1) | instskip(NEXT) | instid1(VALU_DEP_1)
	v_fmac_f32_e32 v3, v4, v1
	v_fma_f32 v0, -v0, v3, v2
	s_delay_alu instid0(VALU_DEP_1) | instskip(NEXT) | instid1(VALU_DEP_1)
	v_div_fmas_f32 v0, v0, v1, v3
	v_div_fixup_f32 v2, v0, v50, 1.0
.LBB17_43:
	v_cvt_f32_f16_e64 v5, v129
	v_add_nc_u32_e32 v0, s3, v80
	s_delay_alu instid0(VALU_DEP_1) | instskip(SKIP_1) | instid1(VALU_DEP_2)
	v_mad_u64_u32 v[3:4], null, v0, s7, s[4:5]
	v_mov_b32_e32 v4, 0
	v_mad_u64_u32 v[0:1], null, s1, v3, s[14:15]
	v_lshrrev_b32_e32 v1, 16, v129
	s_delay_alu instid0(VALU_DEP_1) | instskip(SKIP_1) | instid1(VALU_DEP_4)
	v_cvt_f32_f16_e32 v16, v1
	v_mul_f32_e32 v1, v2, v5
	v_lshl_add_u32 v3, v0, 6, v96
	s_delay_alu instid0(VALU_DEP_3) | instskip(NEXT) | instid1(VALU_DEP_2)
	v_mul_f32_e32 v2, v2, v16
	v_lshlrev_b64 v[3:4], 2, v[3:4]
	s_delay_alu instid0(VALU_DEP_1) | instskip(NEXT) | instid1(VALU_DEP_2)
	v_add_co_u32 v3, vcc_lo, s28, v3
	v_add_co_ci_u32_e32 v4, vcc_lo, s29, v4, vcc_lo
	global_store_b64 v[3:4], v[1:2], off
	s_and_saveexec_b32 s9, s5
	s_cbranch_execz .LBB17_45
; %bb.44:
	v_ashrrev_i32_e32 v1, 31, v0
	v_mov_b32_e32 v49, v6
	s_delay_alu instid0(VALU_DEP_2) | instskip(NEXT) | instid1(VALU_DEP_1)
	v_lshlrev_b64 v[0:1], 3, v[0:1]
	v_add_co_u32 v0, vcc_lo, s30, v0
	s_delay_alu instid0(VALU_DEP_2)
	v_add_co_ci_u32_e32 v1, vcc_lo, s31, v1, vcc_lo
	global_store_b64 v[0:1], v[49:50], off
.LBB17_45:
	s_or_b32 exec_lo, exec_lo, s9
	v_cmp_gt_i32_e32 vcc_lo, s6, v81
	s_and_b32 exec_lo, exec_lo, vcc_lo
	s_cbranch_execz .LBB17_90
; %bb.46:
	v_cmp_ne_u32_e32 vcc_lo, 1, v18
	v_mov_b32_e32 v2, 1.0
	s_cbranch_vccnz .LBB17_48
; %bb.47:
	v_div_scale_f32 v0, null, v48, v48, 1.0
	s_delay_alu instid0(VALU_DEP_1) | instskip(SKIP_2) | instid1(VALU_DEP_1)
	v_rcp_f32_e32 v1, v0
	s_waitcnt_depctr 0xfff
	v_fma_f32 v2, -v0, v1, 1.0
	v_fmac_f32_e32 v1, v2, v1
	v_div_scale_f32 v2, vcc_lo, 1.0, v48, 1.0
	s_delay_alu instid0(VALU_DEP_1) | instskip(NEXT) | instid1(VALU_DEP_1)
	v_mul_f32_e32 v3, v2, v1
	v_fma_f32 v4, -v0, v3, v2
	s_delay_alu instid0(VALU_DEP_1) | instskip(NEXT) | instid1(VALU_DEP_1)
	v_fmac_f32_e32 v3, v4, v1
	v_fma_f32 v0, -v0, v3, v2
	s_delay_alu instid0(VALU_DEP_1) | instskip(NEXT) | instid1(VALU_DEP_1)
	v_div_fmas_f32 v0, v0, v1, v3
	v_div_fixup_f32 v2, v0, v48, 1.0
.LBB17_48:
	v_cvt_f32_f16_e64 v5, v128
	v_add_nc_u32_e32 v0, s3, v79
	s_delay_alu instid0(VALU_DEP_1) | instskip(SKIP_1) | instid1(VALU_DEP_2)
	v_mad_u64_u32 v[3:4], null, v0, s7, s[0:1]
	v_mov_b32_e32 v4, 0
	v_mad_u64_u32 v[0:1], null, s1, v3, s[14:15]
	v_lshrrev_b32_e32 v1, 16, v128
	s_delay_alu instid0(VALU_DEP_1) | instskip(SKIP_1) | instid1(VALU_DEP_4)
	v_cvt_f32_f16_e32 v6, v1
	v_mul_f32_e32 v1, v2, v5
	v_lshl_add_u32 v3, v0, 6, v96
	s_delay_alu instid0(VALU_DEP_3) | instskip(NEXT) | instid1(VALU_DEP_2)
	v_mul_f32_e32 v2, v2, v6
	v_lshlrev_b64 v[3:4], 2, v[3:4]
	s_delay_alu instid0(VALU_DEP_1) | instskip(NEXT) | instid1(VALU_DEP_2)
	v_add_co_u32 v3, vcc_lo, s28, v3
	v_add_co_ci_u32_e32 v4, vcc_lo, s29, v4, vcc_lo
	global_store_b64 v[3:4], v[1:2], off
	s_and_saveexec_b32 s9, s5
	s_cbranch_execz .LBB17_50
; %bb.49:
	v_ashrrev_i32_e32 v1, 31, v0
	v_mov_b32_e32 v47, v7
	s_delay_alu instid0(VALU_DEP_2) | instskip(NEXT) | instid1(VALU_DEP_1)
	v_lshlrev_b64 v[0:1], 3, v[0:1]
	v_add_co_u32 v0, vcc_lo, s30, v0
	s_delay_alu instid0(VALU_DEP_2)
	v_add_co_ci_u32_e32 v1, vcc_lo, s31, v1, vcc_lo
	global_store_b64 v[0:1], v[47:48], off
.LBB17_50:
	s_or_b32 exec_lo, exec_lo, s9
	v_cmp_gt_i32_e32 vcc_lo, s6, v78
	s_and_b32 exec_lo, exec_lo, vcc_lo
	s_cbranch_execz .LBB17_90
; %bb.51:
	v_cmp_ne_u32_e32 vcc_lo, 1, v18
	v_mov_b32_e32 v2, 1.0
	s_cbranch_vccnz .LBB17_53
; %bb.52:
	v_div_scale_f32 v0, null, v46, v46, 1.0
	s_delay_alu instid0(VALU_DEP_1) | instskip(SKIP_2) | instid1(VALU_DEP_1)
	v_rcp_f32_e32 v1, v0
	s_waitcnt_depctr 0xfff
	v_fma_f32 v2, -v0, v1, 1.0
	v_fmac_f32_e32 v1, v2, v1
	v_div_scale_f32 v2, vcc_lo, 1.0, v46, 1.0
	s_delay_alu instid0(VALU_DEP_1) | instskip(NEXT) | instid1(VALU_DEP_1)
	v_mul_f32_e32 v3, v2, v1
	v_fma_f32 v4, -v0, v3, v2
	s_delay_alu instid0(VALU_DEP_1) | instskip(NEXT) | instid1(VALU_DEP_1)
	v_fmac_f32_e32 v3, v4, v1
	v_fma_f32 v0, -v0, v3, v2
	s_delay_alu instid0(VALU_DEP_1) | instskip(NEXT) | instid1(VALU_DEP_1)
	v_div_fmas_f32 v0, v0, v1, v3
	v_div_fixup_f32 v2, v0, v46, 1.0
.LBB17_53:
	v_add_nc_u32_e32 v0, s3, v77
	v_cvt_f32_f16_e32 v5, v127
	s_delay_alu instid0(VALU_DEP_2) | instskip(SKIP_1) | instid1(VALU_DEP_2)
	v_mad_u64_u32 v[3:4], null, v0, s7, s[2:3]
	v_mov_b32_e32 v4, 0
	v_mad_u64_u32 v[0:1], null, s1, v3, s[14:15]
	v_lshrrev_b32_e32 v1, 16, v127
	s_delay_alu instid0(VALU_DEP_1) | instskip(SKIP_1) | instid1(VALU_DEP_4)
	v_cvt_f32_f16_e32 v6, v1
	v_mul_f32_e32 v1, v2, v5
	v_lshl_add_u32 v3, v0, 6, v96
	s_delay_alu instid0(VALU_DEP_3) | instskip(NEXT) | instid1(VALU_DEP_2)
	v_mul_f32_e32 v2, v2, v6
	v_lshlrev_b64 v[3:4], 2, v[3:4]
	s_delay_alu instid0(VALU_DEP_1) | instskip(NEXT) | instid1(VALU_DEP_2)
	v_add_co_u32 v3, vcc_lo, s28, v3
	v_add_co_ci_u32_e32 v4, vcc_lo, s29, v4, vcc_lo
	global_store_b64 v[3:4], v[1:2], off
	s_and_saveexec_b32 s9, s5
	s_cbranch_execz .LBB17_55
; %bb.54:
	v_ashrrev_i32_e32 v1, 31, v0
	v_mov_b32_e32 v45, v8
	s_delay_alu instid0(VALU_DEP_2) | instskip(NEXT) | instid1(VALU_DEP_1)
	v_lshlrev_b64 v[0:1], 3, v[0:1]
	v_add_co_u32 v0, vcc_lo, s30, v0
	s_delay_alu instid0(VALU_DEP_2)
	v_add_co_ci_u32_e32 v1, vcc_lo, s31, v1, vcc_lo
	global_store_b64 v[0:1], v[45:46], off
.LBB17_55:
	s_or_b32 exec_lo, exec_lo, s9
	v_cmp_gt_i32_e32 vcc_lo, s6, v76
	s_and_b32 exec_lo, exec_lo, vcc_lo
	s_cbranch_execz .LBB17_90
; %bb.56:
	v_cmp_ne_u32_e32 vcc_lo, 1, v18
	v_mov_b32_e32 v2, 1.0
	s_cbranch_vccnz .LBB17_58
; %bb.57:
	v_div_scale_f32 v0, null, v44, v44, 1.0
	s_delay_alu instid0(VALU_DEP_1) | instskip(SKIP_2) | instid1(VALU_DEP_1)
	v_rcp_f32_e32 v1, v0
	s_waitcnt_depctr 0xfff
	v_fma_f32 v2, -v0, v1, 1.0
	v_fmac_f32_e32 v1, v2, v1
	v_div_scale_f32 v2, vcc_lo, 1.0, v44, 1.0
	s_delay_alu instid0(VALU_DEP_1) | instskip(NEXT) | instid1(VALU_DEP_1)
	v_mul_f32_e32 v3, v2, v1
	v_fma_f32 v4, -v0, v3, v2
	s_delay_alu instid0(VALU_DEP_1) | instskip(NEXT) | instid1(VALU_DEP_1)
	v_fmac_f32_e32 v3, v4, v1
	v_fma_f32 v0, -v0, v3, v2
	s_delay_alu instid0(VALU_DEP_1) | instskip(NEXT) | instid1(VALU_DEP_1)
	v_div_fmas_f32 v0, v0, v1, v3
	v_div_fixup_f32 v2, v0, v44, 1.0
.LBB17_58:
	v_cvt_f32_f16_e32 v5, v126
	v_add_nc_u32_e32 v0, s3, v74
	s_delay_alu instid0(VALU_DEP_1) | instskip(SKIP_1) | instid1(VALU_DEP_2)
	v_mad_u64_u32 v[3:4], null, v0, s7, s[8:9]
	v_mov_b32_e32 v4, 0
	v_mad_u64_u32 v[0:1], null, s1, v3, s[14:15]
	v_lshrrev_b32_e32 v1, 16, v126
	s_delay_alu instid0(VALU_DEP_1) | instskip(SKIP_1) | instid1(VALU_DEP_4)
	v_cvt_f32_f16_e32 v6, v1
	v_mul_f32_e32 v1, v2, v5
	v_lshl_add_u32 v3, v0, 6, v96
	s_delay_alu instid0(VALU_DEP_3) | instskip(NEXT) | instid1(VALU_DEP_2)
	v_mul_f32_e32 v2, v2, v6
	v_lshlrev_b64 v[3:4], 2, v[3:4]
	s_delay_alu instid0(VALU_DEP_1) | instskip(NEXT) | instid1(VALU_DEP_2)
	v_add_co_u32 v3, vcc_lo, s28, v3
	v_add_co_ci_u32_e32 v4, vcc_lo, s29, v4, vcc_lo
	global_store_b64 v[3:4], v[1:2], off
	s_and_saveexec_b32 s9, s5
	s_cbranch_execz .LBB17_60
; %bb.59:
	v_ashrrev_i32_e32 v1, 31, v0
	v_mov_b32_e32 v43, v9
	s_delay_alu instid0(VALU_DEP_2) | instskip(NEXT) | instid1(VALU_DEP_1)
	v_lshlrev_b64 v[0:1], 3, v[0:1]
	v_add_co_u32 v0, vcc_lo, s30, v0
	s_delay_alu instid0(VALU_DEP_2)
	v_add_co_ci_u32_e32 v1, vcc_lo, s31, v1, vcc_lo
	global_store_b64 v[0:1], v[43:44], off
.LBB17_60:
	s_or_b32 exec_lo, exec_lo, s9
	v_cmp_gt_i32_e32 vcc_lo, s6, v75
	s_and_b32 exec_lo, exec_lo, vcc_lo
	s_cbranch_execz .LBB17_90
; %bb.61:
	v_cmp_ne_u32_e32 vcc_lo, 1, v18
	v_mov_b32_e32 v2, 1.0
	s_cbranch_vccnz .LBB17_63
; %bb.62:
	v_div_scale_f32 v0, null, v29, v29, 1.0
	s_delay_alu instid0(VALU_DEP_1) | instskip(SKIP_2) | instid1(VALU_DEP_1)
	v_rcp_f32_e32 v1, v0
	s_waitcnt_depctr 0xfff
	v_fma_f32 v2, -v0, v1, 1.0
	v_fmac_f32_e32 v1, v2, v1
	v_div_scale_f32 v2, vcc_lo, 1.0, v29, 1.0
	s_delay_alu instid0(VALU_DEP_1) | instskip(NEXT) | instid1(VALU_DEP_1)
	v_mul_f32_e32 v3, v2, v1
	v_fma_f32 v4, -v0, v3, v2
	s_delay_alu instid0(VALU_DEP_1) | instskip(NEXT) | instid1(VALU_DEP_1)
	v_fmac_f32_e32 v3, v4, v1
	v_fma_f32 v0, -v0, v3, v2
	s_delay_alu instid0(VALU_DEP_1) | instskip(NEXT) | instid1(VALU_DEP_1)
	v_div_fmas_f32 v0, v0, v1, v3
	v_div_fixup_f32 v2, v0, v29, 1.0
.LBB17_63:
	v_add_nc_u32_e32 v0, s3, v73
	v_cvt_f32_f16_e32 v5, v125
	s_delay_alu instid0(VALU_DEP_2) | instskip(SKIP_1) | instid1(VALU_DEP_2)
	v_mad_u64_u32 v[3:4], null, v0, s7, s[4:5]
	v_mov_b32_e32 v4, 0
	v_mad_u64_u32 v[0:1], null, s1, v3, s[14:15]
	v_lshrrev_b32_e32 v1, 16, v125
	s_delay_alu instid0(VALU_DEP_1) | instskip(SKIP_1) | instid1(VALU_DEP_4)
	v_cvt_f32_f16_e32 v6, v1
	v_mul_f32_e32 v1, v2, v5
	v_lshl_add_u32 v3, v0, 6, v96
	s_delay_alu instid0(VALU_DEP_3) | instskip(NEXT) | instid1(VALU_DEP_2)
	v_mul_f32_e32 v2, v2, v6
	v_lshlrev_b64 v[3:4], 2, v[3:4]
	s_delay_alu instid0(VALU_DEP_1) | instskip(NEXT) | instid1(VALU_DEP_2)
	v_add_co_u32 v3, vcc_lo, s28, v3
	v_add_co_ci_u32_e32 v4, vcc_lo, s29, v4, vcc_lo
	global_store_b64 v[3:4], v[1:2], off
	s_and_saveexec_b32 s9, s5
	s_cbranch_execz .LBB17_65
; %bb.64:
	v_ashrrev_i32_e32 v1, 31, v0
	v_mov_b32_e32 v28, v10
	s_delay_alu instid0(VALU_DEP_2) | instskip(NEXT) | instid1(VALU_DEP_1)
	v_lshlrev_b64 v[0:1], 3, v[0:1]
	v_add_co_u32 v0, vcc_lo, s30, v0
	s_delay_alu instid0(VALU_DEP_2)
	v_add_co_ci_u32_e32 v1, vcc_lo, s31, v1, vcc_lo
	global_store_b64 v[0:1], v[28:29], off
.LBB17_65:
	s_or_b32 exec_lo, exec_lo, s9
	v_cmp_gt_i32_e32 vcc_lo, s6, v72
	s_and_b32 exec_lo, exec_lo, vcc_lo
	s_cbranch_execz .LBB17_90
; %bb.66:
	v_cmp_ne_u32_e32 vcc_lo, 1, v18
	v_mov_b32_e32 v2, 1.0
	s_cbranch_vccnz .LBB17_68
; %bb.67:
	v_div_scale_f32 v0, null, v42, v42, 1.0
	s_delay_alu instid0(VALU_DEP_1) | instskip(SKIP_2) | instid1(VALU_DEP_1)
	v_rcp_f32_e32 v1, v0
	s_waitcnt_depctr 0xfff
	v_fma_f32 v2, -v0, v1, 1.0
	v_fmac_f32_e32 v1, v2, v1
	v_div_scale_f32 v2, vcc_lo, 1.0, v42, 1.0
	s_delay_alu instid0(VALU_DEP_1) | instskip(NEXT) | instid1(VALU_DEP_1)
	v_mul_f32_e32 v3, v2, v1
	v_fma_f32 v4, -v0, v3, v2
	s_delay_alu instid0(VALU_DEP_1) | instskip(NEXT) | instid1(VALU_DEP_1)
	v_fmac_f32_e32 v3, v4, v1
	v_fma_f32 v0, -v0, v3, v2
	s_delay_alu instid0(VALU_DEP_1) | instskip(NEXT) | instid1(VALU_DEP_1)
	v_div_fmas_f32 v0, v0, v1, v3
	v_div_fixup_f32 v2, v0, v42, 1.0
.LBB17_68:
	v_cvt_f32_f16_e32 v5, v124
	v_add_nc_u32_e32 v0, s3, v70
	s_delay_alu instid0(VALU_DEP_1) | instskip(SKIP_1) | instid1(VALU_DEP_2)
	v_mad_u64_u32 v[3:4], null, v0, s7, s[0:1]
	v_mov_b32_e32 v4, 0
	v_mad_u64_u32 v[0:1], null, s1, v3, s[14:15]
	v_lshrrev_b32_e32 v1, 16, v124
	s_delay_alu instid0(VALU_DEP_1) | instskip(SKIP_1) | instid1(VALU_DEP_4)
	v_cvt_f32_f16_e32 v6, v1
	v_mul_f32_e32 v1, v2, v5
	v_lshl_add_u32 v3, v0, 6, v96
	s_delay_alu instid0(VALU_DEP_3) | instskip(NEXT) | instid1(VALU_DEP_2)
	v_mul_f32_e32 v2, v2, v6
	v_lshlrev_b64 v[3:4], 2, v[3:4]
	s_delay_alu instid0(VALU_DEP_1) | instskip(NEXT) | instid1(VALU_DEP_2)
	v_add_co_u32 v3, vcc_lo, s28, v3
	v_add_co_ci_u32_e32 v4, vcc_lo, s29, v4, vcc_lo
	global_store_b64 v[3:4], v[1:2], off
	s_and_saveexec_b32 s9, s5
	s_cbranch_execz .LBB17_70
; %bb.69:
	v_ashrrev_i32_e32 v1, 31, v0
	v_mov_b32_e32 v41, v11
	s_delay_alu instid0(VALU_DEP_2) | instskip(NEXT) | instid1(VALU_DEP_1)
	v_lshlrev_b64 v[0:1], 3, v[0:1]
	v_add_co_u32 v0, vcc_lo, s30, v0
	s_delay_alu instid0(VALU_DEP_2)
	v_add_co_ci_u32_e32 v1, vcc_lo, s31, v1, vcc_lo
	global_store_b64 v[0:1], v[41:42], off
.LBB17_70:
	s_or_b32 exec_lo, exec_lo, s9
	v_cmp_gt_i32_e32 vcc_lo, s6, v71
	s_and_b32 exec_lo, exec_lo, vcc_lo
	s_cbranch_execz .LBB17_90
; %bb.71:
	v_cmp_ne_u32_e32 vcc_lo, 1, v18
	v_mov_b32_e32 v2, 1.0
	s_cbranch_vccnz .LBB17_73
; %bb.72:
	v_div_scale_f32 v0, null, v40, v40, 1.0
	s_delay_alu instid0(VALU_DEP_1) | instskip(SKIP_2) | instid1(VALU_DEP_1)
	v_rcp_f32_e32 v1, v0
	s_waitcnt_depctr 0xfff
	v_fma_f32 v2, -v0, v1, 1.0
	v_fmac_f32_e32 v1, v2, v1
	v_div_scale_f32 v2, vcc_lo, 1.0, v40, 1.0
	s_delay_alu instid0(VALU_DEP_1) | instskip(NEXT) | instid1(VALU_DEP_1)
	v_mul_f32_e32 v3, v2, v1
	v_fma_f32 v4, -v0, v3, v2
	s_delay_alu instid0(VALU_DEP_1) | instskip(NEXT) | instid1(VALU_DEP_1)
	v_fmac_f32_e32 v3, v4, v1
	v_fma_f32 v0, -v0, v3, v2
	s_delay_alu instid0(VALU_DEP_1) | instskip(NEXT) | instid1(VALU_DEP_1)
	v_div_fmas_f32 v0, v0, v1, v3
	v_div_fixup_f32 v2, v0, v40, 1.0
.LBB17_73:
	v_add_nc_u32_e32 v0, s3, v69
	v_cvt_f32_f16_e32 v5, v123
	s_delay_alu instid0(VALU_DEP_2) | instskip(SKIP_1) | instid1(VALU_DEP_2)
	v_mad_u64_u32 v[3:4], null, v0, s7, s[2:3]
	v_mov_b32_e32 v4, 0
	v_mad_u64_u32 v[0:1], null, s1, v3, s[14:15]
	v_lshrrev_b32_e32 v1, 16, v123
	s_delay_alu instid0(VALU_DEP_1) | instskip(SKIP_1) | instid1(VALU_DEP_4)
	v_cvt_f32_f16_e32 v6, v1
	v_mul_f32_e32 v1, v2, v5
	v_lshl_add_u32 v3, v0, 6, v96
	s_delay_alu instid0(VALU_DEP_3) | instskip(NEXT) | instid1(VALU_DEP_2)
	v_mul_f32_e32 v2, v2, v6
	v_lshlrev_b64 v[3:4], 2, v[3:4]
	s_delay_alu instid0(VALU_DEP_1) | instskip(NEXT) | instid1(VALU_DEP_2)
	v_add_co_u32 v3, vcc_lo, s28, v3
	v_add_co_ci_u32_e32 v4, vcc_lo, s29, v4, vcc_lo
	global_store_b64 v[3:4], v[1:2], off
	s_and_saveexec_b32 s2, s5
	s_cbranch_execz .LBB17_75
; %bb.74:
	v_ashrrev_i32_e32 v1, 31, v0
	v_mov_b32_e32 v39, v12
	s_delay_alu instid0(VALU_DEP_2) | instskip(NEXT) | instid1(VALU_DEP_1)
	v_lshlrev_b64 v[0:1], 3, v[0:1]
	v_add_co_u32 v0, vcc_lo, s30, v0
	s_delay_alu instid0(VALU_DEP_2)
	v_add_co_ci_u32_e32 v1, vcc_lo, s31, v1, vcc_lo
	global_store_b64 v[0:1], v[39:40], off
.LBB17_75:
	s_or_b32 exec_lo, exec_lo, s2
	v_cmp_gt_i32_e32 vcc_lo, s6, v68
	s_and_b32 exec_lo, exec_lo, vcc_lo
	s_cbranch_execz .LBB17_90
; %bb.76:
	v_cmp_ne_u32_e32 vcc_lo, 1, v18
	v_mov_b32_e32 v2, 1.0
	s_cbranch_vccnz .LBB17_78
; %bb.77:
	v_div_scale_f32 v0, null, v38, v38, 1.0
	s_delay_alu instid0(VALU_DEP_1) | instskip(SKIP_2) | instid1(VALU_DEP_1)
	v_rcp_f32_e32 v1, v0
	s_waitcnt_depctr 0xfff
	v_fma_f32 v2, -v0, v1, 1.0
	v_fmac_f32_e32 v1, v2, v1
	v_div_scale_f32 v2, vcc_lo, 1.0, v38, 1.0
	s_delay_alu instid0(VALU_DEP_1) | instskip(NEXT) | instid1(VALU_DEP_1)
	v_mul_f32_e32 v3, v2, v1
	v_fma_f32 v4, -v0, v3, v2
	s_delay_alu instid0(VALU_DEP_1) | instskip(NEXT) | instid1(VALU_DEP_1)
	v_fmac_f32_e32 v3, v4, v1
	v_fma_f32 v0, -v0, v3, v2
	s_delay_alu instid0(VALU_DEP_1) | instskip(NEXT) | instid1(VALU_DEP_1)
	v_div_fmas_f32 v0, v0, v1, v3
	v_div_fixup_f32 v2, v0, v38, 1.0
.LBB17_78:
	v_cvt_f32_f16_e32 v5, v122
	v_add_nc_u32_e32 v0, s3, v67
	s_delay_alu instid0(VALU_DEP_1) | instskip(SKIP_1) | instid1(VALU_DEP_2)
	v_mad_u64_u32 v[3:4], null, v0, s7, s[8:9]
	v_mov_b32_e32 v4, 0
	v_mad_u64_u32 v[0:1], null, s1, v3, s[14:15]
	v_lshrrev_b32_e32 v1, 16, v122
	s_delay_alu instid0(VALU_DEP_1) | instskip(SKIP_1) | instid1(VALU_DEP_4)
	v_cvt_f32_f16_e32 v6, v1
	v_mul_f32_e32 v1, v2, v5
	v_lshl_add_u32 v3, v0, 6, v96
	s_delay_alu instid0(VALU_DEP_3) | instskip(NEXT) | instid1(VALU_DEP_2)
	v_mul_f32_e32 v2, v2, v6
	v_lshlrev_b64 v[3:4], 2, v[3:4]
	s_delay_alu instid0(VALU_DEP_1) | instskip(NEXT) | instid1(VALU_DEP_2)
	v_add_co_u32 v3, vcc_lo, s28, v3
	v_add_co_ci_u32_e32 v4, vcc_lo, s29, v4, vcc_lo
	global_store_b64 v[3:4], v[1:2], off
	s_and_saveexec_b32 s2, s5
	s_cbranch_execz .LBB17_80
; %bb.79:
	v_ashrrev_i32_e32 v1, 31, v0
	v_mov_b32_e32 v37, v13
	s_delay_alu instid0(VALU_DEP_2) | instskip(NEXT) | instid1(VALU_DEP_1)
	v_lshlrev_b64 v[0:1], 3, v[0:1]
	v_add_co_u32 v0, vcc_lo, s30, v0
	s_delay_alu instid0(VALU_DEP_2)
	v_add_co_ci_u32_e32 v1, vcc_lo, s31, v1, vcc_lo
	global_store_b64 v[0:1], v[37:38], off
.LBB17_80:
	s_or_b32 exec_lo, exec_lo, s2
	v_cmp_gt_i32_e32 vcc_lo, s6, v66
	s_and_b32 exec_lo, exec_lo, vcc_lo
	s_cbranch_execz .LBB17_90
; %bb.81:
	v_cmp_ne_u32_e32 vcc_lo, 1, v18
	v_mov_b32_e32 v2, 1.0
	s_cbranch_vccnz .LBB17_83
; %bb.82:
	v_div_scale_f32 v0, null, v36, v36, 1.0
	s_delay_alu instid0(VALU_DEP_1) | instskip(SKIP_2) | instid1(VALU_DEP_1)
	v_rcp_f32_e32 v1, v0
	s_waitcnt_depctr 0xfff
	v_fma_f32 v2, -v0, v1, 1.0
	v_fmac_f32_e32 v1, v2, v1
	v_div_scale_f32 v2, vcc_lo, 1.0, v36, 1.0
	s_delay_alu instid0(VALU_DEP_1) | instskip(NEXT) | instid1(VALU_DEP_1)
	v_mul_f32_e32 v3, v2, v1
	v_fma_f32 v4, -v0, v3, v2
	s_delay_alu instid0(VALU_DEP_1) | instskip(NEXT) | instid1(VALU_DEP_1)
	v_fmac_f32_e32 v3, v4, v1
	v_fma_f32 v0, -v0, v3, v2
	s_delay_alu instid0(VALU_DEP_1) | instskip(NEXT) | instid1(VALU_DEP_1)
	v_div_fmas_f32 v0, v0, v1, v3
	v_div_fixup_f32 v2, v0, v36, 1.0
.LBB17_83:
	v_add_nc_u32_e32 v0, s3, v65
	v_cvt_f32_f16_e32 v5, v121
	s_delay_alu instid0(VALU_DEP_2) | instskip(SKIP_1) | instid1(VALU_DEP_2)
	v_mad_u64_u32 v[3:4], null, v0, s7, s[4:5]
	v_mov_b32_e32 v4, 0
	v_mad_u64_u32 v[0:1], null, s1, v3, s[14:15]
	v_lshrrev_b32_e32 v1, 16, v121
	s_delay_alu instid0(VALU_DEP_1) | instskip(SKIP_1) | instid1(VALU_DEP_4)
	v_cvt_f32_f16_e32 v6, v1
	v_mul_f32_e32 v1, v2, v5
	v_lshl_add_u32 v3, v0, 6, v96
	s_delay_alu instid0(VALU_DEP_3) | instskip(NEXT) | instid1(VALU_DEP_2)
	v_mul_f32_e32 v2, v2, v6
	v_lshlrev_b64 v[3:4], 2, v[3:4]
	s_delay_alu instid0(VALU_DEP_1) | instskip(NEXT) | instid1(VALU_DEP_2)
	v_add_co_u32 v3, vcc_lo, s28, v3
	v_add_co_ci_u32_e32 v4, vcc_lo, s29, v4, vcc_lo
	global_store_b64 v[3:4], v[1:2], off
	s_and_saveexec_b32 s2, s5
	s_cbranch_execz .LBB17_85
; %bb.84:
	v_ashrrev_i32_e32 v1, 31, v0
	v_mov_b32_e32 v35, v14
	s_delay_alu instid0(VALU_DEP_2) | instskip(NEXT) | instid1(VALU_DEP_1)
	v_lshlrev_b64 v[0:1], 3, v[0:1]
	v_add_co_u32 v0, vcc_lo, s30, v0
	s_delay_alu instid0(VALU_DEP_2)
	v_add_co_ci_u32_e32 v1, vcc_lo, s31, v1, vcc_lo
	global_store_b64 v[0:1], v[35:36], off
.LBB17_85:
	s_or_b32 exec_lo, exec_lo, s2
	v_cmp_gt_i32_e32 vcc_lo, s6, v64
	s_and_b32 exec_lo, exec_lo, vcc_lo
	s_cbranch_execz .LBB17_90
; %bb.86:
	v_cmp_ne_u32_e32 vcc_lo, 1, v18
	v_mov_b32_e32 v2, 1.0
	s_cbranch_vccnz .LBB17_88
; %bb.87:
	v_div_scale_f32 v0, null, v34, v34, 1.0
	s_delay_alu instid0(VALU_DEP_1) | instskip(SKIP_2) | instid1(VALU_DEP_1)
	v_rcp_f32_e32 v1, v0
	s_waitcnt_depctr 0xfff
	v_fma_f32 v2, -v0, v1, 1.0
	v_fmac_f32_e32 v1, v2, v1
	v_div_scale_f32 v2, vcc_lo, 1.0, v34, 1.0
	s_delay_alu instid0(VALU_DEP_1) | instskip(NEXT) | instid1(VALU_DEP_1)
	v_mul_f32_e32 v3, v2, v1
	v_fma_f32 v4, -v0, v3, v2
	s_delay_alu instid0(VALU_DEP_1) | instskip(NEXT) | instid1(VALU_DEP_1)
	v_fmac_f32_e32 v3, v4, v1
	v_fma_f32 v0, -v0, v3, v2
	s_delay_alu instid0(VALU_DEP_1) | instskip(NEXT) | instid1(VALU_DEP_1)
	v_div_fmas_f32 v0, v0, v1, v3
	v_div_fixup_f32 v2, v0, v34, 1.0
.LBB17_88:
	v_cvt_f32_f16_e32 v5, v120
	v_add_nc_u32_e32 v0, s3, v63
	s_delay_alu instid0(VALU_DEP_1) | instskip(SKIP_1) | instid1(VALU_DEP_2)
	v_mad_u64_u32 v[3:4], null, v0, s7, s[0:1]
	v_mov_b32_e32 v4, 0
	v_mad_u64_u32 v[0:1], null, s1, v3, s[14:15]
	v_lshrrev_b32_e32 v1, 16, v120
	s_delay_alu instid0(VALU_DEP_1) | instskip(SKIP_1) | instid1(VALU_DEP_4)
	v_cvt_f32_f16_e32 v6, v1
	v_mul_f32_e32 v1, v2, v5
	v_lshl_add_u32 v3, v0, 6, v96
	s_delay_alu instid0(VALU_DEP_3) | instskip(NEXT) | instid1(VALU_DEP_2)
	v_mul_f32_e32 v2, v2, v6
	v_lshlrev_b64 v[3:4], 2, v[3:4]
	s_delay_alu instid0(VALU_DEP_1) | instskip(NEXT) | instid1(VALU_DEP_2)
	v_add_co_u32 v3, vcc_lo, s28, v3
	v_add_co_ci_u32_e32 v4, vcc_lo, s29, v4, vcc_lo
	global_store_b64 v[3:4], v[1:2], off
	s_and_b32 exec_lo, exec_lo, s5
	s_cbranch_execz .LBB17_90
; %bb.89:
	v_ashrrev_i32_e32 v1, 31, v0
	v_mov_b32_e32 v33, v15
	s_delay_alu instid0(VALU_DEP_2) | instskip(NEXT) | instid1(VALU_DEP_1)
	v_lshlrev_b64 v[0:1], 3, v[0:1]
	v_add_co_u32 v0, vcc_lo, s30, v0
	s_delay_alu instid0(VALU_DEP_2)
	v_add_co_ci_u32_e32 v1, vcc_lo, s31, v1, vcc_lo
	global_store_b64 v[0:1], v[33:34], off
.LBB17_90:
	s_nop 0
	s_sendmsg sendmsg(MSG_DEALLOC_VGPRS)
	s_endpgm
	.section	.rodata,"a",@progbits
	.p2align	6, 0x0
	.amdhsa_kernel _ZL15flash_attn_tileILi64ELi64ELi16ELi4ELb0EEvPKcS1_S1_S1_S1_PKiPfP15HIP_vector_typeIfLj2EEffffjfiS5_IjLj3EEiiiiiiiiiiiliiliiiiil
		.amdhsa_group_segment_fixed_size 25600
		.amdhsa_private_segment_fixed_size 0
		.amdhsa_kernarg_size 464
		.amdhsa_user_sgpr_count 13
		.amdhsa_user_sgpr_dispatch_ptr 0
		.amdhsa_user_sgpr_queue_ptr 0
		.amdhsa_user_sgpr_kernarg_segment_ptr 1
		.amdhsa_user_sgpr_dispatch_id 0
		.amdhsa_user_sgpr_private_segment_size 0
		.amdhsa_wavefront_size32 1
		.amdhsa_uses_dynamic_stack 0
		.amdhsa_enable_private_segment 0
		.amdhsa_system_sgpr_workgroup_id_x 1
		.amdhsa_system_sgpr_workgroup_id_y 1
		.amdhsa_system_sgpr_workgroup_id_z 1
		.amdhsa_system_sgpr_workgroup_info 0
		.amdhsa_system_vgpr_workitem_id 1
		.amdhsa_next_free_vgpr 238
		.amdhsa_next_free_sgpr 57
		.amdhsa_reserve_vcc 1
		.amdhsa_float_round_mode_32 0
		.amdhsa_float_round_mode_16_64 0
		.amdhsa_float_denorm_mode_32 3
		.amdhsa_float_denorm_mode_16_64 3
		.amdhsa_dx10_clamp 1
		.amdhsa_ieee_mode 1
		.amdhsa_fp16_overflow 0
		.amdhsa_workgroup_processor_mode 1
		.amdhsa_memory_ordered 1
		.amdhsa_forward_progress 0
		.amdhsa_shared_vgpr_count 0
		.amdhsa_exception_fp_ieee_invalid_op 0
		.amdhsa_exception_fp_denorm_src 0
		.amdhsa_exception_fp_ieee_div_zero 0
		.amdhsa_exception_fp_ieee_overflow 0
		.amdhsa_exception_fp_ieee_underflow 0
		.amdhsa_exception_fp_ieee_inexact 0
		.amdhsa_exception_int_div_zero 0
	.end_amdhsa_kernel
	.section	.text._ZL15flash_attn_tileILi64ELi64ELi16ELi4ELb0EEvPKcS1_S1_S1_S1_PKiPfP15HIP_vector_typeIfLj2EEffffjfiS5_IjLj3EEiiiiiiiiiiiliiliiiiil,"axG",@progbits,_ZL15flash_attn_tileILi64ELi64ELi16ELi4ELb0EEvPKcS1_S1_S1_S1_PKiPfP15HIP_vector_typeIfLj2EEffffjfiS5_IjLj3EEiiiiiiiiiiiliiliiiiil,comdat
.Lfunc_end17:
	.size	_ZL15flash_attn_tileILi64ELi64ELi16ELi4ELb0EEvPKcS1_S1_S1_S1_PKiPfP15HIP_vector_typeIfLj2EEffffjfiS5_IjLj3EEiiiiiiiiiiiliiliiiiil, .Lfunc_end17-_ZL15flash_attn_tileILi64ELi64ELi16ELi4ELb0EEvPKcS1_S1_S1_S1_PKiPfP15HIP_vector_typeIfLj2EEffffjfiS5_IjLj3EEiiiiiiiiiiiliiliiiiil
                                        ; -- End function
	.section	.AMDGPU.csdata,"",@progbits
; Kernel info:
; codeLenInByte = 54848
; NumSgprs: 59
; NumVgprs: 238
; ScratchSize: 0
; MemoryBound: 0
; FloatMode: 240
; IeeeMode: 1
; LDSByteSize: 25600 bytes/workgroup (compile time only)
; SGPRBlocks: 7
; VGPRBlocks: 29
; NumSGPRsForWavesPerEU: 59
; NumVGPRsForWavesPerEU: 238
; Occupancy: 5
; WaveLimiterHint : 0
; COMPUTE_PGM_RSRC2:SCRATCH_EN: 0
; COMPUTE_PGM_RSRC2:USER_SGPR: 13
; COMPUTE_PGM_RSRC2:TRAP_HANDLER: 0
; COMPUTE_PGM_RSRC2:TGID_X_EN: 1
; COMPUTE_PGM_RSRC2:TGID_Y_EN: 1
; COMPUTE_PGM_RSRC2:TGID_Z_EN: 1
; COMPUTE_PGM_RSRC2:TIDIG_COMP_CNT: 1
	.section	.text._ZL25flash_attn_mask_to_KV_maxILi16EEvPK7__half2Piiii,"axG",@progbits,_ZL25flash_attn_mask_to_KV_maxILi16EEvPK7__half2Piiii,comdat
	.globl	_ZL25flash_attn_mask_to_KV_maxILi16EEvPK7__half2Piiii ; -- Begin function _ZL25flash_attn_mask_to_KV_maxILi16EEvPK7__half2Piiii
	.p2align	8
	.type	_ZL25flash_attn_mask_to_KV_maxILi16EEvPK7__half2Piiii,@function
_ZL25flash_attn_mask_to_KV_maxILi16EEvPK7__half2Piiii: ; @_ZL25flash_attn_mask_to_KV_maxILi16EEvPK7__half2Piiii
; %bb.0:
	s_load_b128 s[4:7], s[0:1], 0x0
	s_mov_b32 s2, exec_lo
	v_cmpx_gt_u32_e32 32, v0
	s_cbranch_execz .LBB18_2
; %bb.1:
	v_dual_mov_b32 v2, 1 :: v_dual_lshlrev_b32 v1, 2, v0
	ds_store_b32 v1, v2
.LBB18_2:
	s_or_b32 exec_lo, exec_lo, s2
	s_clause 0x1
	s_load_b128 s[8:11], s[0:1], 0x10
	s_load_b32 s1, s[0:1], 0x20
	v_dual_mov_b32 v2, 0 :: v_dual_and_b32 v1, 31, v0
	v_lshrrev_b32_e32 v5, 3, v0
	s_waitcnt lgkmcnt(0)
	s_barrier
	s_delay_alu instid0(VALU_DEP_2) | instskip(SKIP_4) | instid1(SALU_CYCLE_1)
	v_lshlrev_b32_e32 v6, 2, v1
	buffer_gl0_inv
	s_mul_i32 s0, s14, s9
	s_mul_i32 s2, s15, s10
	s_lshl_b32 s0, s0, 4
	s_add_i32 s2, s2, s0
	v_cmp_eq_u32_e64 s0, 0, v1
	s_ashr_i32 s3, s2, 31
	s_delay_alu instid0(SALU_CYCLE_1) | instskip(NEXT) | instid1(SALU_CYCLE_1)
	s_lshl_b64 s[10:11], s[2:3], 2
	s_add_u32 s3, s4, s10
	s_addc_u32 s4, s5, s11
	s_lshl_b32 s5, s8, 8
	s_branch .LBB18_4
.LBB18_3:                               ;   in Loop: Header=BB18_4 Depth=1
	s_or_b32 exec_lo, exec_lo, s10
	s_waitcnt lgkmcnt(0)
	s_barrier
	buffer_gl0_inv
	ds_load_b32 v1, v6
	s_waitcnt lgkmcnt(0)
	s_barrier
	buffer_gl0_inv
	;;#ASMSTART
	;;#ASMEND
	v_cmp_ne_u32_e32 vcc_lo, 0, v1
	s_cmp_lg_u32 vcc_lo, exec_lo
	s_cselect_b32 s8, -1, 0
	s_delay_alu instid0(SALU_CYCLE_1)
	s_and_b32 vcc_lo, exec_lo, s8
	s_cbranch_vccnz .LBB18_68
.LBB18_4:                               ; =>This Inner Loop Header: Depth=1
	s_mov_b32 s2, s5
	s_addk_i32 s5, 0xff00
	s_delay_alu instid0(SALU_CYCLE_1)
	s_cmp_lt_i32 s5, 0
	s_cbranch_scc1 .LBB18_67
; %bb.5:                                ;   in Loop: Header=BB18_4 Depth=1
	s_lshr_b32 s8, s5, 1
	s_mov_b32 s10, 0
	v_add_nc_u32_e32 v1, s8, v0
	s_delay_alu instid0(VALU_DEP_1) | instskip(NEXT) | instid1(VALU_DEP_1)
	v_lshlrev_b64 v[3:4], 2, v[1:2]
	v_add_co_u32 v3, vcc_lo, s3, v3
	s_delay_alu instid0(VALU_DEP_2) | instskip(SKIP_4) | instid1(VALU_DEP_2)
	v_add_co_ci_u32_e32 v4, vcc_lo, s4, v4, vcc_lo
	global_load_b32 v3, v[3:4], off
	s_waitcnt vmcnt(0)
	v_lshrrev_b32_e32 v4, 16, v3
	v_cmp_class_f16_e64 s8, v3, 0x204
	v_and_b32_e32 v4, 0x7fff, v4
	s_delay_alu instid0(VALU_DEP_1) | instskip(NEXT) | instid1(VALU_DEP_3)
	v_cmp_eq_f16_e32 vcc_lo, 0x7c00, v4
	s_and_b32 s11, s8, vcc_lo
	s_delay_alu instid0(SALU_CYCLE_1)
	s_and_saveexec_b32 s8, s11
	s_cbranch_execz .LBB18_65
; %bb.6:                                ;   in Loop: Header=BB18_4 Depth=1
	v_add_nc_u32_e32 v3, s9, v1
	s_mov_b32 s11, 0
	s_delay_alu instid0(VALU_DEP_1) | instskip(NEXT) | instid1(VALU_DEP_1)
	v_ashrrev_i32_e32 v4, 31, v3
	v_lshlrev_b64 v[7:8], 2, v[3:4]
	s_delay_alu instid0(VALU_DEP_1) | instskip(NEXT) | instid1(VALU_DEP_2)
	v_add_co_u32 v7, vcc_lo, s3, v7
	v_add_co_ci_u32_e32 v8, vcc_lo, s4, v8, vcc_lo
	global_load_b32 v1, v[7:8], off
	s_waitcnt vmcnt(0)
	v_cmp_class_f16_e64 s12, v1, 0x204
	s_delay_alu instid0(VALU_DEP_1)
	s_and_saveexec_b32 s10, s12
	s_cbranch_execz .LBB18_64
; %bb.7:                                ;   in Loop: Header=BB18_4 Depth=1
	v_lshrrev_b32_e32 v1, 16, v1
	s_mov_b32 s12, 0
	s_delay_alu instid0(VALU_DEP_1) | instskip(NEXT) | instid1(VALU_DEP_1)
	v_cmp_class_f16_e64 s13, v1, 0x204
	s_and_saveexec_b32 s11, s13
	s_cbranch_execz .LBB18_63
; %bb.8:                                ;   in Loop: Header=BB18_4 Depth=1
	v_add_nc_u32_e32 v3, s9, v3
	s_mov_b32 s13, 0
	s_delay_alu instid0(VALU_DEP_1) | instskip(NEXT) | instid1(VALU_DEP_1)
	v_ashrrev_i32_e32 v4, 31, v3
	v_lshlrev_b64 v[7:8], 2, v[3:4]
	s_delay_alu instid0(VALU_DEP_1) | instskip(NEXT) | instid1(VALU_DEP_2)
	v_add_co_u32 v7, vcc_lo, s3, v7
	v_add_co_ci_u32_e32 v8, vcc_lo, s4, v8, vcc_lo
	global_load_b32 v1, v[7:8], off
	s_waitcnt vmcnt(0)
	v_cmp_class_f16_e64 s16, v1, 0x204
	s_delay_alu instid0(VALU_DEP_1)
	s_and_saveexec_b32 s12, s16
	s_cbranch_execz .LBB18_62
; %bb.9:                                ;   in Loop: Header=BB18_4 Depth=1
	v_lshrrev_b32_e32 v1, 16, v1
	s_mov_b32 s16, 0
	s_delay_alu instid0(VALU_DEP_1) | instskip(NEXT) | instid1(VALU_DEP_1)
	v_cmp_class_f16_e64 s17, v1, 0x204
	s_and_saveexec_b32 s13, s17
	s_cbranch_execz .LBB18_61
; %bb.10:                               ;   in Loop: Header=BB18_4 Depth=1
	v_add_nc_u32_e32 v3, s9, v3
	s_mov_b32 s17, 0
	s_delay_alu instid0(VALU_DEP_1) | instskip(NEXT) | instid1(VALU_DEP_1)
	v_ashrrev_i32_e32 v4, 31, v3
	v_lshlrev_b64 v[7:8], 2, v[3:4]
	s_delay_alu instid0(VALU_DEP_1) | instskip(NEXT) | instid1(VALU_DEP_2)
	v_add_co_u32 v7, vcc_lo, s3, v7
	v_add_co_ci_u32_e32 v8, vcc_lo, s4, v8, vcc_lo
	global_load_b32 v1, v[7:8], off
	s_waitcnt vmcnt(0)
	v_cmp_class_f16_e64 s18, v1, 0x204
	s_delay_alu instid0(VALU_DEP_1)
	s_and_saveexec_b32 s16, s18
	s_cbranch_execz .LBB18_60
; %bb.11:                               ;   in Loop: Header=BB18_4 Depth=1
	v_lshrrev_b32_e32 v1, 16, v1
	s_mov_b32 s18, 0
	s_delay_alu instid0(VALU_DEP_1) | instskip(NEXT) | instid1(VALU_DEP_1)
	v_cmp_class_f16_e64 s19, v1, 0x204
	s_and_saveexec_b32 s17, s19
	s_cbranch_execz .LBB18_59
; %bb.12:                               ;   in Loop: Header=BB18_4 Depth=1
	v_add_nc_u32_e32 v3, s9, v3
	s_mov_b32 s19, 0
	s_delay_alu instid0(VALU_DEP_1) | instskip(NEXT) | instid1(VALU_DEP_1)
	v_ashrrev_i32_e32 v4, 31, v3
	v_lshlrev_b64 v[7:8], 2, v[3:4]
	s_delay_alu instid0(VALU_DEP_1) | instskip(NEXT) | instid1(VALU_DEP_2)
	v_add_co_u32 v7, vcc_lo, s3, v7
	v_add_co_ci_u32_e32 v8, vcc_lo, s4, v8, vcc_lo
	global_load_b32 v1, v[7:8], off
	s_waitcnt vmcnt(0)
	v_cmp_class_f16_e64 s20, v1, 0x204
	s_delay_alu instid0(VALU_DEP_1)
	s_and_saveexec_b32 s18, s20
	s_cbranch_execz .LBB18_58
; %bb.13:                               ;   in Loop: Header=BB18_4 Depth=1
	;; [unrolled: 22-line block ×12, first 2 shown]
	v_lshrrev_b32_e32 v1, 16, v1
	s_mov_b32 s41, 0
	s_delay_alu instid0(VALU_DEP_1) | instskip(NEXT) | instid1(VALU_DEP_1)
	v_cmp_class_f16_e64 s42, v1, 0x204
	s_and_saveexec_b32 s40, s42
	s_cbranch_execz .LBB18_37
; %bb.34:                               ;   in Loop: Header=BB18_4 Depth=1
	v_add_nc_u32_e32 v3, s9, v3
	s_delay_alu instid0(VALU_DEP_1) | instskip(NEXT) | instid1(VALU_DEP_1)
	v_ashrrev_i32_e32 v4, 31, v3
	v_lshlrev_b64 v[3:4], 2, v[3:4]
	s_delay_alu instid0(VALU_DEP_1) | instskip(NEXT) | instid1(VALU_DEP_2)
	v_add_co_u32 v3, vcc_lo, s3, v3
	v_add_co_ci_u32_e32 v4, vcc_lo, s4, v4, vcc_lo
	global_load_b32 v1, v[3:4], off
	s_waitcnt vmcnt(0)
	v_cmp_class_f16_e64 s43, v1, 0x204
	s_delay_alu instid0(VALU_DEP_1)
	s_and_saveexec_b32 s42, s43
; %bb.35:                               ;   in Loop: Header=BB18_4 Depth=1
	v_lshrrev_b32_e32 v1, 16, v1
	s_delay_alu instid0(VALU_DEP_1) | instskip(NEXT) | instid1(VALU_DEP_1)
	v_cmp_class_f16_e64 s41, v1, 0x204
	s_and_b32 s41, s41, exec_lo
; %bb.36:                               ;   in Loop: Header=BB18_4 Depth=1
	s_or_b32 exec_lo, exec_lo, s42
	s_delay_alu instid0(SALU_CYCLE_1)
	s_and_b32 s41, s41, exec_lo
.LBB18_37:                              ;   in Loop: Header=BB18_4 Depth=1
	s_or_b32 exec_lo, exec_lo, s40
	s_delay_alu instid0(SALU_CYCLE_1)
	s_and_b32 s40, s41, exec_lo
.LBB18_38:                              ;   in Loop: Header=BB18_4 Depth=1
	s_or_b32 exec_lo, exec_lo, s39
	s_delay_alu instid0(SALU_CYCLE_1)
	s_and_b32 s39, s40, exec_lo
.LBB18_39:                              ;   in Loop: Header=BB18_4 Depth=1
	s_or_b32 exec_lo, exec_lo, s38
	s_delay_alu instid0(SALU_CYCLE_1)
	s_and_b32 s38, s39, exec_lo
.LBB18_40:                              ;   in Loop: Header=BB18_4 Depth=1
	s_or_b32 exec_lo, exec_lo, s37
	s_delay_alu instid0(SALU_CYCLE_1)
	s_and_b32 s37, s38, exec_lo
.LBB18_41:                              ;   in Loop: Header=BB18_4 Depth=1
	s_or_b32 exec_lo, exec_lo, s36
	s_delay_alu instid0(SALU_CYCLE_1)
	s_and_b32 s36, s37, exec_lo
.LBB18_42:                              ;   in Loop: Header=BB18_4 Depth=1
	s_or_b32 exec_lo, exec_lo, s35
	s_delay_alu instid0(SALU_CYCLE_1)
	s_and_b32 s35, s36, exec_lo
.LBB18_43:                              ;   in Loop: Header=BB18_4 Depth=1
	s_or_b32 exec_lo, exec_lo, s34
	s_delay_alu instid0(SALU_CYCLE_1)
	s_and_b32 s34, s35, exec_lo
.LBB18_44:                              ;   in Loop: Header=BB18_4 Depth=1
	s_or_b32 exec_lo, exec_lo, s33
	s_delay_alu instid0(SALU_CYCLE_1)
	s_and_b32 s33, s34, exec_lo
.LBB18_45:                              ;   in Loop: Header=BB18_4 Depth=1
	s_or_b32 exec_lo, exec_lo, s31
	s_delay_alu instid0(SALU_CYCLE_1)
	s_and_b32 s31, s33, exec_lo
.LBB18_46:                              ;   in Loop: Header=BB18_4 Depth=1
	s_or_b32 exec_lo, exec_lo, s30
	s_delay_alu instid0(SALU_CYCLE_1)
	s_and_b32 s30, s31, exec_lo
.LBB18_47:                              ;   in Loop: Header=BB18_4 Depth=1
	s_or_b32 exec_lo, exec_lo, s29
	s_delay_alu instid0(SALU_CYCLE_1)
	s_and_b32 s29, s30, exec_lo
.LBB18_48:                              ;   in Loop: Header=BB18_4 Depth=1
	s_or_b32 exec_lo, exec_lo, s28
	s_delay_alu instid0(SALU_CYCLE_1)
	s_and_b32 s28, s29, exec_lo
.LBB18_49:                              ;   in Loop: Header=BB18_4 Depth=1
	s_or_b32 exec_lo, exec_lo, s27
	s_delay_alu instid0(SALU_CYCLE_1)
	s_and_b32 s27, s28, exec_lo
.LBB18_50:                              ;   in Loop: Header=BB18_4 Depth=1
	s_or_b32 exec_lo, exec_lo, s26
	s_delay_alu instid0(SALU_CYCLE_1)
	s_and_b32 s26, s27, exec_lo
.LBB18_51:                              ;   in Loop: Header=BB18_4 Depth=1
	s_or_b32 exec_lo, exec_lo, s25
	s_delay_alu instid0(SALU_CYCLE_1)
	s_and_b32 s25, s26, exec_lo
.LBB18_52:                              ;   in Loop: Header=BB18_4 Depth=1
	s_or_b32 exec_lo, exec_lo, s24
	s_delay_alu instid0(SALU_CYCLE_1)
	s_and_b32 s24, s25, exec_lo
.LBB18_53:                              ;   in Loop: Header=BB18_4 Depth=1
	s_or_b32 exec_lo, exec_lo, s23
	s_delay_alu instid0(SALU_CYCLE_1)
	s_and_b32 s23, s24, exec_lo
.LBB18_54:                              ;   in Loop: Header=BB18_4 Depth=1
	s_or_b32 exec_lo, exec_lo, s22
	s_delay_alu instid0(SALU_CYCLE_1)
	s_and_b32 s22, s23, exec_lo
.LBB18_55:                              ;   in Loop: Header=BB18_4 Depth=1
	s_or_b32 exec_lo, exec_lo, s21
	s_delay_alu instid0(SALU_CYCLE_1)
	s_and_b32 s21, s22, exec_lo
.LBB18_56:                              ;   in Loop: Header=BB18_4 Depth=1
	s_or_b32 exec_lo, exec_lo, s20
	s_delay_alu instid0(SALU_CYCLE_1)
	s_and_b32 s20, s21, exec_lo
.LBB18_57:                              ;   in Loop: Header=BB18_4 Depth=1
	s_or_b32 exec_lo, exec_lo, s19
	s_delay_alu instid0(SALU_CYCLE_1)
	s_and_b32 s19, s20, exec_lo
.LBB18_58:                              ;   in Loop: Header=BB18_4 Depth=1
	s_or_b32 exec_lo, exec_lo, s18
	s_delay_alu instid0(SALU_CYCLE_1)
	s_and_b32 s18, s19, exec_lo
.LBB18_59:                              ;   in Loop: Header=BB18_4 Depth=1
	s_or_b32 exec_lo, exec_lo, s17
	s_delay_alu instid0(SALU_CYCLE_1)
	s_and_b32 s17, s18, exec_lo
.LBB18_60:                              ;   in Loop: Header=BB18_4 Depth=1
	s_or_b32 exec_lo, exec_lo, s16
	s_delay_alu instid0(SALU_CYCLE_1)
	s_and_b32 s16, s17, exec_lo
.LBB18_61:                              ;   in Loop: Header=BB18_4 Depth=1
	s_or_b32 exec_lo, exec_lo, s13
	s_delay_alu instid0(SALU_CYCLE_1)
	s_and_b32 s13, s16, exec_lo
.LBB18_62:                              ;   in Loop: Header=BB18_4 Depth=1
	s_or_b32 exec_lo, exec_lo, s12
	s_delay_alu instid0(SALU_CYCLE_1)
	s_and_b32 s12, s13, exec_lo
.LBB18_63:                              ;   in Loop: Header=BB18_4 Depth=1
	s_or_b32 exec_lo, exec_lo, s11
	s_delay_alu instid0(SALU_CYCLE_1)
	s_and_b32 s11, s12, exec_lo
.LBB18_64:                              ;   in Loop: Header=BB18_4 Depth=1
	s_or_b32 exec_lo, exec_lo, s10
	s_delay_alu instid0(SALU_CYCLE_1)
	s_and_b32 s10, s11, exec_lo
.LBB18_65:                              ;   in Loop: Header=BB18_4 Depth=1
	s_or_b32 exec_lo, exec_lo, s8
	v_cndmask_b32_e64 v1, 0, 1, s10
	;;#ASMSTART
	;;#ASMEND
	s_delay_alu instid0(VALU_DEP_1)
	v_cmp_ne_u32_e32 vcc_lo, 0, v1
	s_mov_b32 s8, exec_lo
	s_and_saveexec_b32 s10, s0
	s_cbranch_execz .LBB18_3
; %bb.66:                               ;   in Loop: Header=BB18_4 Depth=1
	s_cmp_eq_u32 vcc_lo, s8
	s_cselect_b32 s8, -1, 0
	s_delay_alu instid0(SALU_CYCLE_1)
	v_cndmask_b32_e64 v1, 0, 1, s8
	ds_store_b32 v5, v1
	s_branch .LBB18_3
.LBB18_67:                              ;   in Loop: Header=BB18_4 Depth=1
                                        ; implicit-def: $sgpr5
	s_cbranch_execz .LBB18_4
.LBB18_68:
	s_mov_b32 s0, exec_lo
	v_cmpx_eq_u32_e32 0, v0
	s_cbranch_execz .LBB18_70
; %bb.69:
	s_mul_i32 s0, s1, s15
	v_dual_mov_b32 v0, 0 :: v_dual_mov_b32 v1, s2
	s_add_i32 s0, s0, s14
	s_delay_alu instid0(SALU_CYCLE_1) | instskip(NEXT) | instid1(SALU_CYCLE_1)
	s_ashr_i32 s1, s0, 31
	s_lshl_b64 s[0:1], s[0:1], 2
	s_delay_alu instid0(SALU_CYCLE_1)
	s_add_u32 s0, s6, s0
	s_addc_u32 s1, s7, s1
	global_store_b32 v0, v1, s[0:1]
.LBB18_70:
	s_nop 0
	s_sendmsg sendmsg(MSG_DEALLOC_VGPRS)
	s_endpgm
	.section	.rodata,"a",@progbits
	.p2align	6, 0x0
	.amdhsa_kernel _ZL25flash_attn_mask_to_KV_maxILi16EEvPK7__half2Piiii
		.amdhsa_group_segment_fixed_size 128
		.amdhsa_private_segment_fixed_size 0
		.amdhsa_kernarg_size 288
		.amdhsa_user_sgpr_count 14
		.amdhsa_user_sgpr_dispatch_ptr 0
		.amdhsa_user_sgpr_queue_ptr 0
		.amdhsa_user_sgpr_kernarg_segment_ptr 1
		.amdhsa_user_sgpr_dispatch_id 0
		.amdhsa_user_sgpr_private_segment_size 0
		.amdhsa_wavefront_size32 1
		.amdhsa_uses_dynamic_stack 0
		.amdhsa_enable_private_segment 0
		.amdhsa_system_sgpr_workgroup_id_x 1
		.amdhsa_system_sgpr_workgroup_id_y 1
		.amdhsa_system_sgpr_workgroup_id_z 0
		.amdhsa_system_sgpr_workgroup_info 0
		.amdhsa_system_vgpr_workitem_id 0
		.amdhsa_next_free_vgpr 9
		.amdhsa_next_free_sgpr 44
		.amdhsa_reserve_vcc 1
		.amdhsa_float_round_mode_32 0
		.amdhsa_float_round_mode_16_64 0
		.amdhsa_float_denorm_mode_32 3
		.amdhsa_float_denorm_mode_16_64 3
		.amdhsa_dx10_clamp 1
		.amdhsa_ieee_mode 1
		.amdhsa_fp16_overflow 0
		.amdhsa_workgroup_processor_mode 1
		.amdhsa_memory_ordered 1
		.amdhsa_forward_progress 0
		.amdhsa_shared_vgpr_count 0
		.amdhsa_exception_fp_ieee_invalid_op 0
		.amdhsa_exception_fp_denorm_src 0
		.amdhsa_exception_fp_ieee_div_zero 0
		.amdhsa_exception_fp_ieee_overflow 0
		.amdhsa_exception_fp_ieee_underflow 0
		.amdhsa_exception_fp_ieee_inexact 0
		.amdhsa_exception_int_div_zero 0
	.end_amdhsa_kernel
	.section	.text._ZL25flash_attn_mask_to_KV_maxILi16EEvPK7__half2Piiii,"axG",@progbits,_ZL25flash_attn_mask_to_KV_maxILi16EEvPK7__half2Piiii,comdat
.Lfunc_end18:
	.size	_ZL25flash_attn_mask_to_KV_maxILi16EEvPK7__half2Piiii, .Lfunc_end18-_ZL25flash_attn_mask_to_KV_maxILi16EEvPK7__half2Piiii
                                        ; -- End function
	.section	.AMDGPU.csdata,"",@progbits
; Kernel info:
; codeLenInByte = 2432
; NumSgprs: 46
; NumVgprs: 9
; ScratchSize: 0
; MemoryBound: 0
; FloatMode: 240
; IeeeMode: 1
; LDSByteSize: 128 bytes/workgroup (compile time only)
; SGPRBlocks: 5
; VGPRBlocks: 1
; NumSGPRsForWavesPerEU: 46
; NumVGPRsForWavesPerEU: 9
; Occupancy: 16
; WaveLimiterHint : 0
; COMPUTE_PGM_RSRC2:SCRATCH_EN: 0
; COMPUTE_PGM_RSRC2:USER_SGPR: 14
; COMPUTE_PGM_RSRC2:TRAP_HANDLER: 0
; COMPUTE_PGM_RSRC2:TGID_X_EN: 1
; COMPUTE_PGM_RSRC2:TGID_Y_EN: 1
; COMPUTE_PGM_RSRC2:TGID_Z_EN: 0
; COMPUTE_PGM_RSRC2:TIDIG_COMP_CNT: 0
	.section	.text._ZL33flash_attn_stream_k_fixup_uniformILi64ELi16ELi4EEvPfPK15HIP_vector_typeIfLj2EEiiiiiiS1_IjLj3EES5_S5_,"axG",@progbits,_ZL33flash_attn_stream_k_fixup_uniformILi64ELi16ELi4EEvPfPK15HIP_vector_typeIfLj2EEiiiiiiS1_IjLj3EES5_S5_,comdat
	.globl	_ZL33flash_attn_stream_k_fixup_uniformILi64ELi16ELi4EEvPfPK15HIP_vector_typeIfLj2EEiiiiiiS1_IjLj3EES5_S5_ ; -- Begin function _ZL33flash_attn_stream_k_fixup_uniformILi64ELi16ELi4EEvPfPK15HIP_vector_typeIfLj2EEiiiiiiS1_IjLj3EES5_S5_
	.p2align	8
	.type	_ZL33flash_attn_stream_k_fixup_uniformILi64ELi16ELi4EEvPfPK15HIP_vector_typeIfLj2EEiiiiiiS1_IjLj3EES5_S5_,@function
_ZL33flash_attn_stream_k_fixup_uniformILi64ELi16ELi4EEvPfPK15HIP_vector_typeIfLj2EEiiiiiiS1_IjLj3EES5_S5_: ; @_ZL33flash_attn_stream_k_fixup_uniformILi64ELi16ELi4EEvPfPK15HIP_vector_typeIfLj2EEiiiiiiS1_IjLj3EES5_S5_
; %bb.0:
	s_clause 0x1
	s_load_b256 s[4:11], s[0:1], 0x1c
	s_load_b128 s[16:19], s[0:1], 0x3c
	s_waitcnt lgkmcnt(0)
	s_mul_hi_u32 s2, s7, s13
	s_delay_alu instid0(SALU_CYCLE_1) | instskip(NEXT) | instid1(SALU_CYCLE_1)
	s_add_i32 s2, s13, s2
	s_lshr_b32 s2, s2, s8
	s_delay_alu instid0(SALU_CYCLE_1) | instskip(SKIP_2) | instid1(SALU_CYCLE_1)
	s_mul_i32 s3, s2, s9
	s_load_b64 s[8:9], s[0:1], 0x10
	s_sub_i32 s7, s13, s3
	s_mul_hi_u32 s3, s7, s10
	s_delay_alu instid0(SALU_CYCLE_1) | instskip(NEXT) | instid1(SALU_CYCLE_1)
	s_add_i32 s3, s7, s3
	s_lshr_b32 s3, s3, s11
	s_delay_alu instid0(SALU_CYCLE_1) | instskip(NEXT) | instid1(SALU_CYCLE_1)
	s_mul_i32 s10, s3, s16
	s_sub_i32 s7, s7, s10
	s_delay_alu instid0(SALU_CYCLE_1) | instskip(NEXT) | instid1(SALU_CYCLE_1)
	s_mul_hi_u32 s10, s7, s17
	s_add_i32 s10, s7, s10
	s_delay_alu instid0(SALU_CYCLE_1) | instskip(NEXT) | instid1(SALU_CYCLE_1)
	s_lshr_b32 s10, s10, s18
	s_mul_i32 s11, s10, s19
	s_lshl_b32 s10, s10, 2
	s_sub_i32 s7, s7, s11
	s_delay_alu instid0(SALU_CYCLE_1) | instskip(NEXT) | instid1(SALU_CYCLE_1)
	s_lshl_b32 s11, s7, 4
	s_add_i32 s11, s11, s14
	s_waitcnt lgkmcnt(0)
	s_cmp_lt_i32 s11, s8
	s_cselect_b32 s11, -1, 0
	s_add_i32 s12, s10, s15
	s_delay_alu instid0(SALU_CYCLE_1) | instskip(SKIP_1) | instid1(SALU_CYCLE_1)
	s_cmp_lt_i32 s12, s5
	s_cselect_b32 s12, -1, 0
	s_and_b32 s11, s11, s12
	s_delay_alu instid0(SALU_CYCLE_1)
	s_and_not1_b32 vcc_lo, exec_lo, s11
	s_cbranch_vccnz .LBB19_6
; %bb.1:
	s_mul_i32 s2, s2, s8
	s_mul_i32 s5, s3, s5
	s_add_i32 s2, s2, s14
	s_mul_i32 s7, s9, s7
	s_mul_i32 s2, s2, s9
	s_lshl_b32 s7, s7, 10
	s_add_i32 s8, s2, s15
	s_load_b128 s[0:3], s[0:1], 0x0
	s_add_i32 s5, s8, s5
	s_lshl_b32 s9, s14, 2
	s_add_i32 s5, s5, s10
	s_delay_alu instid0(SALU_CYCLE_1) | instskip(NEXT) | instid1(SALU_CYCLE_1)
	s_lshl_b32 s5, s5, 6
	s_add_i32 s7, s7, s5
	s_mul_i32 s5, s13, s6
	v_or_b32_e32 v1, s7, v0
	s_add_i32 s10, s5, s6
	s_delay_alu instid0(VALU_DEP_1) | instskip(NEXT) | instid1(VALU_DEP_1)
	v_ashrrev_i32_e32 v2, 31, v1
	v_lshlrev_b64 v[1:2], 2, v[1:2]
	s_waitcnt lgkmcnt(0)
	s_delay_alu instid0(VALU_DEP_1) | instskip(NEXT) | instid1(VALU_DEP_2)
	v_add_co_u32 v1, vcc_lo, s0, v1
	v_add_co_ci_u32_e32 v2, vcc_lo, s1, v2, vcc_lo
	s_add_i32 s0, s9, s15
	s_lshl_b32 s1, s10, 6
	s_delay_alu instid0(SALU_CYCLE_1) | instskip(SKIP_2) | instid1(SALU_CYCLE_1)
	s_add_i32 s0, s0, s1
	global_load_b32 v5, v[1:2], off
	s_sub_i32 s0, s0, 64
	s_ashr_i32 s1, s0, 31
	s_delay_alu instid0(SALU_CYCLE_1) | instskip(NEXT) | instid1(SALU_CYCLE_1)
	s_lshl_b64 s[0:1], s[0:1], 3
	s_add_u32 s0, s2, s0
	s_addc_u32 s1, s3, s1
	s_add_i32 s7, s10, -2
	s_load_b32 s11, s[0:1], 0x4
	s_cmp_lt_i32 s7, s5
	s_cbranch_scc1 .LBB19_4
; %bb.2:
	s_lshl_b32 s16, s4, 8
	s_load_b32 s12, s[0:1], 0x0
	s_ashr_i32 s17, s16, 31
	s_delay_alu instid0(SALU_CYCLE_1) | instskip(NEXT) | instid1(SALU_CYCLE_1)
	s_lshl_b64 s[0:1], s[16:17], 2
	s_add_u32 s7, s2, s0
	s_addc_u32 s8, s3, s1
	s_add_i32 s13, s13, 1
	s_lshl_b32 s0, s14, 8
	s_lshl_b32 s1, s15, 6
	s_mul_i32 s6, s6, s13
	s_add_i32 s0, s1, s0
	s_lshl_b32 s1, s6, 12
	s_delay_alu instid0(SALU_CYCLE_1)
	s_add_i32 s0, s0, s1
	s_lshl_b32 s1, s6, 6
	v_or_b32_e32 v0, s0, v0
	s_lshl_b32 s0, s4, 6
	s_add_i32 s1, s15, s1
	s_waitcnt lgkmcnt(0)
	v_mov_b32_e32 v6, s11
	s_add_i32 s0, s1, s0
	v_dual_mov_b32 v0, s12 :: v_dual_add_nc_u32 v3, 0xffffe000, v0
	s_add_i32 s0, s0, s9
	s_add_i32 s4, s10, -1
	s_addk_i32 s0, 0xff80
.LBB19_3:                               ; =>This Inner Loop Header: Depth=1
	s_delay_alu instid0(VALU_DEP_1) | instskip(SKIP_1) | instid1(SALU_CYCLE_1)
	v_ashrrev_i32_e32 v4, 31, v3
	s_ashr_i32 s1, s0, 31
	s_lshl_b64 s[10:11], s[0:1], 3
	s_delay_alu instid0(SALU_CYCLE_1) | instskip(NEXT) | instid1(VALU_DEP_1)
	s_add_u32 s10, s2, s10
	v_lshlrev_b64 v[7:8], 2, v[3:4]
	s_addc_u32 s11, s3, s11
	s_add_i32 s4, s4, -1
	s_sub_i32 s0, s0, 64
	s_cmp_le_i32 s4, s5
	s_load_b64 s[10:11], s[10:11], 0x0
	v_add_co_u32 v7, vcc_lo, s7, v7
	v_add_co_ci_u32_e32 v8, vcc_lo, s8, v8, vcc_lo
	global_load_b32 v4, v[7:8], off
	v_max_f32_e32 v7, v0, v0
	s_waitcnt lgkmcnt(0)
	v_max_f32_e64 v8, s10, s10
	s_delay_alu instid0(VALU_DEP_1) | instskip(NEXT) | instid1(VALU_DEP_1)
	v_max_f32_e32 v7, v7, v8
	v_sub_f32_e32 v8, s10, v7
	s_delay_alu instid0(VALU_DEP_1) | instskip(NEXT) | instid1(VALU_DEP_1)
	v_dual_sub_f32 v0, v0, v7 :: v_dual_mul_f32 v9, 0x3fb8aa3b, v8
	v_fma_f32 v10, 0x3fb8aa3b, v8, -v9
	v_rndne_f32_e32 v11, v9
	s_delay_alu instid0(VALU_DEP_3) | instskip(NEXT) | instid1(VALU_DEP_2)
	v_mul_f32_e32 v12, 0x3fb8aa3b, v0
	v_dual_fmac_f32 v10, 0x32a5705f, v8 :: v_dual_sub_f32 v9, v9, v11
	v_cvt_i32_f32_e32 v11, v11
	s_delay_alu instid0(VALU_DEP_3) | instskip(SKIP_1) | instid1(VALU_DEP_4)
	v_fma_f32 v13, 0x3fb8aa3b, v0, -v12
	v_rndne_f32_e32 v14, v12
	v_add_f32_e32 v9, v9, v10
	v_cmp_ngt_f32_e32 vcc_lo, 0xc2ce8ed0, v8
	s_delay_alu instid0(VALU_DEP_3) | instskip(NEXT) | instid1(VALU_DEP_3)
	v_sub_f32_e32 v10, v12, v14
	v_exp_f32_e32 v9, v9
	s_waitcnt_depctr 0xfff
	v_ldexp_f32 v9, v9, v11
	v_cvt_i32_f32_e32 v11, v14
	s_delay_alu instid0(VALU_DEP_2) | instskip(SKIP_1) | instid1(VALU_DEP_2)
	v_cndmask_b32_e32 v9, 0, v9, vcc_lo
	v_cmp_nlt_f32_e32 vcc_lo, 0x42b17218, v8
	v_cndmask_b32_e32 v9, 0x7f800000, v9, vcc_lo
	v_cmp_ngt_f32_e32 vcc_lo, 0xc2ce8ed0, v0
	v_fmac_f32_e32 v13, 0x32a5705f, v0
	s_delay_alu instid0(VALU_DEP_1) | instskip(NEXT) | instid1(VALU_DEP_1)
	v_add_f32_e32 v10, v10, v13
	v_exp_f32_e32 v10, v10
	s_waitcnt_depctr 0xfff
	v_ldexp_f32 v10, v10, v11
	s_delay_alu instid0(VALU_DEP_1)
	v_dual_mov_b32 v11, v6 :: v_dual_cndmask_b32 v10, 0, v10
	v_cmp_le_f32_e32 vcc_lo, 0xc1a00000, v8
	s_waitcnt vmcnt(1)
	v_dual_cndmask_b32 v8, 0, v9 :: v_dual_mov_b32 v9, v5
	v_cmp_nlt_f32_e32 vcc_lo, 0x42b17218, v0
	v_cndmask_b32_e32 v5, 0x7f800000, v10, vcc_lo
	s_delay_alu instid0(VALU_DEP_3) | instskip(SKIP_2) | instid1(VALU_DEP_3)
	v_mul_f32_e32 v10, s11, v8
	v_cmp_le_f32_e32 vcc_lo, 0xc1a00000, v0
	v_mov_b32_e32 v0, v7
	v_mov_b32_e32 v6, v10
	s_waitcnt vmcnt(0)
	v_dual_cndmask_b32 v12, 0, v5 :: v_dual_mul_f32 v5, v4, v8
	s_delay_alu instid0(VALU_DEP_1) | instskip(NEXT) | instid1(VALU_DEP_2)
	v_dual_fmac_f32 v6, v11, v12 :: v_dual_add_nc_u32 v3, 0xfffff000, v3
	v_fmac_f32_e32 v5, v9, v12
	s_cbranch_scc0 .LBB19_3
	s_branch .LBB19_5
.LBB19_4:
	s_waitcnt lgkmcnt(0)
	v_mov_b32_e32 v6, s11
.LBB19_5:
	s_waitcnt vmcnt(0)
	s_delay_alu instid0(VALU_DEP_1) | instskip(NEXT) | instid1(VALU_DEP_1)
	v_div_scale_f32 v0, null, v6, v6, v5
	v_rcp_f32_e32 v3, v0
	s_waitcnt_depctr 0xfff
	v_fma_f32 v4, -v0, v3, 1.0
	s_delay_alu instid0(VALU_DEP_1) | instskip(SKIP_1) | instid1(VALU_DEP_1)
	v_fmac_f32_e32 v3, v4, v3
	v_div_scale_f32 v4, vcc_lo, v5, v6, v5
	v_mul_f32_e32 v7, v4, v3
	s_delay_alu instid0(VALU_DEP_1) | instskip(NEXT) | instid1(VALU_DEP_1)
	v_fma_f32 v8, -v0, v7, v4
	v_fmac_f32_e32 v7, v8, v3
	s_delay_alu instid0(VALU_DEP_1) | instskip(NEXT) | instid1(VALU_DEP_1)
	v_fma_f32 v0, -v0, v7, v4
	v_div_fmas_f32 v0, v0, v3, v7
	s_delay_alu instid0(VALU_DEP_1)
	v_div_fixup_f32 v0, v0, v6, v5
	global_store_b32 v[1:2], v0, off
.LBB19_6:
	s_nop 0
	s_sendmsg sendmsg(MSG_DEALLOC_VGPRS)
	s_endpgm
	.section	.rodata,"a",@progbits
	.p2align	6, 0x0
	.amdhsa_kernel _ZL33flash_attn_stream_k_fixup_uniformILi64ELi16ELi4EEvPfPK15HIP_vector_typeIfLj2EEiiiiiiS1_IjLj3EES5_S5_
		.amdhsa_group_segment_fixed_size 0
		.amdhsa_private_segment_fixed_size 0
		.amdhsa_kernarg_size 76
		.amdhsa_user_sgpr_count 13
		.amdhsa_user_sgpr_dispatch_ptr 0
		.amdhsa_user_sgpr_queue_ptr 0
		.amdhsa_user_sgpr_kernarg_segment_ptr 1
		.amdhsa_user_sgpr_dispatch_id 0
		.amdhsa_user_sgpr_private_segment_size 0
		.amdhsa_wavefront_size32 1
		.amdhsa_uses_dynamic_stack 0
		.amdhsa_enable_private_segment 0
		.amdhsa_system_sgpr_workgroup_id_x 1
		.amdhsa_system_sgpr_workgroup_id_y 1
		.amdhsa_system_sgpr_workgroup_id_z 1
		.amdhsa_system_sgpr_workgroup_info 0
		.amdhsa_system_vgpr_workitem_id 0
		.amdhsa_next_free_vgpr 15
		.amdhsa_next_free_sgpr 20
		.amdhsa_reserve_vcc 1
		.amdhsa_float_round_mode_32 0
		.amdhsa_float_round_mode_16_64 0
		.amdhsa_float_denorm_mode_32 3
		.amdhsa_float_denorm_mode_16_64 3
		.amdhsa_dx10_clamp 1
		.amdhsa_ieee_mode 1
		.amdhsa_fp16_overflow 0
		.amdhsa_workgroup_processor_mode 1
		.amdhsa_memory_ordered 1
		.amdhsa_forward_progress 0
		.amdhsa_shared_vgpr_count 0
		.amdhsa_exception_fp_ieee_invalid_op 0
		.amdhsa_exception_fp_denorm_src 0
		.amdhsa_exception_fp_ieee_div_zero 0
		.amdhsa_exception_fp_ieee_overflow 0
		.amdhsa_exception_fp_ieee_underflow 0
		.amdhsa_exception_fp_ieee_inexact 0
		.amdhsa_exception_int_div_zero 0
	.end_amdhsa_kernel
	.section	.text._ZL33flash_attn_stream_k_fixup_uniformILi64ELi16ELi4EEvPfPK15HIP_vector_typeIfLj2EEiiiiiiS1_IjLj3EES5_S5_,"axG",@progbits,_ZL33flash_attn_stream_k_fixup_uniformILi64ELi16ELi4EEvPfPK15HIP_vector_typeIfLj2EEiiiiiiS1_IjLj3EES5_S5_,comdat
.Lfunc_end19:
	.size	_ZL33flash_attn_stream_k_fixup_uniformILi64ELi16ELi4EEvPfPK15HIP_vector_typeIfLj2EEiiiiiiS1_IjLj3EES5_S5_, .Lfunc_end19-_ZL33flash_attn_stream_k_fixup_uniformILi64ELi16ELi4EEvPfPK15HIP_vector_typeIfLj2EEiiiiiiS1_IjLj3EES5_S5_
                                        ; -- End function
	.section	.AMDGPU.csdata,"",@progbits
; Kernel info:
; codeLenInByte = 996
; NumSgprs: 22
; NumVgprs: 15
; ScratchSize: 0
; MemoryBound: 0
; FloatMode: 240
; IeeeMode: 1
; LDSByteSize: 0 bytes/workgroup (compile time only)
; SGPRBlocks: 2
; VGPRBlocks: 1
; NumSGPRsForWavesPerEU: 22
; NumVGPRsForWavesPerEU: 15
; Occupancy: 16
; WaveLimiterHint : 0
; COMPUTE_PGM_RSRC2:SCRATCH_EN: 0
; COMPUTE_PGM_RSRC2:USER_SGPR: 13
; COMPUTE_PGM_RSRC2:TRAP_HANDLER: 0
; COMPUTE_PGM_RSRC2:TGID_X_EN: 1
; COMPUTE_PGM_RSRC2:TGID_Y_EN: 1
; COMPUTE_PGM_RSRC2:TGID_Z_EN: 1
; COMPUTE_PGM_RSRC2:TIDIG_COMP_CNT: 0
	.section	.text._ZL33flash_attn_stream_k_fixup_generalILi64ELi16ELi4EEvPfPK15HIP_vector_typeIfLj2EEiiiiS1_IjLj3EES5_S5_S5_,"axG",@progbits,_ZL33flash_attn_stream_k_fixup_generalILi64ELi16ELi4EEvPfPK15HIP_vector_typeIfLj2EEiiiiS1_IjLj3EES5_S5_S5_,comdat
	.globl	_ZL33flash_attn_stream_k_fixup_generalILi64ELi16ELi4EEvPfPK15HIP_vector_typeIfLj2EEiiiiS1_IjLj3EES5_S5_S5_ ; -- Begin function _ZL33flash_attn_stream_k_fixup_generalILi64ELi16ELi4EEvPfPK15HIP_vector_typeIfLj2EEiiiiS1_IjLj3EES5_S5_S5_
	.p2align	8
	.type	_ZL33flash_attn_stream_k_fixup_generalILi64ELi16ELi4EEvPfPK15HIP_vector_typeIfLj2EEiiiiS1_IjLj3EES5_S5_S5_,@function
_ZL33flash_attn_stream_k_fixup_generalILi64ELi16ELi4EEvPfPK15HIP_vector_typeIfLj2EEiiiiS1_IjLj3EES5_S5_S5_: ; @_ZL33flash_attn_stream_k_fixup_generalILi64ELi16ELi4EEvPfPK15HIP_vector_typeIfLj2EEiiiiS1_IjLj3EES5_S5_S5_
; %bb.0:
	s_clause 0x1
	s_load_b128 s[4:7], s[0:1], 0x10
	s_load_b32 s20, s[0:1], 0x50
	s_mov_b32 s2, 0
	s_waitcnt lgkmcnt(0)
	s_mul_hi_i32 s3, s7, s13
	s_mul_i32 s12, s7, s13
	s_cmp_lg_u64 s[2:3], 0
	s_cbranch_scc0 .LBB20_21
; %bb.1:
	v_cvt_f32_ubyte0_e32 v1, 0
	v_cvt_f32_u32_e32 v2, s20
	s_sub_u32 s10, 0, s20
	s_subb_u32 s11, 0, 0
	s_delay_alu instid0(VALU_DEP_1) | instskip(NEXT) | instid1(VALU_DEP_1)
	v_fmamk_f32 v1, v1, 0x4f800000, v2
	v_rcp_f32_e32 v1, v1
	s_waitcnt_depctr 0xfff
	v_mul_f32_e32 v1, 0x5f7ffffc, v1
	s_delay_alu instid0(VALU_DEP_1) | instskip(NEXT) | instid1(VALU_DEP_1)
	v_mul_f32_e32 v2, 0x2f800000, v1
	v_trunc_f32_e32 v2, v2
	s_delay_alu instid0(VALU_DEP_1) | instskip(SKIP_1) | instid1(VALU_DEP_2)
	v_fmamk_f32 v1, v2, 0xcf800000, v1
	v_cvt_u32_f32_e32 v2, v2
	v_cvt_u32_f32_e32 v1, v1
	s_delay_alu instid0(VALU_DEP_2) | instskip(NEXT) | instid1(VALU_DEP_2)
	v_readfirstlane_b32 s8, v2
	v_readfirstlane_b32 s9, v1
	s_delay_alu instid0(VALU_DEP_2) | instskip(NEXT) | instid1(VALU_DEP_1)
	s_mul_i32 s16, s10, s8
	s_mul_hi_u32 s18, s10, s9
	s_mul_i32 s17, s11, s9
	s_add_i32 s16, s18, s16
	s_mul_i32 s19, s10, s9
	s_add_i32 s16, s16, s17
	s_mul_hi_u32 s18, s9, s19
	s_mul_hi_u32 s21, s8, s19
	s_mul_i32 s17, s8, s19
	s_mul_hi_u32 s19, s9, s16
	s_mul_i32 s9, s9, s16
	s_mul_hi_u32 s22, s8, s16
	s_add_u32 s9, s18, s9
	s_addc_u32 s18, 0, s19
	s_add_u32 s9, s9, s17
	s_mul_i32 s16, s8, s16
	s_addc_u32 s9, s18, s21
	s_addc_u32 s17, s22, 0
	s_add_u32 s9, s9, s16
	s_addc_u32 s16, 0, s17
	v_add_co_u32 v1, s9, v1, s9
	s_delay_alu instid0(VALU_DEP_1) | instskip(SKIP_1) | instid1(VALU_DEP_1)
	s_cmp_lg_u32 s9, 0
	s_addc_u32 s8, s8, s16
	v_readfirstlane_b32 s9, v1
	s_mul_i32 s16, s10, s8
	s_delay_alu instid0(VALU_DEP_1)
	s_mul_hi_u32 s17, s10, s9
	s_mul_i32 s11, s11, s9
	s_add_i32 s16, s17, s16
	s_mul_i32 s10, s10, s9
	s_add_i32 s16, s16, s11
	s_mul_hi_u32 s17, s8, s10
	s_mul_i32 s18, s8, s10
	s_mul_hi_u32 s10, s9, s10
	s_mul_hi_u32 s19, s9, s16
	s_mul_i32 s9, s9, s16
	s_mul_hi_u32 s11, s8, s16
	s_add_u32 s9, s10, s9
	s_addc_u32 s10, 0, s19
	s_add_u32 s9, s9, s18
	s_mul_i32 s16, s8, s16
	s_addc_u32 s9, s10, s17
	s_addc_u32 s10, s11, 0
	s_add_u32 s9, s9, s16
	s_addc_u32 s10, 0, s10
	v_add_co_u32 v1, s9, v1, s9
	s_delay_alu instid0(VALU_DEP_1) | instskip(SKIP_2) | instid1(SALU_CYCLE_1)
	s_cmp_lg_u32 s9, 0
	s_addc_u32 s16, s8, s10
	s_ashr_i32 s8, s3, 31
	s_add_u32 s10, s12, s8
	s_addc_u32 s11, s3, s8
	v_readfirstlane_b32 s3, v1
	s_mov_b32 s9, s8
	s_delay_alu instid0(SALU_CYCLE_1) | instskip(NEXT) | instid1(SALU_CYCLE_1)
	s_xor_b64 s[10:11], s[10:11], s[8:9]
	s_mul_i32 s18, s10, s16
	s_delay_alu instid0(VALU_DEP_1)
	s_mul_hi_u32 s19, s10, s3
	s_mul_hi_u32 s17, s10, s16
	;; [unrolled: 1-line block ×3, first 2 shown]
	s_mul_i32 s3, s11, s3
	s_add_u32 s18, s19, s18
	s_addc_u32 s17, 0, s17
	s_mul_hi_u32 s21, s11, s16
	s_add_u32 s3, s18, s3
	s_mul_i32 s16, s11, s16
	s_addc_u32 s3, s17, s22
	s_addc_u32 s17, s21, 0
	s_add_u32 s3, s3, s16
	s_addc_u32 s16, 0, s17
	s_mul_i32 s18, s20, s3
	s_add_u32 s17, s3, 1
	v_sub_co_u32 v1, s10, s10, s18
	s_mul_hi_u32 s18, s20, s3
	s_addc_u32 s19, s16, 0
	s_mul_i32 s21, s20, s16
	s_delay_alu instid0(VALU_DEP_1)
	v_sub_co_u32 v2, s22, v1, s20
	s_add_u32 s23, s3, 2
	s_addc_u32 s24, s16, 0
	s_add_i32 s18, s18, s21
	s_cmp_lg_u32 s10, 0
	v_readfirstlane_b32 s10, v2
	s_subb_u32 s11, s11, s18
	s_cmp_lg_u32 s22, 0
	s_subb_u32 s18, s11, 0
	s_delay_alu instid0(VALU_DEP_1) | instskip(SKIP_4) | instid1(SALU_CYCLE_1)
	s_cmp_ge_u32 s10, s20
	s_cselect_b32 s10, -1, 0
	s_cmp_eq_u32 s18, 0
	v_readfirstlane_b32 s18, v1
	s_cselect_b32 s10, s10, -1
	s_cmp_lg_u32 s10, 0
	s_cselect_b32 s10, s23, s17
	s_cselect_b32 s17, s24, s19
	s_cmp_ge_u32 s18, s20
	s_cselect_b32 s18, -1, 0
	s_cmp_eq_u32 s11, 0
	s_cselect_b32 s11, s18, -1
	s_delay_alu instid0(SALU_CYCLE_1) | instskip(SKIP_2) | instid1(SALU_CYCLE_1)
	s_cmp_lg_u32 s11, 0
	s_cselect_b32 s11, s17, s16
	s_cselect_b32 s10, s10, s3
	s_xor_b64 s[10:11], s[10:11], s[8:9]
	s_delay_alu instid0(SALU_CYCLE_1)
	s_sub_u32 s16, s10, s8
	s_load_b128 s[8:11], s[0:1], 0x44
	s_and_not1_b32 vcc_lo, exec_lo, s2
	s_cbranch_vccnz .LBB20_3
.LBB20_2:
	v_cvt_f32_u32_e32 v1, s20
	s_sub_i32 s3, 0, s20
	s_delay_alu instid0(VALU_DEP_1) | instskip(SKIP_2) | instid1(VALU_DEP_1)
	v_rcp_iflag_f32_e32 v1, v1
	s_waitcnt_depctr 0xfff
	v_mul_f32_e32 v1, 0x4f7ffffe, v1
	v_cvt_u32_f32_e32 v1, v1
	s_delay_alu instid0(VALU_DEP_1) | instskip(NEXT) | instid1(VALU_DEP_1)
	v_readfirstlane_b32 s2, v1
	s_mul_i32 s3, s3, s2
	s_delay_alu instid0(SALU_CYCLE_1) | instskip(NEXT) | instid1(SALU_CYCLE_1)
	s_mul_hi_u32 s3, s2, s3
	s_add_i32 s2, s2, s3
	s_delay_alu instid0(SALU_CYCLE_1) | instskip(NEXT) | instid1(SALU_CYCLE_1)
	s_mul_hi_u32 s2, s12, s2
	s_mul_i32 s3, s2, s20
	s_waitcnt lgkmcnt(0)
	s_add_i32 s11, s2, 1
	s_sub_i32 s3, s12, s3
	s_delay_alu instid0(SALU_CYCLE_1)
	s_sub_i32 s12, s3, s20
	s_cmp_ge_u32 s3, s20
	s_cselect_b32 s2, s11, s2
	s_cselect_b32 s3, s12, s3
	s_add_i32 s11, s2, 1
	s_cmp_ge_u32 s3, s20
	s_cselect_b32 s16, s11, s2
.LBB20_3:
	s_waitcnt lgkmcnt(0)
	s_add_i32 s11, s13, 1
	s_mov_b32 s2, 0
	s_mul_hi_i32 s3, s7, s11
	s_mul_i32 s11, s7, s11
	s_cmp_lg_u64 s[2:3], 0
	s_cbranch_scc0 .LBB20_22
; %bb.4:
	v_cvt_f32_ubyte0_e32 v1, 0
	v_cvt_f32_u32_e32 v2, s20
	s_sub_u32 s18, 0, s20
	s_subb_u32 s19, 0, 0
	s_delay_alu instid0(VALU_DEP_1) | instskip(NEXT) | instid1(VALU_DEP_1)
	v_fmamk_f32 v1, v1, 0x4f800000, v2
	v_rcp_f32_e32 v1, v1
	s_waitcnt_depctr 0xfff
	v_mul_f32_e32 v1, 0x5f7ffffc, v1
	s_delay_alu instid0(VALU_DEP_1) | instskip(NEXT) | instid1(VALU_DEP_1)
	v_mul_f32_e32 v2, 0x2f800000, v1
	v_trunc_f32_e32 v2, v2
	s_delay_alu instid0(VALU_DEP_1) | instskip(SKIP_1) | instid1(VALU_DEP_2)
	v_fmamk_f32 v1, v2, 0xcf800000, v1
	v_cvt_u32_f32_e32 v2, v2
	v_cvt_u32_f32_e32 v1, v1
	s_delay_alu instid0(VALU_DEP_2) | instskip(NEXT) | instid1(VALU_DEP_2)
	v_readfirstlane_b32 s12, v2
	v_readfirstlane_b32 s17, v1
	s_delay_alu instid0(VALU_DEP_2) | instskip(NEXT) | instid1(VALU_DEP_1)
	s_mul_i32 s21, s18, s12
	s_mul_hi_u32 s23, s18, s17
	s_mul_i32 s22, s19, s17
	s_add_i32 s21, s23, s21
	s_mul_i32 s24, s18, s17
	s_add_i32 s21, s21, s22
	s_mul_hi_u32 s23, s17, s24
	s_mul_hi_u32 s25, s12, s24
	s_mul_i32 s22, s12, s24
	s_mul_hi_u32 s24, s17, s21
	s_mul_i32 s17, s17, s21
	s_mul_hi_u32 s26, s12, s21
	s_add_u32 s17, s23, s17
	s_addc_u32 s23, 0, s24
	s_add_u32 s17, s17, s22
	s_mul_i32 s21, s12, s21
	s_addc_u32 s17, s23, s25
	s_addc_u32 s22, s26, 0
	s_add_u32 s17, s17, s21
	s_addc_u32 s21, 0, s22
	v_add_co_u32 v1, s17, v1, s17
	s_delay_alu instid0(VALU_DEP_1) | instskip(SKIP_1) | instid1(VALU_DEP_1)
	s_cmp_lg_u32 s17, 0
	s_addc_u32 s12, s12, s21
	v_readfirstlane_b32 s17, v1
	s_mul_i32 s21, s18, s12
	s_delay_alu instid0(VALU_DEP_1)
	s_mul_hi_u32 s22, s18, s17
	s_mul_i32 s19, s19, s17
	s_add_i32 s21, s22, s21
	s_mul_i32 s18, s18, s17
	s_add_i32 s21, s21, s19
	s_mul_hi_u32 s22, s12, s18
	s_mul_i32 s23, s12, s18
	s_mul_hi_u32 s18, s17, s18
	s_mul_hi_u32 s24, s17, s21
	s_mul_i32 s17, s17, s21
	s_mul_hi_u32 s19, s12, s21
	s_add_u32 s17, s18, s17
	s_addc_u32 s18, 0, s24
	s_add_u32 s17, s17, s23
	s_mul_i32 s21, s12, s21
	s_addc_u32 s17, s18, s22
	s_addc_u32 s18, s19, 0
	s_add_u32 s17, s17, s21
	s_addc_u32 s18, 0, s18
	v_add_co_u32 v1, s17, v1, s17
	s_delay_alu instid0(VALU_DEP_1) | instskip(SKIP_2) | instid1(SALU_CYCLE_1)
	s_cmp_lg_u32 s17, 0
	s_addc_u32 s12, s12, s18
	s_ashr_i32 s18, s3, 31
	s_add_u32 s22, s11, s18
	s_addc_u32 s23, s3, s18
	v_readfirstlane_b32 s3, v1
	s_mov_b32 s19, s18
	s_delay_alu instid0(SALU_CYCLE_1) | instskip(NEXT) | instid1(SALU_CYCLE_1)
	s_xor_b64 s[22:23], s[22:23], s[18:19]
	s_mul_i32 s21, s22, s12
	s_delay_alu instid0(VALU_DEP_1)
	s_mul_hi_u32 s24, s22, s3
	s_mul_hi_u32 s17, s22, s12
	;; [unrolled: 1-line block ×3, first 2 shown]
	s_mul_i32 s3, s23, s3
	s_add_u32 s21, s24, s21
	s_addc_u32 s17, 0, s17
	s_mul_hi_u32 s25, s23, s12
	s_add_u32 s3, s21, s3
	s_mul_i32 s12, s23, s12
	s_addc_u32 s3, s17, s26
	s_addc_u32 s17, s25, 0
	s_add_u32 s3, s3, s12
	s_addc_u32 s12, 0, s17
	s_mul_i32 s21, s20, s3
	s_add_u32 s17, s3, 1
	v_sub_co_u32 v1, s21, s22, s21
	s_mul_hi_u32 s22, s20, s3
	s_addc_u32 s24, s12, 0
	s_mul_i32 s25, s20, s12
	s_delay_alu instid0(VALU_DEP_1)
	v_sub_co_u32 v2, s26, v1, s20
	s_add_u32 s27, s3, 2
	s_addc_u32 s28, s12, 0
	s_add_i32 s22, s22, s25
	s_cmp_lg_u32 s21, 0
	v_readfirstlane_b32 s21, v2
	s_subb_u32 s22, s23, s22
	s_cmp_lg_u32 s26, 0
	s_subb_u32 s23, s22, 0
	s_delay_alu instid0(VALU_DEP_1) | instskip(SKIP_4) | instid1(SALU_CYCLE_1)
	s_cmp_ge_u32 s21, s20
	s_cselect_b32 s21, -1, 0
	s_cmp_eq_u32 s23, 0
	v_readfirstlane_b32 s23, v1
	s_cselect_b32 s21, s21, -1
	s_cmp_lg_u32 s21, 0
	s_cselect_b32 s17, s27, s17
	s_cselect_b32 s21, s28, s24
	s_cmp_ge_u32 s23, s20
	s_cselect_b32 s23, -1, 0
	s_cmp_eq_u32 s22, 0
	s_cselect_b32 s22, s23, -1
	s_delay_alu instid0(SALU_CYCLE_1) | instskip(SKIP_2) | instid1(SALU_CYCLE_1)
	s_cmp_lg_u32 s22, 0
	s_cselect_b32 s23, s21, s12
	s_cselect_b32 s22, s17, s3
	s_xor_b64 s[22:23], s[22:23], s[18:19]
	s_delay_alu instid0(SALU_CYCLE_1)
	s_sub_u32 s18, s22, s18
	s_and_not1_b32 vcc_lo, exec_lo, s2
	s_cbranch_vccnz .LBB20_6
.LBB20_5:
	v_cvt_f32_u32_e32 v1, s20
	s_sub_i32 s3, 0, s20
	s_delay_alu instid0(VALU_DEP_1) | instskip(SKIP_2) | instid1(VALU_DEP_1)
	v_rcp_iflag_f32_e32 v1, v1
	s_waitcnt_depctr 0xfff
	v_mul_f32_e32 v1, 0x4f7ffffe, v1
	v_cvt_u32_f32_e32 v1, v1
	s_delay_alu instid0(VALU_DEP_1) | instskip(NEXT) | instid1(VALU_DEP_1)
	v_readfirstlane_b32 s2, v1
	s_mul_i32 s3, s3, s2
	s_delay_alu instid0(SALU_CYCLE_1) | instskip(NEXT) | instid1(SALU_CYCLE_1)
	s_mul_hi_u32 s3, s2, s3
	s_add_i32 s2, s2, s3
	s_delay_alu instid0(SALU_CYCLE_1) | instskip(NEXT) | instid1(SALU_CYCLE_1)
	s_mul_hi_u32 s2, s11, s2
	s_mul_i32 s3, s2, s20
	s_delay_alu instid0(SALU_CYCLE_1)
	s_sub_i32 s3, s11, s3
	s_add_i32 s11, s2, 1
	s_sub_i32 s12, s3, s20
	s_cmp_ge_u32 s3, s20
	s_cselect_b32 s2, s11, s2
	s_cselect_b32 s3, s12, s3
	s_add_i32 s11, s2, 1
	s_cmp_ge_u32 s3, s20
	s_cselect_b32 s18, s11, s2
.LBB20_6:
	s_delay_alu instid0(SALU_CYCLE_1) | instskip(SKIP_3) | instid1(SALU_CYCLE_1)
	s_cmp_eq_u32 s16, s18
	s_mul_hi_u32 s2, s16, s8
	s_cselect_b32 s3, -1, 0
	s_add_i32 s2, s2, s16
	s_lshr_b32 s11, s2, s9
	s_delay_alu instid0(SALU_CYCLE_1) | instskip(NEXT) | instid1(SALU_CYCLE_1)
	s_mul_i32 s2, s11, s10
	s_cmp_eq_u32 s2, s16
	s_mul_hi_u32 s2, s18, s8
	s_cselect_b32 s12, -1, 0
	s_add_i32 s2, s2, s18
	s_delay_alu instid0(SALU_CYCLE_1) | instskip(NEXT) | instid1(SALU_CYCLE_1)
	s_lshr_b32 s2, s2, s9
	s_cmp_eq_u32 s11, s2
	s_mul_i32 s2, s2, s10
	s_cselect_b32 s17, -1, 0
	s_cmp_lg_u32 s2, s18
	s_cselect_b32 s2, -1, 0
	s_or_b32 s3, s3, s12
	s_and_b32 s2, s17, s2
	s_delay_alu instid0(SALU_CYCLE_1) | instskip(NEXT) | instid1(SALU_CYCLE_1)
	s_or_b32 s2, s3, s2
	s_and_b32 vcc_lo, exec_lo, s2
	s_cbranch_vccnz .LBB20_24
; %bb.7:
	s_load_b256 s[24:31], s[0:1], 0x20
	s_waitcnt lgkmcnt(0)
	s_mul_hi_u32 s2, s16, s24
	s_delay_alu instid0(SALU_CYCLE_1) | instskip(NEXT) | instid1(SALU_CYCLE_1)
	s_add_i32 s2, s2, s16
	s_lshr_b32 s17, s2, s25
	s_load_b32 s2, s[0:1], 0x40
	s_mul_i32 s3, s17, s26
	s_delay_alu instid0(SALU_CYCLE_1) | instskip(NEXT) | instid1(SALU_CYCLE_1)
	s_sub_i32 s3, s16, s3
	s_mul_hi_u32 s12, s3, s27
	s_delay_alu instid0(SALU_CYCLE_1) | instskip(NEXT) | instid1(SALU_CYCLE_1)
	s_add_i32 s12, s3, s12
	s_lshr_b32 s21, s12, s28
	s_delay_alu instid0(SALU_CYCLE_1) | instskip(NEXT) | instid1(SALU_CYCLE_1)
	s_mul_i32 s12, s21, s29
	s_sub_i32 s3, s3, s12
	s_delay_alu instid0(SALU_CYCLE_1) | instskip(NEXT) | instid1(SALU_CYCLE_1)
	s_mul_hi_u32 s12, s3, s30
	s_add_i32 s12, s3, s12
	s_delay_alu instid0(SALU_CYCLE_1)
	s_lshr_b32 s12, s12, s31
	s_waitcnt lgkmcnt(0)
	s_mul_i32 s2, s12, s2
	s_lshl_b32 s23, s12, 2
	s_sub_i32 s2, s3, s2
	s_mov_b32 s12, 0
	s_mul_hi_u32 s3, s2, s8
	s_delay_alu instid0(SALU_CYCLE_1) | instskip(NEXT) | instid1(SALU_CYCLE_1)
	s_add_i32 s2, s2, s3
	s_lshr_b32 s22, s2, s9
	s_delay_alu instid0(SALU_CYCLE_1) | instskip(NEXT) | instid1(SALU_CYCLE_1)
	s_lshl_b32 s2, s22, 4
	s_add_i32 s2, s2, s14
	s_delay_alu instid0(SALU_CYCLE_1) | instskip(SKIP_2) | instid1(SALU_CYCLE_1)
	s_cmp_lt_i32 s2, s4
	s_cselect_b32 s2, -1, 0
	s_add_i32 s3, s23, s15
	s_cmp_lt_i32 s3, s6
	s_cselect_b32 s3, -1, 0
	s_delay_alu instid0(SALU_CYCLE_1) | instskip(NEXT) | instid1(SALU_CYCLE_1)
	s_and_b32 s2, s2, s3
	s_and_not1_b32 vcc_lo, exec_lo, s2
	s_cbranch_vccnz .LBB20_24
; %bb.8:
	s_load_b128 s[0:3], s[0:1], 0x0
	s_lshl_b32 s18, s20, 8
	s_mov_b32 s19, s12
	s_lshl_b32 s24, s14, 2
	s_lshl_b64 s[18:19], s[18:19], 2
	s_mul_i32 s4, s17, s4
	s_add_i32 s17, s24, s15
	s_mul_i32 s21, s21, s6
	v_cvt_f32_ubyte0_e32 v4, 0
	v_cvt_f32_u32_e32 v5, s20
	s_waitcnt lgkmcnt(0)
	s_add_u32 s18, s2, s18
	s_addc_u32 s19, s3, s19
	s_add_i32 s4, s4, s14
	s_delay_alu instid0(SALU_CYCLE_1) | instskip(SKIP_4) | instid1(SALU_CYCLE_1)
	s_mul_i32 s4, s4, s5
	s_mul_i32 s5, s5, s22
	s_add_i32 s4, s4, s15
	s_lshl_b32 s5, s5, 10
	s_add_i32 s4, s4, s21
	s_add_i32 s4, s4, s23
	s_delay_alu instid0(SALU_CYCLE_1) | instskip(NEXT) | instid1(SALU_CYCLE_1)
	s_lshl_b32 s4, s4, 6
	s_add_i32 s5, s5, s4
	s_delay_alu instid0(SALU_CYCLE_1) | instskip(SKIP_1) | instid1(VALU_DEP_2)
	v_or_b32_e32 v1, s5, v0
	v_lshl_or_b32 v0, s17, 6, v0
	v_ashrrev_i32_e32 v2, 31, v1
	s_delay_alu instid0(VALU_DEP_1) | instskip(NEXT) | instid1(VALU_DEP_1)
	v_lshlrev_b64 v[1:2], 2, v[1:2]
	v_add_co_u32 v1, vcc_lo, s0, v1
	s_delay_alu instid0(VALU_DEP_2) | instskip(SKIP_1) | instid1(SALU_CYCLE_1)
	v_add_co_ci_u32_e32 v2, vcc_lo, s1, v2, vcc_lo
	s_lshl_b32 s0, s13, 6
	s_add_i32 s0, s17, s0
	global_load_b32 v3, v[1:2], off
	s_ashr_i32 s1, s0, 31
	s_delay_alu instid0(SALU_CYCLE_1) | instskip(NEXT) | instid1(SALU_CYCLE_1)
	s_lshl_b64 s[0:1], s[0:1], 3
	s_add_u32 s0, s2, s0
	s_addc_u32 s1, s3, s1
	s_add_i32 s14, s13, -1
	s_load_b64 s[0:1], s[0:1], 0x0
	v_fmac_f32_e32 v5, 0x4f800000, v4
	s_sub_i32 s6, 0, s20
	s_waitcnt lgkmcnt(0)
	v_mov_b32_e32 v8, s0
	s_delay_alu instid0(VALU_DEP_2) | instskip(SKIP_2) | instid1(VALU_DEP_2)
	v_rcp_f32_e32 v4, v5
	v_cvt_f32_u32_e32 v5, s20
	v_mov_b32_e32 v7, s1
	v_rcp_iflag_f32_e32 v5, v5
	s_waitcnt_depctr 0xfff
	v_mul_f32_e32 v4, 0x5f7ffffc, v4
	s_delay_alu instid0(VALU_DEP_1) | instskip(SKIP_1) | instid1(VALU_DEP_2)
	v_mul_f32_e32 v6, 0x2f800000, v4
	v_mul_f32_e32 v9, 0x4f7ffffe, v5
	v_trunc_f32_e32 v6, v6
	s_delay_alu instid0(VALU_DEP_1) | instskip(SKIP_1) | instid1(VALU_DEP_4)
	v_fmac_f32_e32 v4, 0xcf800000, v6
	v_cvt_u32_f32_e32 v5, v6
	v_cvt_u32_f32_e32 v6, v9
	s_delay_alu instid0(VALU_DEP_3)
	v_cvt_u32_f32_e32 v4, v4
.LBB20_9:                               ; =>This Inner Loop Header: Depth=1
	s_mul_hi_i32 s13, s14, s7
	s_mul_i32 s4, s14, s7
	s_cmp_lg_u64 s[12:13], 0
	s_mov_b32 s5, -1
                                        ; implicit-def: $sgpr0_sgpr1
	s_cbranch_scc0 .LBB20_11
; %bb.10:                               ;   in Loop: Header=BB20_9 Depth=1
	v_readfirstlane_b32 s0, v4
	v_readfirstlane_b32 s1, v5
	s_sub_u32 s5, 0, s20
	s_subb_u32 s15, 0, 0
	s_delay_alu instid0(VALU_DEP_2) | instskip(NEXT) | instid1(VALU_DEP_1)
	s_mul_hi_u32 s21, s5, s0
	s_mul_i32 s22, s5, s1
	s_mul_i32 s23, s15, s0
	s_add_i32 s21, s21, s22
	s_mul_i32 s22, s5, s0
	s_add_i32 s21, s21, s23
	s_mul_hi_u32 s23, s0, s22
	s_mul_i32 s24, s0, s21
	s_mul_hi_u32 s0, s0, s21
	s_add_u32 s23, s23, s24
	s_mul_i32 s25, s1, s22
	s_addc_u32 s0, 0, s0
	s_mul_hi_u32 s22, s1, s22
	s_mul_hi_u32 s24, s1, s21
	s_add_u32 s23, s23, s25
	s_addc_u32 s0, s0, s22
	s_mul_i32 s21, s1, s21
	s_addc_u32 s22, s24, 0
	s_add_u32 s0, s0, s21
	s_addc_u32 s21, 0, s22
	v_add_co_u32 v9, s0, v4, s0
	s_delay_alu instid0(VALU_DEP_1) | instskip(SKIP_1) | instid1(VALU_DEP_1)
	s_cmp_lg_u32 s0, 0
	s_addc_u32 s1, s1, s21
	v_readfirstlane_b32 s0, v9
	s_mul_i32 s21, s5, s1
	s_delay_alu instid0(VALU_DEP_1)
	s_mul_hi_u32 s22, s5, s0
	s_mul_i32 s15, s15, s0
	s_add_i32 s21, s22, s21
	s_mul_i32 s5, s5, s0
	s_add_i32 s21, s21, s15
	s_mul_hi_u32 s15, s1, s5
	s_mul_i32 s23, s1, s5
	s_mul_i32 s24, s0, s21
	s_mul_hi_u32 s5, s0, s5
	s_mul_hi_u32 s0, s0, s21
	s_add_u32 s5, s5, s24
	s_addc_u32 s0, 0, s0
	s_mul_hi_u32 s22, s1, s21
	s_add_u32 s5, s5, s23
	s_addc_u32 s0, s0, s15
	s_mul_i32 s5, s1, s21
	s_addc_u32 s15, s22, 0
	s_add_u32 s0, s0, s5
	s_addc_u32 s5, 0, s15
	v_add_co_u32 v9, s0, v9, s0
	s_delay_alu instid0(VALU_DEP_1) | instskip(SKIP_2) | instid1(SALU_CYCLE_1)
	s_cmp_lg_u32 s0, 0
	s_addc_u32 s5, s1, s5
	s_ashr_i32 s0, s13, 31
	s_add_u32 s22, s4, s0
	s_addc_u32 s23, s13, s0
	v_readfirstlane_b32 s13, v9
	s_mov_b32 s1, s0
	s_delay_alu instid0(SALU_CYCLE_1) | instskip(NEXT) | instid1(SALU_CYCLE_1)
	s_xor_b64 s[22:23], s[22:23], s[0:1]
	s_mul_i32 s15, s22, s5
	s_delay_alu instid0(VALU_DEP_1)
	s_mul_hi_u32 s21, s22, s13
	s_mul_hi_u32 s24, s22, s5
	s_add_u32 s15, s21, s15
	s_mul_i32 s25, s23, s13
	s_addc_u32 s21, 0, s24
	s_mul_hi_u32 s13, s23, s13
	s_mul_hi_u32 s24, s23, s5
	s_add_u32 s15, s15, s25
	s_addc_u32 s13, s21, s13
	s_mul_i32 s5, s23, s5
	s_addc_u32 s15, s24, 0
	s_add_u32 s5, s13, s5
	s_addc_u32 s13, 0, s15
	s_mul_i32 s21, s20, s5
	s_add_u32 s15, s5, 1
	v_sub_co_u32 v9, s21, s22, s21
	s_addc_u32 s22, s13, 0
	s_mul_i32 s25, s20, s13
	s_mul_hi_u32 s27, s20, s5
	s_delay_alu instid0(VALU_DEP_1)
	v_sub_co_u32 v10, s26, v9, s20
	s_add_u32 s24, s5, 2
	s_addc_u32 s28, s13, 0
	s_add_i32 s27, s27, s25
	s_cmp_lg_u32 s21, 0
	v_readfirstlane_b32 s21, v10
	s_subb_u32 s23, s23, s27
	s_cmp_lg_u32 s26, 0
	s_subb_u32 s25, s23, 0
	s_delay_alu instid0(VALU_DEP_1) | instskip(SKIP_4) | instid1(SALU_CYCLE_1)
	s_cmp_ge_u32 s21, s20
	s_cselect_b32 s21, -1, 0
	s_cmp_eq_u32 s25, 0
	v_readfirstlane_b32 s25, v9
	s_cselect_b32 s21, s21, -1
	s_cmp_lg_u32 s21, 0
	s_cselect_b32 s15, s24, s15
	s_cselect_b32 s21, s28, s22
	s_cmp_ge_u32 s25, s20
	s_cselect_b32 s22, -1, 0
	s_cmp_eq_u32 s23, 0
	s_cselect_b32 s22, s22, -1
	s_delay_alu instid0(SALU_CYCLE_1) | instskip(SKIP_4) | instid1(SALU_CYCLE_1)
	s_cmp_lg_u32 s22, 0
	s_cselect_b32 s23, s21, s13
	s_cselect_b32 s22, s15, s5
	s_mov_b32 s5, 0
	s_xor_b64 s[22:23], s[22:23], s[0:1]
	s_sub_u32 s0, s22, s0
.LBB20_11:                              ;   in Loop: Header=BB20_9 Depth=1
	s_and_not1_b32 vcc_lo, exec_lo, s5
	s_cbranch_vccnz .LBB20_13
; %bb.12:                               ;   in Loop: Header=BB20_9 Depth=1
	v_readfirstlane_b32 s0, v6
	s_delay_alu instid0(VALU_DEP_1) | instskip(NEXT) | instid1(SALU_CYCLE_1)
	s_mul_i32 s1, s6, s0
	s_mul_hi_u32 s1, s0, s1
	s_delay_alu instid0(SALU_CYCLE_1) | instskip(NEXT) | instid1(SALU_CYCLE_1)
	s_add_i32 s0, s0, s1
	s_mul_hi_u32 s0, s4, s0
	s_delay_alu instid0(SALU_CYCLE_1) | instskip(NEXT) | instid1(SALU_CYCLE_1)
	s_mul_i32 s1, s0, s20
	s_sub_i32 s1, s4, s1
	s_add_i32 s4, s0, 1
	s_sub_i32 s5, s1, s20
	s_cmp_ge_u32 s1, s20
	s_cselect_b32 s0, s4, s0
	s_cselect_b32 s1, s5, s1
	s_add_i32 s4, s0, 1
	s_cmp_ge_u32 s1, s20
	s_cselect_b32 s0, s4, s0
.LBB20_13:                              ;   in Loop: Header=BB20_9 Depth=1
	s_delay_alu instid0(SALU_CYCLE_1)
	s_cmp_lg_u32 s16, s0
	s_cbranch_scc0 .LBB20_17
; %bb.14:                               ;   in Loop: Header=BB20_9 Depth=1
	s_add_i32 s1, s14, s20
	s_mov_b32 s5, s12
	s_lshl_b32 s1, s1, 6
	s_mov_b32 s15, s16
	s_add_i32 s4, s1, s17
	s_mul_hi_u32 s1, s0, s8
	s_lshl_b64 s[4:5], s[4:5], 3
	s_delay_alu instid0(SALU_CYCLE_1) | instskip(SKIP_2) | instid1(SALU_CYCLE_1)
	s_add_u32 s4, s2, s4
	s_addc_u32 s5, s3, s5
	s_add_i32 s1, s1, s0
	s_lshr_b32 s1, s1, s9
	s_delay_alu instid0(SALU_CYCLE_1) | instskip(NEXT) | instid1(SALU_CYCLE_1)
	s_mul_i32 s13, s1, s10
	s_cmp_eq_u32 s13, s0
	s_cselect_b32 s13, -1, 0
	s_cmp_lt_u32 s1, s11
	s_cselect_b32 s1, -1, 0
	s_delay_alu instid0(SALU_CYCLE_1)
	s_or_b32 s1, s1, s13
	s_mov_b32 s13, -1
	s_and_b32 vcc_lo, exec_lo, s1
	s_mov_b32 s1, s14
	s_cbranch_vccnz .LBB20_16
; %bb.15:                               ;   in Loop: Header=BB20_9 Depth=1
	s_add_i32 s1, s14, -1
	s_mov_b32 s13, 0
	s_mov_b32 s15, s0
.LBB20_16:                              ;   in Loop: Header=BB20_9 Depth=1
	v_lshl_add_u32 v9, s14, 12, v0
	s_load_b64 s[4:5], s[4:5], 0x0
	s_delay_alu instid0(VALU_DEP_1) | instskip(NEXT) | instid1(VALU_DEP_1)
	v_ashrrev_i32_e32 v10, 31, v9
	v_lshlrev_b64 v[9:10], 2, v[9:10]
	s_delay_alu instid0(VALU_DEP_1) | instskip(NEXT) | instid1(VALU_DEP_2)
	v_add_co_u32 v9, vcc_lo, s18, v9
	v_add_co_ci_u32_e32 v10, vcc_lo, s19, v10, vcc_lo
	s_waitcnt lgkmcnt(0)
	v_max_f32_e64 v11, s4, s4
	global_load_b32 v10, v[9:10], off
	v_max_f32_e32 v9, v8, v8
	s_delay_alu instid0(VALU_DEP_1) | instskip(NEXT) | instid1(VALU_DEP_1)
	v_max_f32_e32 v9, v9, v11
	v_sub_f32_e32 v12, v8, v9
	s_delay_alu instid0(VALU_DEP_1) | instskip(NEXT) | instid1(VALU_DEP_1)
	v_dual_mul_f32 v14, 0x3fb8aa3b, v12 :: v_dual_sub_f32 v11, s4, v9
	v_rndne_f32_e32 v18, v14
	s_delay_alu instid0(VALU_DEP_2) | instskip(SKIP_2) | instid1(VALU_DEP_4)
	v_mul_f32_e32 v13, 0x3fb8aa3b, v11
	v_fma_f32 v17, 0x3fb8aa3b, v12, -v14
	v_cmp_ngt_f32_e32 vcc_lo, 0xc2ce8ed0, v11
	v_sub_f32_e32 v14, v14, v18
	s_delay_alu instid0(VALU_DEP_4) | instskip(SKIP_2) | instid1(VALU_DEP_3)
	v_fma_f32 v15, 0x3fb8aa3b, v11, -v13
	v_rndne_f32_e32 v16, v13
	v_fmac_f32_e32 v17, 0x32a5705f, v12
	v_fmac_f32_e32 v15, 0x32a5705f, v11
	s_delay_alu instid0(VALU_DEP_2) | instskip(NEXT) | instid1(VALU_DEP_1)
	v_dual_sub_f32 v13, v13, v16 :: v_dual_add_f32 v14, v14, v17
	v_add_f32_e32 v13, v13, v15
	s_delay_alu instid0(VALU_DEP_2) | instskip(SKIP_2) | instid1(VALU_DEP_3)
	v_exp_f32_e32 v14, v14
	v_cvt_i32_f32_e32 v15, v16
	v_cvt_i32_f32_e32 v16, v18
	v_exp_f32_e32 v13, v13
	s_waitcnt_depctr 0xfff
	v_ldexp_f32 v14, v14, v16
	v_ldexp_f32 v13, v13, v15
	s_delay_alu instid0(VALU_DEP_1) | instskip(SKIP_1) | instid1(VALU_DEP_4)
	v_cndmask_b32_e32 v13, 0, v13, vcc_lo
	v_cmp_ngt_f32_e32 vcc_lo, 0xc2ce8ed0, v12
	v_cndmask_b32_e32 v14, 0, v14, vcc_lo
	v_cmp_nlt_f32_e32 vcc_lo, 0x42b17218, v11
	s_delay_alu instid0(VALU_DEP_4) | instskip(SKIP_1) | instid1(VALU_DEP_4)
	v_cndmask_b32_e32 v13, 0x7f800000, v13, vcc_lo
	v_cmp_nlt_f32_e32 vcc_lo, 0x42b17218, v12
	v_cndmask_b32_e32 v14, 0x7f800000, v14, vcc_lo
	v_cmp_le_f32_e32 vcc_lo, 0xc1a00000, v11
	s_delay_alu instid0(VALU_DEP_4) | instskip(SKIP_1) | instid1(VALU_DEP_4)
	v_cndmask_b32_e32 v11, 0, v13, vcc_lo
	v_cmp_le_f32_e32 vcc_lo, 0xc1a00000, v12
	v_cndmask_b32_e32 v12, 0, v14, vcc_lo
	s_waitcnt vmcnt(0)
	s_delay_alu instid0(VALU_DEP_3) | instskip(NEXT) | instid1(VALU_DEP_1)
	v_mul_f32_e32 v10, v10, v11
	v_dual_mul_f32 v11, s5, v11 :: v_dual_fmac_f32 v10, v3, v12
	s_delay_alu instid0(VALU_DEP_1)
	v_fmac_f32_e32 v11, v7, v12
	s_cbranch_execz .LBB20_18
	s_branch .LBB20_19
.LBB20_17:                              ;   in Loop: Header=BB20_9 Depth=1
                                        ; implicit-def: $sgpr13
                                        ; implicit-def: $vgpr10
                                        ; implicit-def: $vgpr9
                                        ; implicit-def: $vgpr11
                                        ; implicit-def: $sgpr1
                                        ; implicit-def: $sgpr15
.LBB20_18:                              ;   in Loop: Header=BB20_9 Depth=1
	v_mov_b32_e32 v11, v7
	s_waitcnt vmcnt(0)
	v_dual_mov_b32 v9, v8 :: v_dual_mov_b32 v10, v3
	s_add_i32 s1, s14, -1
	s_mov_b32 s13, 0
	s_mov_b32 s15, s16
.LBB20_19:                              ;   in Loop: Header=BB20_9 Depth=1
	s_and_not1_b32 vcc_lo, exec_lo, s13
	s_cbranch_vccz .LBB20_23
; %bb.20:                               ;   in Loop: Header=BB20_9 Depth=1
	v_dual_mov_b32 v7, v11 :: v_dual_mov_b32 v8, v9
	s_waitcnt vmcnt(0)
	v_mov_b32_e32 v3, v10
	s_mov_b32 s16, s15
	s_mov_b32 s14, s1
	s_branch .LBB20_9
.LBB20_21:
                                        ; implicit-def: $sgpr16_sgpr17
	s_load_b128 s[8:11], s[0:1], 0x44
	s_branch .LBB20_2
.LBB20_22:
                                        ; implicit-def: $sgpr18_sgpr19
	s_branch .LBB20_5
.LBB20_23:
	v_div_scale_f32 v0, null, v11, v11, v10
	s_waitcnt vmcnt(0)
	s_delay_alu instid0(VALU_DEP_1) | instskip(SKIP_2) | instid1(VALU_DEP_1)
	v_rcp_f32_e32 v3, v0
	s_waitcnt_depctr 0xfff
	v_fma_f32 v4, -v0, v3, 1.0
	v_fmac_f32_e32 v3, v4, v3
	v_div_scale_f32 v4, vcc_lo, v10, v11, v10
	s_delay_alu instid0(VALU_DEP_1) | instskip(NEXT) | instid1(VALU_DEP_1)
	v_mul_f32_e32 v5, v4, v3
	v_fma_f32 v6, -v0, v5, v4
	s_delay_alu instid0(VALU_DEP_1) | instskip(NEXT) | instid1(VALU_DEP_1)
	v_fmac_f32_e32 v5, v6, v3
	v_fma_f32 v0, -v0, v5, v4
	s_delay_alu instid0(VALU_DEP_1) | instskip(NEXT) | instid1(VALU_DEP_1)
	v_div_fmas_f32 v0, v0, v3, v5
	v_div_fixup_f32 v0, v0, v11, v10
	global_store_b32 v[1:2], v0, off
.LBB20_24:
	s_nop 0
	s_sendmsg sendmsg(MSG_DEALLOC_VGPRS)
	s_endpgm
	.section	.rodata,"a",@progbits
	.p2align	6, 0x0
	.amdhsa_kernel _ZL33flash_attn_stream_k_fixup_generalILi64ELi16ELi4EEvPfPK15HIP_vector_typeIfLj2EEiiiiS1_IjLj3EES5_S5_S5_
		.amdhsa_group_segment_fixed_size 0
		.amdhsa_private_segment_fixed_size 0
		.amdhsa_kernarg_size 336
		.amdhsa_user_sgpr_count 13
		.amdhsa_user_sgpr_dispatch_ptr 0
		.amdhsa_user_sgpr_queue_ptr 0
		.amdhsa_user_sgpr_kernarg_segment_ptr 1
		.amdhsa_user_sgpr_dispatch_id 0
		.amdhsa_user_sgpr_private_segment_size 0
		.amdhsa_wavefront_size32 1
		.amdhsa_uses_dynamic_stack 0
		.amdhsa_enable_private_segment 0
		.amdhsa_system_sgpr_workgroup_id_x 1
		.amdhsa_system_sgpr_workgroup_id_y 1
		.amdhsa_system_sgpr_workgroup_id_z 1
		.amdhsa_system_sgpr_workgroup_info 0
		.amdhsa_system_vgpr_workitem_id 0
		.amdhsa_next_free_vgpr 19
		.amdhsa_next_free_sgpr 32
		.amdhsa_reserve_vcc 1
		.amdhsa_float_round_mode_32 0
		.amdhsa_float_round_mode_16_64 0
		.amdhsa_float_denorm_mode_32 3
		.amdhsa_float_denorm_mode_16_64 3
		.amdhsa_dx10_clamp 1
		.amdhsa_ieee_mode 1
		.amdhsa_fp16_overflow 0
		.amdhsa_workgroup_processor_mode 1
		.amdhsa_memory_ordered 1
		.amdhsa_forward_progress 0
		.amdhsa_shared_vgpr_count 0
		.amdhsa_exception_fp_ieee_invalid_op 0
		.amdhsa_exception_fp_denorm_src 0
		.amdhsa_exception_fp_ieee_div_zero 0
		.amdhsa_exception_fp_ieee_overflow 0
		.amdhsa_exception_fp_ieee_underflow 0
		.amdhsa_exception_fp_ieee_inexact 0
		.amdhsa_exception_int_div_zero 0
	.end_amdhsa_kernel
	.section	.text._ZL33flash_attn_stream_k_fixup_generalILi64ELi16ELi4EEvPfPK15HIP_vector_typeIfLj2EEiiiiS1_IjLj3EES5_S5_S5_,"axG",@progbits,_ZL33flash_attn_stream_k_fixup_generalILi64ELi16ELi4EEvPfPK15HIP_vector_typeIfLj2EEiiiiS1_IjLj3EES5_S5_S5_,comdat
.Lfunc_end20:
	.size	_ZL33flash_attn_stream_k_fixup_generalILi64ELi16ELi4EEvPfPK15HIP_vector_typeIfLj2EEiiiiS1_IjLj3EES5_S5_S5_, .Lfunc_end20-_ZL33flash_attn_stream_k_fixup_generalILi64ELi16ELi4EEvPfPK15HIP_vector_typeIfLj2EEiiiiS1_IjLj3EES5_S5_S5_
                                        ; -- End function
	.section	.AMDGPU.csdata,"",@progbits
; Kernel info:
; codeLenInByte = 3224
; NumSgprs: 34
; NumVgprs: 19
; ScratchSize: 0
; MemoryBound: 0
; FloatMode: 240
; IeeeMode: 1
; LDSByteSize: 0 bytes/workgroup (compile time only)
; SGPRBlocks: 4
; VGPRBlocks: 2
; NumSGPRsForWavesPerEU: 34
; NumVGPRsForWavesPerEU: 19
; Occupancy: 16
; WaveLimiterHint : 0
; COMPUTE_PGM_RSRC2:SCRATCH_EN: 0
; COMPUTE_PGM_RSRC2:USER_SGPR: 13
; COMPUTE_PGM_RSRC2:TRAP_HANDLER: 0
; COMPUTE_PGM_RSRC2:TGID_X_EN: 1
; COMPUTE_PGM_RSRC2:TGID_Y_EN: 1
; COMPUTE_PGM_RSRC2:TGID_Z_EN: 1
; COMPUTE_PGM_RSRC2:TIDIG_COMP_CNT: 0
	.section	.text._ZL15flash_attn_tileILi64ELi64ELi8ELi4ELb0EEvPKcS1_S1_S1_S1_PKiPfP15HIP_vector_typeIfLj2EEffffjfiS5_IjLj3EEiiiiiiiiiiiliiliiiiil,"axG",@progbits,_ZL15flash_attn_tileILi64ELi64ELi8ELi4ELb0EEvPKcS1_S1_S1_S1_PKiPfP15HIP_vector_typeIfLj2EEffffjfiS5_IjLj3EEiiiiiiiiiiiliiliiiiil,comdat
	.globl	_ZL15flash_attn_tileILi64ELi64ELi8ELi4ELb0EEvPKcS1_S1_S1_S1_PKiPfP15HIP_vector_typeIfLj2EEffffjfiS5_IjLj3EEiiiiiiiiiiiliiliiiiil ; -- Begin function _ZL15flash_attn_tileILi64ELi64ELi8ELi4ELb0EEvPKcS1_S1_S1_S1_PKiPfP15HIP_vector_typeIfLj2EEffffjfiS5_IjLj3EEiiiiiiiiiiiliiliiiiil
	.p2align	8
	.type	_ZL15flash_attn_tileILi64ELi64ELi8ELi4ELb0EEvPKcS1_S1_S1_S1_PKiPfP15HIP_vector_typeIfLj2EEffffjfiS5_IjLj3EEiiiiiiiiiiiliiliiiiil,@function
_ZL15flash_attn_tileILi64ELi64ELi8ELi4ELb0EEvPKcS1_S1_S1_S1_PKiPfP15HIP_vector_typeIfLj2EEffffjfiS5_IjLj3EEiiiiiiiiiiiliiliiiiil: ; @_ZL15flash_attn_tileILi64ELi64ELi8ELi4ELb0EEvPKcS1_S1_S1_S1_PKiPfP15HIP_vector_typeIfLj2EEffffjfiS5_IjLj3EEiiiiiiiiiiiliiliiiiil
; %bb.0:
	s_clause 0x1
	s_load_b128 s[60:63], s[0:1], 0x5c
	s_load_b64 s[66:67], s[0:1], 0x80
	s_mov_b64 s[68:69], 0
	s_waitcnt lgkmcnt(0)
	s_ashr_i32 s2, s63, 31
	s_delay_alu instid0(SALU_CYCLE_1) | instskip(NEXT) | instid1(SALU_CYCLE_1)
	s_lshr_b32 s2, s2, 30
	s_add_i32 s2, s63, s2
	s_delay_alu instid0(SALU_CYCLE_1) | instskip(NEXT) | instid1(SALU_CYCLE_1)
	s_ashr_i32 s2, s2, 2
	v_cvt_f32_u32_e32 v1, s2
	s_sub_i32 s4, 0, s2
	s_delay_alu instid0(VALU_DEP_1) | instskip(SKIP_2) | instid1(VALU_DEP_1)
	v_rcp_iflag_f32_e32 v1, v1
	s_waitcnt_depctr 0xfff
	v_mul_f32_e32 v1, 0x4f7ffffe, v1
	v_cvt_u32_f32_e32 v1, v1
	s_delay_alu instid0(VALU_DEP_1) | instskip(NEXT) | instid1(VALU_DEP_1)
	v_readfirstlane_b32 s3, v1
	s_mul_i32 s4, s4, s3
	s_delay_alu instid0(SALU_CYCLE_1) | instskip(NEXT) | instid1(SALU_CYCLE_1)
	s_mul_hi_u32 s4, s3, s4
	s_add_i32 s3, s3, s4
	s_delay_alu instid0(SALU_CYCLE_1) | instskip(NEXT) | instid1(SALU_CYCLE_1)
	s_mul_hi_u32 s3, s15, s3
	s_mul_i32 s4, s3, s2
	s_add_i32 s5, s3, 1
	s_sub_i32 s4, s15, s4
	s_delay_alu instid0(SALU_CYCLE_1)
	s_sub_i32 s6, s4, s2
	s_cmp_ge_u32 s4, s2
	s_cselect_b32 s3, s5, s3
	s_cselect_b32 s4, s6, s4
	s_add_i32 s5, s3, 1
	s_cmp_ge_u32 s4, s2
	s_cselect_b32 s70, s5, s3
	s_abs_i32 s2, s67
	s_abs_i32 s7, s63
	v_cvt_f32_u32_e32 v1, s2
	s_sub_i32 s4, 0, s2
	s_lshl_b32 s5, s15, 2
	s_mul_i32 s6, s70, s63
	s_delay_alu instid0(VALU_DEP_1) | instskip(SKIP_3) | instid1(VALU_DEP_1)
	v_rcp_iflag_f32_e32 v1, v1
	s_sub_i32 s64, s5, s6
	s_waitcnt_depctr 0xfff
	v_mul_f32_e32 v1, 0x4f7ffffe, v1
	v_cvt_u32_f32_e32 v1, v1
	s_delay_alu instid0(VALU_DEP_1) | instskip(NEXT) | instid1(VALU_DEP_1)
	v_readfirstlane_b32 s3, v1
	s_mul_i32 s4, s4, s3
	s_delay_alu instid0(SALU_CYCLE_1) | instskip(NEXT) | instid1(SALU_CYCLE_1)
	s_mul_hi_u32 s4, s3, s4
	s_add_i32 s3, s3, s4
	s_xor_b32 s4, s63, s67
	s_mul_hi_u32 s3, s7, s3
	s_ashr_i32 s4, s4, 31
	s_mul_i32 s5, s3, s2
	s_add_i32 s6, s3, 1
	s_sub_i32 s5, s7, s5
	s_delay_alu instid0(SALU_CYCLE_1)
	s_sub_i32 s7, s5, s2
	s_cmp_ge_u32 s5, s2
	s_cselect_b32 s3, s6, s3
	s_cselect_b32 s5, s7, s5
	s_add_i32 s6, s3, 1
	s_cmp_ge_u32 s5, s2
	s_cselect_b32 s2, s6, s3
	s_delay_alu instid0(SALU_CYCLE_1) | instskip(NEXT) | instid1(SALU_CYCLE_1)
	s_xor_b32 s2, s2, s4
	s_sub_i32 s11, s2, s4
	s_clause 0x1
	s_load_b512 s[44:59], s[0:1], 0x0
	s_load_b64 s[2:3], s[0:1], 0xb8
	s_abs_i32 s10, s11
	s_delay_alu instid0(SALU_CYCLE_1) | instskip(NEXT) | instid1(VALU_DEP_1)
	v_cvt_f32_u32_e32 v1, s10
	v_rcp_iflag_f32_e32 v1, v1
	s_waitcnt_depctr 0xfff
	v_mul_f32_e32 v1, 0x4f7ffffe, v1
	s_waitcnt lgkmcnt(0)
	s_cmp_eq_u64 s[50:51], 0
	s_delay_alu instid0(VALU_DEP_1) | instskip(NEXT) | instid1(VALU_DEP_1)
	v_cvt_u32_f32_e32 v1, v1
	v_readfirstlane_b32 s12, v1
	s_cbranch_scc1 .LBB21_2
; %bb.1:
	s_abs_i32 s2, s2
	s_abs_i32 s6, s70
	v_cvt_f32_u32_e32 v1, s2
	s_sub_i32 s5, 0, s2
	s_delay_alu instid0(VALU_DEP_1) | instskip(SKIP_2) | instid1(VALU_DEP_1)
	v_rcp_iflag_f32_e32 v1, v1
	s_waitcnt_depctr 0xfff
	v_mul_f32_e32 v1, 0x4f7ffffe, v1
	v_cvt_u32_f32_e32 v1, v1
	s_delay_alu instid0(VALU_DEP_1) | instskip(NEXT) | instid1(VALU_DEP_1)
	v_readfirstlane_b32 s4, v1
	s_mul_i32 s5, s5, s4
	s_delay_alu instid0(SALU_CYCLE_1) | instskip(NEXT) | instid1(SALU_CYCLE_1)
	s_mul_hi_u32 s5, s4, s5
	s_add_i32 s7, s4, s5
	s_load_b64 s[4:5], s[0:1], 0xc8
	s_mul_hi_u32 s7, s6, s7
	s_delay_alu instid0(SALU_CYCLE_1) | instskip(NEXT) | instid1(SALU_CYCLE_1)
	s_mul_i32 s7, s7, s2
	s_sub_i32 s6, s6, s7
	s_ashr_i32 s7, s70, 31
	s_sub_i32 s8, s6, s2
	s_cmp_ge_u32 s6, s2
	s_cselect_b32 s6, s8, s6
	s_delay_alu instid0(SALU_CYCLE_1) | instskip(SKIP_2) | instid1(SALU_CYCLE_1)
	s_sub_i32 s8, s6, s2
	s_cmp_ge_u32 s6, s2
	s_cselect_b32 s2, s8, s6
	s_xor_b32 s2, s2, s7
	s_delay_alu instid0(SALU_CYCLE_1)
	s_sub_i32 s2, s2, s7
	s_waitcnt lgkmcnt(0)
	s_mul_i32 s5, s2, s5
	s_mul_hi_u32 s6, s2, s4
	s_ashr_i32 s7, s2, 31
	s_add_i32 s5, s6, s5
	s_mul_i32 s7, s7, s4
	s_mul_i32 s2, s2, s4
	s_add_i32 s5, s5, s7
	s_add_u32 s68, s50, s2
	s_addc_u32 s69, s51, s5
.LBB21_2:
	v_bfe_u32 v8, v0, 10, 10
	s_lshl_b32 s51, s13, 3
	s_load_b128 s[4:7], s[0:1], 0x70
	v_and_b32_e32 v54, 0x3ff, v0
	s_delay_alu instid0(VALU_DEP_2) | instskip(SKIP_1) | instid1(VALU_DEP_3)
	v_lshlrev_b32_e32 v52, 1, v8
	v_lshlrev_b32_e32 v2, 3, v8
	;; [unrolled: 1-line block ×3, first 2 shown]
	s_delay_alu instid0(VALU_DEP_3) | instskip(NEXT) | instid1(VALU_DEP_3)
	v_add_nc_u32_e32 v53, s51, v52
	v_or_b32_e32 v21, 4, v2
	v_or_b32_e32 v22, 5, v2
	;; [unrolled: 1-line block ×4, first 2 shown]
	v_mul_hi_u32 v1, v53, s60
	v_lshrrev_b32_e32 v50, 2, v21
	v_lshrrev_b32_e32 v46, 2, v22
	v_lshrrev_b32_e32 v47, 2, v24
	v_lshrrev_b32_e32 v44, 2, v25
	s_delay_alu instid0(VALU_DEP_4)
	v_add_nc_u32_e32 v51, s51, v50
	s_waitcnt lgkmcnt(0)
	s_mul_i32 s2, s70, s6
	v_add_nc_u32_e32 v1, v53, v1
	s_mul_i32 s6, s64, s5
	s_ashr_i32 s7, s2, 31
	s_add_u32 s2, s44, s2
	s_addc_u32 s7, s45, s7
	v_lshrrev_b32_e32 v1, s61, v1
	s_ashr_i32 s8, s6, 31
	s_add_u32 s2, s2, s6
	s_addc_u32 s15, s7, s8
	s_ashr_i32 s8, s4, 31
	v_mul_lo_u32 v1, v1, s62
	v_alignbit_b32 v19, s8, s4, 2
	v_mul_hi_u32 v3, v51, s60
	s_lshr_b32 s16, s8, 2
	v_add_nc_u32_e32 v48, s51, v46
	s_mov_b32 s6, s5
	s_ashr_i32 s7, s5, 31
	s_and_b32 s4, s5, -4
	v_sub_nc_u32_e32 v9, v53, v1
	v_mul_hi_u32 v4, v48, s60
	v_add_nc_u32_e32 v2, v51, v3
	s_lshr_b64 s[8:9], s[6:7], 2
	s_add_u32 s6, s2, s4
	v_mad_u64_u32 v[0:1], null, v19, v9, 0
	s_delay_alu instid0(VALU_DEP_2)
	v_lshrrev_b32_e32 v5, s61, v2
	v_alignbit_b32 v12, s7, s5, 2
	v_add_nc_u32_e32 v15, v48, v4
	s_addc_u32 s17, s15, s7
	s_lshl_b64 s[4:5], s[8:9], 3
	v_add_nc_u32_e32 v49, s51, v47
	v_mad_u64_u32 v[2:3], null, s16, v9, v[1:2]
	v_mul_lo_u32 v3, v5, s62
	s_add_u32 s4, s2, s4
	s_addc_u32 s5, s15, s5
	v_mul_hi_u32 v13, v12, 12
	v_mul_lo_u32 v12, v12, 12
	v_add_nc_u32_e32 v45, s51, v44
	v_mov_b32_e32 v1, v2
	s_lshr_b32 s7, s7, 2
	v_sub_nc_u32_e32 v14, v51, v3
	v_mul_hi_u32 v16, v49, s60
	s_mul_i32 s7, s7, 12
	v_lshlrev_b64 v[0:1], 2, v[0:1]
	v_add_nc_u32_e32 v13, s7, v13
	v_mad_u64_u32 v[2:3], null, v19, v14, 0
	v_mul_hi_u32 v17, v45, s60
	v_lshrrev_b32_e32 v15, s61, v15
	v_add_co_u32 v4, vcc_lo, s2, v0
	v_add_co_ci_u32_e32 v5, vcc_lo, s15, v1, vcc_lo
	v_add_co_u32 v6, vcc_lo, s6, v0
	v_add_co_ci_u32_e32 v7, vcc_lo, s17, v1, vcc_lo
	;; [unrolled: 2-line block ×7, first 2 shown]
	v_mad_u64_u32 v[12:13], null, s16, v14, v[3:4]
	v_add_nc_u32_e32 v3, v49, v16
	v_mul_lo_u32 v15, v15, s62
	v_add_nc_u32_e32 v13, v45, v17
	v_add_co_u32 v14, vcc_lo, v26, v0
	s_delay_alu instid0(VALU_DEP_4) | instskip(SKIP_1) | instid1(VALU_DEP_4)
	v_lshrrev_b32_e32 v16, s61, v3
	v_mov_b32_e32 v3, v12
	v_lshrrev_b32_e32 v13, s61, v13
	s_cmp_eq_u64 s[54:55], 0
	v_sub_nc_u32_e32 v18, v48, v15
	v_mul_lo_u32 v16, v16, s62
	v_add_co_ci_u32_e32 v15, vcc_lo, v27, v1, vcc_lo
	v_mul_lo_u32 v17, v13, s62
	s_delay_alu instid0(VALU_DEP_4)
	v_mad_u64_u32 v[0:1], null, v19, v18, 0
	v_lshlrev_b64 v[2:3], 2, v[2:3]
	v_add_co_u32 v12, vcc_lo, v14, v23
	v_sub_nc_u32_e32 v20, v49, v16
	v_add_co_ci_u32_e32 v13, vcc_lo, 0, v15, vcc_lo
	v_sub_nc_u32_e32 v28, v45, v17
	v_mad_u64_u32 v[14:15], null, s16, v18, v[1:2]
	s_delay_alu instid0(VALU_DEP_4) | instskip(NEXT) | instid1(VALU_DEP_3)
	v_mad_u64_u32 v[15:16], null, v19, v20, 0
	v_mad_u64_u32 v[17:18], null, v19, v28, 0
	s_clause 0x3
	global_load_b64 v[4:5], v[4:5], off
	global_load_b64 v[6:7], v[6:7], off
	;; [unrolled: 1-line block ×4, first 2 shown]
	v_mov_b32_e32 v1, v14
	v_dual_mov_b32 v14, v16 :: v_dual_lshlrev_b32 v55, 2, v54
	v_add_co_u32 v16, vcc_lo, s2, v2
	v_mov_b32_e32 v2, v18
	v_add_co_ci_u32_e32 v3, vcc_lo, s15, v3, vcc_lo
	s_delay_alu instid0(VALU_DEP_4) | instskip(SKIP_1) | instid1(VALU_DEP_3)
	v_mad_u64_u32 v[18:19], null, s16, v20, v[14:15]
	v_lshlrev_b64 v[0:1], 2, v[0:1]
	v_mad_u64_u32 v[19:20], null, s16, v28, v[2:3]
	v_add_co_u32 v2, vcc_lo, v16, v23
	v_add_co_ci_u32_e32 v3, vcc_lo, 0, v3, vcc_lo
	v_mov_b32_e32 v16, v18
	v_add_co_u32 v14, vcc_lo, s6, v0
	v_mov_b32_e32 v18, v19
	v_add_co_ci_u32_e32 v20, vcc_lo, s17, v1, vcc_lo
	s_delay_alu instid0(VALU_DEP_4) | instskip(NEXT) | instid1(VALU_DEP_4)
	v_lshlrev_b64 v[0:1], 2, v[15:16]
	v_add_co_u32 v14, vcc_lo, v14, v23
	s_delay_alu instid0(VALU_DEP_4) | instskip(NEXT) | instid1(VALU_DEP_4)
	v_lshlrev_b64 v[16:17], 2, v[17:18]
	v_add_co_ci_u32_e32 v15, vcc_lo, 0, v20, vcc_lo
	s_delay_alu instid0(VALU_DEP_4) | instskip(SKIP_1) | instid1(VALU_DEP_4)
	v_add_co_u32 v0, vcc_lo, s4, v0
	v_add_co_ci_u32_e32 v1, vcc_lo, s5, v1, vcc_lo
	v_add_co_u32 v16, vcc_lo, v26, v16
	v_add_co_ci_u32_e32 v17, vcc_lo, v27, v17, vcc_lo
	s_delay_alu instid0(VALU_DEP_4) | instskip(NEXT) | instid1(VALU_DEP_4)
	v_add_co_u32 v0, vcc_lo, v0, v23
	v_add_co_ci_u32_e32 v1, vcc_lo, 0, v1, vcc_lo
	s_delay_alu instid0(VALU_DEP_4) | instskip(NEXT) | instid1(VALU_DEP_4)
	v_add_co_u32 v16, vcc_lo, v16, v23
	v_add_co_ci_u32_e32 v17, vcc_lo, 0, v17, vcc_lo
	s_clause 0x3
	global_load_b64 v[2:3], v[2:3], off
	global_load_b64 v[14:15], v[14:15], off
	;; [unrolled: 1-line block ×4, first 2 shown]
	s_load_b32 s2, s[0:1], 0x40
	v_lshl_or_b32 v18, v8, 10, v55
	v_lshlrev_b32_e32 v19, 5, v22
	v_lshlrev_b32_e32 v20, 5, v24
	;; [unrolled: 1-line block ×3, first 2 shown]
	v_lshl_or_b32 v21, v21, 7, v55
	v_add_nc_u32_e32 v18, 0x3400, v18
	v_add_lshl_u32 v19, v19, v54, 2
	v_add_lshl_u32 v20, v20, v54, 2
	;; [unrolled: 1-line block ×3, first 2 shown]
	s_waitcnt vmcnt(7) lgkmcnt(0)
	v_fma_mixlo_f16 v4, v4, s2, 0
	s_waitcnt vmcnt(6)
	v_fma_mixlo_f16 v6, v6, s2, 0
	s_waitcnt vmcnt(5)
	v_fma_mixlo_f16 v10, v10, s2, 0
	s_waitcnt vmcnt(4)
	v_fma_mixlo_f16 v12, v12, s2, 0
	v_fma_mixhi_f16 v4, v5, s2, 0
	v_fma_mixhi_f16 v6, v7, s2, 0
	;; [unrolled: 1-line block ×3, first 2 shown]
	s_delay_alu instid0(VALU_DEP_4)
	v_fma_mixhi_f16 v12, v13, s2, 0
	ds_store_2addr_b32 v18, v4, v6 offset1:32
	s_waitcnt vmcnt(3)
	v_fma_mixlo_f16 v2, v2, s2, 0
	s_waitcnt vmcnt(2)
	v_fma_mixlo_f16 v5, v14, s2, 0
	;; [unrolled: 2-line block ×4, first 2 shown]
	v_fma_mixhi_f16 v2, v3, s2, 0
	v_fma_mixhi_f16 v5, v15, s2, 0
	;; [unrolled: 1-line block ×3, first 2 shown]
	s_delay_alu instid0(VALU_DEP_4)
	v_fma_mixhi_f16 v7, v17, s2, 0
	ds_store_2addr_b32 v18, v10, v12 offset0:64 offset1:96
	ds_store_b32 v21, v2 offset:13312
	ds_store_b32 v19, v5 offset:13312
	;; [unrolled: 1-line block ×4, first 2 shown]
	s_waitcnt lgkmcnt(0)
	s_barrier
	buffer_gl0_inv
	s_cbranch_scc1 .LBB21_4
; %bb.3:
	s_load_b32 s2, s[0:1], 0xd0
	s_mov_b32 s5, 0
	s_waitcnt lgkmcnt(0)
	s_mul_i32 s2, s2, s70
	s_delay_alu instid0(SALU_CYCLE_1) | instskip(NEXT) | instid1(SALU_CYCLE_1)
	s_add_i32 s4, s2, s13
	s_lshl_b64 s[4:5], s[4:5], 2
	s_delay_alu instid0(SALU_CYCLE_1)
	s_add_u32 s4, s54, s4
	s_addc_u32 s5, s55, s5
	s_load_b32 s66, s[4:5], 0x0
.LBB21_4:
	v_mbcnt_lo_u32_b32 v56, -1, 0
	s_lshl_b32 s65, s14, 6
	s_waitcnt lgkmcnt(0)
	s_cmp_lt_i32 s65, s66
	s_cbranch_scc1 .LBB21_6
; %bb.5:
	v_mbcnt_lo_u32_b32 v10, -1, 0
	v_mov_b32_e32 v57, 32
	s_mov_b32 s2, 0
	s_mov_b32 s4, 0xfeffffff
	s_delay_alu instid0(VALU_DEP_2)
	v_xor_b32_e32 v62, 16, v10
	v_xor_b32_e32 v61, 8, v10
	;; [unrolled: 1-line block ×5, first 2 shown]
	s_branch .LBB21_7
.LBB21_6:
	s_mov_b32 s2, -1
                                        ; implicit-def: $sgpr4
                                        ; implicit-def: $vgpr10
                                        ; implicit-def: $vgpr57
                                        ; implicit-def: $vgpr62
                                        ; implicit-def: $vgpr61
                                        ; implicit-def: $vgpr60
                                        ; implicit-def: $vgpr59
                                        ; implicit-def: $vgpr58
.LBB21_7:
	s_delay_alu instid0(SALU_CYCLE_1) | instskip(SKIP_2) | instid1(VALU_DEP_3)
	v_cndmask_b32_e64 v0, 0, 1, s2
	v_dual_mov_b32 v7, s4 :: v_dual_mov_b32 v96, s2
	v_dual_mov_b32 v88, s2 :: v_dual_mov_b32 v5, s4
	v_cmp_ne_u32_e32 vcc_lo, 1, v0
	v_dual_mov_b32 v6, s4 :: v_dual_mov_b32 v3, s4
	v_dual_mov_b32 v4, s4 :: v_dual_mov_b32 v1, s4
	;; [unrolled: 1-line block ×10, first 2 shown]
	s_cbranch_vccnz .LBB21_11
; %bb.8:
	s_clause 0x1
	s_load_b128 s[4:7], s[0:1], 0x98
	s_load_b64 s[8:9], s[0:1], 0x8c
	s_sub_i32 s2, 0, s10
	s_abs_i32 s13, s64
	s_mul_i32 s2, s2, s12
	s_ashr_i32 s15, s64, 31
	s_mul_hi_u32 s2, s12, s2
	s_ashr_i32 s11, s11, 31
	s_add_i32 s12, s12, s2
	s_ashr_i32 s2, s3, 1
	s_mul_hi_u32 s3, s13, s12
	s_ashr_i32 s12, s70, 31
	s_load_b64 s[16:17], s[0:1], 0xa8
	s_mul_i32 s18, s3, s10
	v_add3_u32 v12, s51, v52, 1
	v_lshrrev_b32_e32 v0, 3, v54
	v_dual_mov_b32 v57, 32 :: v_dual_and_b32 v18, 28, v55
	v_mov_b32_e32 v41, 0
	s_delay_alu instid0(VALU_DEP_4)
	v_mul_hi_u32 v2, s60, v12
	s_waitcnt lgkmcnt(0)
	s_ashr_i32 s67, s6, 2
	s_mul_i32 s5, s70, s5
	s_mul_hi_u32 s6, s70, s4
	s_ashr_i32 s71, s8, 2
	s_mul_i32 s8, s12, s4
	s_add_i32 s5, s6, s5
	s_mul_i32 s4, s70, s4
	s_add_i32 s5, s5, s8
	s_add_u32 s4, s46, s4
	s_addc_u32 s5, s47, s5
	s_sub_i32 s8, s13, s18
	s_xor_b32 s6, s15, s11
	s_add_i32 s11, s3, 1
	s_sub_i32 s13, s8, s10
	s_cmp_ge_u32 s8, s10
	v_lshl_add_u32 v0, v8, 2, v0
	s_cselect_b32 s3, s11, s3
	s_cselect_b32 s8, s13, s8
	s_add_i32 s11, s3, 1
	s_cmp_ge_u32 s8, s10
	s_mul_i32 s8, s70, s17
	s_cselect_b32 s3, s11, s3
	s_mul_i32 s12, s12, s16
	s_xor_b32 s3, s3, s6
	v_mul_lo_u32 v1, s71, v0
	s_sub_i32 s3, s3, s6
	s_mul_hi_u32 s6, s70, s16
	s_mul_i32 s9, s3, s9
	s_mul_i32 s3, s3, s7
	s_ashr_i32 s10, s9, 31
	s_add_u32 s72, s4, s9
	s_addc_u32 s73, s5, s10
	s_add_i32 s4, s6, s8
	s_mul_i32 s5, s70, s16
	s_add_i32 s4, s4, s12
	v_add_nc_u32_e32 v2, v12, v2
	s_add_u32 s5, s48, s5
	s_addc_u32 s4, s49, s4
	s_ashr_i32 s6, s3, 31
	s_add_u32 s60, s5, s3
	s_addc_u32 s74, s4, s6
	s_lshl_b32 s3, s71, 4
	v_lshrrev_b32_e32 v6, s61, v2
	v_dual_mov_b32 v40, 0 :: v_dual_lshlrev_b32 v13, 2, v18
	v_add_nc_u32_e32 v3, s3, v1
	v_mul_lo_u32 v7, s67, v0
	s_delay_alu instid0(VALU_DEP_4) | instskip(NEXT) | instid1(VALU_DEP_4)
	v_mul_lo_u32 v14, v6, s62
	v_mad_u32_u24 v63, 0x90, v0, v13
	v_lshl_or_b32 v71, v0, 7, v13
	v_dual_mov_b32 v0, 0xfeffffff :: v_dual_add_nc_u32 v5, s3, v3
	v_mov_b32_e32 v42, 0
	v_ashrrev_i32_e32 v4, 31, v3
	v_ashrrev_i32_e32 v2, 31, v1
	v_sub_nc_u32_e32 v14, v12, v14
	v_dual_mov_b32 v85, 0 :: v_dual_add_nc_u32 v10, s3, v5
	s_lshl_b32 s3, s67, 4
	v_ashrrev_i32_e32 v6, 31, v5
	v_add_nc_u32_e32 v12, s3, v7
	v_lshlrev_b32_e32 v8, 10, v8
	v_mul_lo_u32 v70, v14, s2
	v_lshlrev_b64 v[26:27], 2, v[3:4]
	s_delay_alu instid0(VALU_DEP_4)
	v_dual_mov_b32 v3, 0xfeffffff :: v_dual_add_nc_u32 v14, s3, v12
	v_lshlrev_b64 v[24:25], 2, v[1:2]
	v_lshlrev_b64 v[28:29], 2, v[5:6]
	v_mov_b32_e32 v5, 0xfeffffff
	v_mov_b32_e32 v1, 0xfeffffff
	v_dual_mov_b32 v97, 0 :: v_dual_add_nc_u32 v68, 0x3400, v8
	v_dual_mov_b32 v99, 0 :: v_dual_add_nc_u32 v72, 0x2400, v8
	v_ashrrev_i32_e32 v8, 31, v7
	v_add_nc_u32_e32 v16, s3, v14
	v_ashrrev_i32_e32 v11, 31, v10
	v_ashrrev_i32_e32 v13, 31, v12
	;; [unrolled: 1-line block ×3, first 2 shown]
	v_lshlrev_b64 v[32:33], 2, v[7:8]
	v_mov_b32_e32 v7, 0xfeffffff
	v_ashrrev_i32_e32 v17, 31, v16
	v_mul_lo_u32 v69, v9, s2
	v_dual_mov_b32 v88, 0 :: v_dual_lshlrev_b32 v9, 4, v54
	v_lshlrev_b64 v[30:31], 2, v[10:11]
	v_lshlrev_b64 v[34:35], 2, v[12:13]
	;; [unrolled: 1-line block ×4, first 2 shown]
	v_dual_mov_b32 v43, 0 :: v_dual_add_nc_u32 v64, 0x900, v63
	v_dual_mov_b32 v86, 0 :: v_dual_add_nc_u32 v65, 0x1200, v63
	;; [unrolled: 1-line block ×3, first 2 shown]
	v_mul_u32_u24_e32 v67, 0x90, v54
	v_dual_mov_b32 v98, 0 :: v_dual_add_nc_u32 v73, 0x800, v71
	v_dual_mov_b32 v101, 0 :: v_dual_add_nc_u32 v74, 0x1000, v71
	;; [unrolled: 1-line block ×3, first 2 shown]
	v_dual_mov_b32 v103, 0 :: v_dual_lshlrev_b32 v76, 2, v18
	v_xor_b32_e32 v62, 16, v56
	v_xor_b32_e32 v61, 8, v56
	;; [unrolled: 1-line block ×5, first 2 shown]
	v_dual_mov_b32 v2, 0xfeffffff :: v_dual_add_nc_u32 v77, v72, v9
	v_add_nc_u32_e32 v78, 0x400, v55
	v_dual_mov_b32 v102, 0 :: v_dual_add_nc_u32 v79, 0x800, v55
	v_add_nc_u32_e32 v80, 0xc00, v55
	v_dual_mov_b32 v96, 0 :: v_dual_add_nc_u32 v81, 0x1000, v55
	v_add_nc_u32_e32 v82, 0x1400, v55
	v_add_nc_u32_e32 v83, 0x1800, v55
	v_add_nc_u32_e32 v84, 0x1c00, v55
	v_mov_b32_e32 v4, 0xfeffffff
	v_mov_b32_e32 v6, 0xfeffffff
	s_add_u32 s54, s0, 0xd0
	s_addc_u32 s55, s1, 0
.LBB21_9:                               ; =>This Inner Loop Header: Depth=1
	s_mul_hi_i32 s7, s65, s71
	s_mul_i32 s6, s65, s71
	v_cmp_gt_i32_e64 s5, 32, v58
	v_cmp_gt_i32_e32 vcc_lo, 32, v62
	v_cmp_gt_i32_e64 s4, 32, v59
	v_dual_mov_b32 v91, v101 :: v_dual_mov_b32 v92, v100
	v_dual_mov_b32 v101, v3 :: v_dual_mov_b32 v104, v0
	v_dual_mov_b32 v119, 0 :: v_dual_add_nc_u32 v0, s65, v54
	v_cmp_gt_i32_e64 s2, 32, v61
	v_cmp_gt_i32_e64 s3, 32, v60
	s_lshl_b64 s[6:7], s[6:7], 2
	s_mul_hi_i32 s9, s65, s67
	s_mul_i32 s8, s65, s67
	s_add_u32 s10, s72, s6
	v_dual_mov_b32 v93, v99 :: v_dual_mov_b32 v94, v98
	v_mov_b32_e32 v99, v5
	v_cndmask_b32_e64 v5, v56, v58, s5
	s_addc_u32 s5, s73, s7
	s_lshl_b64 s[6:7], s[8:9], 2
	v_dual_mov_b32 v89, v103 :: v_dual_mov_b32 v90, v102
	v_dual_mov_b32 v95, v97 :: v_dual_mov_b32 v98, v6
	;; [unrolled: 1-line block ×4, first 2 shown]
	v_cndmask_b32_e64 v4, v56, v59, s4
	v_cndmask_b32_e32 v1, v56, v62, vcc_lo
	v_add_co_u32 v12, s4, s10, v24
	v_mov_b32_e32 v102, v2
	s_delay_alu instid0(VALU_DEP_4)
	v_lshlrev_b32_e32 v122, 2, v4
	v_cndmask_b32_e64 v2, v56, v61, s2
	v_cndmask_b32_e64 v3, v56, v60, s3
	v_add_nc_u32_e32 v7, v0, v69
	v_add_nc_u32_e32 v9, v0, v70
	v_add_co_u32 v0, vcc_lo, s10, v26
	v_add_co_u32 v6, s2, s10, v28
	v_add_co_u32 v11, s3, s10, v30
	s_add_u32 s6, s60, s6
	v_add_co_ci_u32_e64 v13, s4, s5, v25, s4
	v_add_co_ci_u32_e32 v14, vcc_lo, s5, v27, vcc_lo
	v_add_co_ci_u32_e64 v15, vcc_lo, s5, v29, s2
	v_add_co_ci_u32_e64 v18, vcc_lo, s5, v31, s3
	s_addc_u32 s5, s74, s7
	v_add_co_u32 v128, s4, s6, v32
	v_add_co_u32 v19, vcc_lo, s6, v34
	v_add_co_u32 v22, s2, s6, v36
	v_add_co_u32 v23, s3, s6, v38
	v_lshlrev_b32_e32 v125, 2, v1
	v_add_co_ci_u32_e64 v1, s4, s5, v33, s4
	v_dual_mov_b32 v121, v96 :: v_dual_lshlrev_b32 v124, 2, v2
	v_lshlrev_b32_e32 v123, 2, v3
	v_lshlrev_b32_e32 v96, 2, v5
	v_add_co_ci_u32_e32 v3, vcc_lo, s5, v35, vcc_lo
	v_add_co_ci_u32_e64 v5, vcc_lo, s5, v37, s2
	v_add_co_ci_u32_e64 v129, vcc_lo, s5, v39, s3
	v_add_co_u32 v126, s3, v11, v76
	v_add_co_u32 v11, s4, v12, v76
	v_add_co_u32 v16, vcc_lo, v0, v76
	v_ashrrev_i32_e32 v8, 31, v7
	v_add_co_u32 v20, s2, v6, v76
	v_add_co_ci_u32_e64 v12, s4, 0, v13, s4
	v_add_co_ci_u32_e32 v17, vcc_lo, 0, v14, vcc_lo
	v_add_co_ci_u32_e64 v21, vcc_lo, 0, v15, s2
	v_add_co_ci_u32_e64 v127, vcc_lo, 0, v18, s3
	v_add_co_u32 v2, vcc_lo, v19, v76
	v_add_co_u32 v0, s3, v23, v76
	v_add_co_u32 v6, s4, v128, v76
	v_add_co_u32 v4, s2, v22, v76
	v_lshlrev_b64 v[130:131], 1, v[7:8]
	v_add_co_ci_u32_e64 v7, s4, 0, v1, s4
	v_add_co_ci_u32_e32 v3, vcc_lo, 0, v3, vcc_lo
	v_add_co_ci_u32_e64 v1, vcc_lo, 0, v129, s3
	s_clause 0x3
	global_load_b128 v[12:15], v[11:12], off
	global_load_b128 v[16:19], v[16:17], off
	;; [unrolled: 1-line block ×4, first 2 shown]
	v_ashrrev_i32_e32 v10, 31, v9
	v_add_co_ci_u32_e64 v5, vcc_lo, 0, v5, s2
	v_add_co_u32 v8, vcc_lo, s68, v130
	s_delay_alu instid0(VALU_DEP_3) | instskip(SKIP_3) | instid1(VALU_DEP_4)
	v_lshlrev_b64 v[132:133], 1, v[9:10]
	v_add_co_ci_u32_e32 v9, vcc_lo, s69, v131, vcc_lo
	v_dual_mov_b32 v105, 0 :: v_dual_mov_b32 v108, 0
	v_dual_mov_b32 v107, 0 :: v_dual_mov_b32 v110, 0
	v_add_co_u32 v10, s2, s68, v132
	s_delay_alu instid0(VALU_DEP_1)
	v_add_co_ci_u32_e64 v11, vcc_lo, s69, v133, s2
	v_dual_mov_b32 v109, 0 :: v_dual_mov_b32 v112, 0
	v_dual_mov_b32 v111, 0 :: v_dual_mov_b32 v114, 0
	;; [unrolled: 1-line block ×5, first 2 shown]
	s_waitcnt vmcnt(3)
	ds_store_b128 v63, v[12:15]
	s_waitcnt vmcnt(2)
	ds_store_b128 v64, v[16:19]
	;; [unrolled: 2-line block ×4, first 2 shown]
	s_waitcnt lgkmcnt(0)
	s_barrier
	buffer_gl0_inv
	ds_load_b128 v[12:15], v67
	ds_load_b128 v[16:19], v68
	ds_load_b128 v[20:23], v68 offset:128
	ds_load_b128 v[126:129], v68 offset:256
	;; [unrolled: 1-line block ×8, first 2 shown]
	s_waitcnt lgkmcnt(8)
	;;#ASMSTART
	v_dot2_f32_f16 v105, v12, v16, v105
	;;#ASMEND
	;;#ASMSTART
	v_dot2_f32_f16 v105, v13, v17, v105
	;;#ASMEND
	;;#ASMSTART
	v_dot2_f32_f16 v105, v14, v18, v105
	;;#ASMEND
	;;#ASMSTART
	v_dot2_f32_f16 v105, v15, v19, v105
	;;#ASMEND
	s_waitcnt lgkmcnt(7)
	;;#ASMSTART
	v_dot2_f32_f16 v106, v12, v20, v106
	;;#ASMEND
	;;#ASMSTART
	v_dot2_f32_f16 v106, v13, v21, v106
	;;#ASMEND
	;;#ASMSTART
	v_dot2_f32_f16 v106, v14, v22, v106
	;;#ASMEND
	;;#ASMSTART
	v_dot2_f32_f16 v106, v15, v23, v106
	;;#ASMEND
	;; [unrolled: 13-line block ×8, first 2 shown]
	;;#ASMSTART
	v_dot2_f32_f16 v113, v134, v16, v113
	;;#ASMEND
	;;#ASMSTART
	v_dot2_f32_f16 v113, v135, v17, v113
	;;#ASMEND
	;; [unrolled: 3-line block ×32, first 2 shown]
	ds_load_b128 v[12:15], v67 offset:16
	ds_load_b128 v[16:19], v68 offset:16
	;; [unrolled: 1-line block ×10, first 2 shown]
	s_waitcnt lgkmcnt(8)
	;;#ASMSTART
	v_dot2_f32_f16 v105, v12, v16, v105
	;;#ASMEND
	;;#ASMSTART
	v_dot2_f32_f16 v105, v13, v17, v105
	;;#ASMEND
	;;#ASMSTART
	v_dot2_f32_f16 v105, v14, v18, v105
	;;#ASMEND
	;;#ASMSTART
	v_dot2_f32_f16 v105, v15, v19, v105
	;;#ASMEND
	s_waitcnt lgkmcnt(7)
	;;#ASMSTART
	v_dot2_f32_f16 v106, v12, v20, v106
	;;#ASMEND
	;;#ASMSTART
	v_dot2_f32_f16 v106, v13, v21, v106
	;;#ASMEND
	;;#ASMSTART
	v_dot2_f32_f16 v106, v14, v22, v106
	;;#ASMEND
	;;#ASMSTART
	v_dot2_f32_f16 v106, v15, v23, v106
	;;#ASMEND
	;; [unrolled: 13-line block ×8, first 2 shown]
	;;#ASMSTART
	v_dot2_f32_f16 v113, v134, v16, v113
	;;#ASMEND
	;;#ASMSTART
	v_dot2_f32_f16 v113, v135, v17, v113
	;;#ASMEND
	;; [unrolled: 3-line block ×32, first 2 shown]
	ds_load_b128 v[12:15], v67 offset:32
	ds_load_b128 v[16:19], v68 offset:32
	;; [unrolled: 1-line block ×10, first 2 shown]
	s_waitcnt lgkmcnt(8)
	;;#ASMSTART
	v_dot2_f32_f16 v105, v12, v16, v105
	;;#ASMEND
	;;#ASMSTART
	v_dot2_f32_f16 v105, v13, v17, v105
	;;#ASMEND
	;;#ASMSTART
	v_dot2_f32_f16 v105, v14, v18, v105
	;;#ASMEND
	;;#ASMSTART
	v_dot2_f32_f16 v105, v15, v19, v105
	;;#ASMEND
	s_waitcnt lgkmcnt(7)
	;;#ASMSTART
	v_dot2_f32_f16 v106, v12, v20, v106
	;;#ASMEND
	;;#ASMSTART
	v_dot2_f32_f16 v106, v13, v21, v106
	;;#ASMEND
	;;#ASMSTART
	v_dot2_f32_f16 v106, v14, v22, v106
	;;#ASMEND
	;;#ASMSTART
	v_dot2_f32_f16 v106, v15, v23, v106
	;;#ASMEND
	;; [unrolled: 13-line block ×8, first 2 shown]
	;;#ASMSTART
	v_dot2_f32_f16 v113, v134, v16, v113
	;;#ASMEND
	;;#ASMSTART
	v_dot2_f32_f16 v113, v135, v17, v113
	;;#ASMEND
	;; [unrolled: 3-line block ×32, first 2 shown]
	ds_load_b128 v[12:15], v67 offset:48
	ds_load_b128 v[16:19], v68 offset:48
	;; [unrolled: 1-line block ×10, first 2 shown]
	s_waitcnt lgkmcnt(8)
	;;#ASMSTART
	v_dot2_f32_f16 v105, v12, v16, v105
	;;#ASMEND
	;;#ASMSTART
	v_dot2_f32_f16 v105, v13, v17, v105
	;;#ASMEND
	;;#ASMSTART
	v_dot2_f32_f16 v105, v14, v18, v105
	;;#ASMEND
	;;#ASMSTART
	v_dot2_f32_f16 v105, v15, v19, v105
	;;#ASMEND
	s_waitcnt lgkmcnt(7)
	;;#ASMSTART
	v_dot2_f32_f16 v106, v12, v20, v106
	;;#ASMEND
	;;#ASMSTART
	v_dot2_f32_f16 v106, v13, v21, v106
	;;#ASMEND
	;;#ASMSTART
	v_dot2_f32_f16 v106, v14, v22, v106
	;;#ASMEND
	;;#ASMSTART
	v_dot2_f32_f16 v106, v15, v23, v106
	;;#ASMEND
	;; [unrolled: 13-line block ×8, first 2 shown]
	;;#ASMSTART
	v_dot2_f32_f16 v113, v134, v16, v113
	;;#ASMEND
	;;#ASMSTART
	v_dot2_f32_f16 v113, v135, v17, v113
	;;#ASMEND
	;;#ASMSTART
	v_dot2_f32_f16 v113, v136, v18, v113
	;;#ASMEND
	;;#ASMSTART
	v_dot2_f32_f16 v113, v137, v19, v113
	;;#ASMEND
	;;#ASMSTART
	v_dot2_f32_f16 v114, v134, v20, v114
	;;#ASMEND
	;;#ASMSTART
	v_dot2_f32_f16 v114, v135, v21, v114
	;;#ASMEND
	;;#ASMSTART
	v_dot2_f32_f16 v114, v136, v22, v114
	;;#ASMEND
	;;#ASMSTART
	v_dot2_f32_f16 v114, v137, v23, v114
	;;#ASMEND
	;;#ASMSTART
	v_dot2_f32_f16 v115, v134, v126, v115
	;;#ASMEND
	;;#ASMSTART
	v_dot2_f32_f16 v115, v135, v127, v115
	;;#ASMEND
	;;#ASMSTART
	v_dot2_f32_f16 v115, v136, v128, v115
	;;#ASMEND
	;;#ASMSTART
	v_dot2_f32_f16 v115, v137, v129, v115
	;;#ASMEND
	;;#ASMSTART
	v_dot2_f32_f16 v116, v134, v130, v116
	;;#ASMEND
	;;#ASMSTART
	v_dot2_f32_f16 v116, v135, v131, v116
	;;#ASMEND
	;;#ASMSTART
	v_dot2_f32_f16 v116, v136, v132, v116
	;;#ASMEND
	;;#ASMSTART
	v_dot2_f32_f16 v116, v137, v133, v116
	;;#ASMEND
	;;#ASMSTART
	v_dot2_f32_f16 v117, v134, v138, v117
	;;#ASMEND
	;;#ASMSTART
	v_dot2_f32_f16 v117, v135, v139, v117
	;;#ASMEND
	;;#ASMSTART
	v_dot2_f32_f16 v117, v136, v140, v117
	;;#ASMEND
	;;#ASMSTART
	v_dot2_f32_f16 v117, v137, v141, v117
	;;#ASMEND
	;;#ASMSTART
	v_dot2_f32_f16 v118, v134, v142, v118
	;;#ASMEND
	;;#ASMSTART
	v_dot2_f32_f16 v118, v135, v143, v118
	;;#ASMEND
	;;#ASMSTART
	v_dot2_f32_f16 v118, v136, v144, v118
	;;#ASMEND
	;;#ASMSTART
	v_dot2_f32_f16 v118, v137, v145, v118
	;;#ASMEND
	;;#ASMSTART
	v_dot2_f32_f16 v119, v134, v146, v119
	;;#ASMEND
	;;#ASMSTART
	v_dot2_f32_f16 v119, v135, v147, v119
	;;#ASMEND
	;;#ASMSTART
	v_dot2_f32_f16 v119, v136, v148, v119
	;;#ASMEND
	;;#ASMSTART
	v_dot2_f32_f16 v119, v137, v149, v119
	;;#ASMEND
	;;#ASMSTART
	v_dot2_f32_f16 v120, v134, v150, v120
	;;#ASMEND
	;;#ASMSTART
	v_dot2_f32_f16 v120, v135, v151, v120
	;;#ASMEND
	;;#ASMSTART
	v_dot2_f32_f16 v120, v136, v152, v120
	;;#ASMEND
	;;#ASMSTART
	v_dot2_f32_f16 v120, v137, v153, v120
	;;#ASMEND
	ds_load_b128 v[12:15], v67 offset:64
	ds_load_b128 v[16:19], v68 offset:64
	;; [unrolled: 1-line block ×10, first 2 shown]
	s_waitcnt lgkmcnt(8)
	;;#ASMSTART
	v_dot2_f32_f16 v105, v12, v16, v105
	;;#ASMEND
	;;#ASMSTART
	v_dot2_f32_f16 v105, v13, v17, v105
	;;#ASMEND
	;;#ASMSTART
	v_dot2_f32_f16 v105, v14, v18, v105
	;;#ASMEND
	;;#ASMSTART
	v_dot2_f32_f16 v105, v15, v19, v105
	;;#ASMEND
	s_waitcnt lgkmcnt(7)
	;;#ASMSTART
	v_dot2_f32_f16 v106, v12, v20, v106
	;;#ASMEND
	;;#ASMSTART
	v_dot2_f32_f16 v106, v13, v21, v106
	;;#ASMEND
	;;#ASMSTART
	v_dot2_f32_f16 v106, v14, v22, v106
	;;#ASMEND
	;;#ASMSTART
	v_dot2_f32_f16 v106, v15, v23, v106
	;;#ASMEND
	;; [unrolled: 13-line block ×8, first 2 shown]
	;;#ASMSTART
	v_dot2_f32_f16 v113, v134, v16, v113
	;;#ASMEND
	;;#ASMSTART
	v_dot2_f32_f16 v113, v135, v17, v113
	;;#ASMEND
	;; [unrolled: 3-line block ×32, first 2 shown]
	ds_load_b128 v[12:15], v67 offset:80
	ds_load_b128 v[16:19], v68 offset:80
	ds_load_b128 v[20:23], v68 offset:208
	ds_load_b128 v[126:129], v68 offset:336
	ds_load_b128 v[130:133], v68 offset:464
	ds_load_b128 v[134:137], v67 offset:4688
	ds_load_b128 v[138:141], v68 offset:592
	ds_load_b128 v[142:145], v68 offset:720
	ds_load_b128 v[146:149], v68 offset:848
	ds_load_b128 v[150:153], v68 offset:976
	s_waitcnt lgkmcnt(8)
	;;#ASMSTART
	v_dot2_f32_f16 v105, v12, v16, v105
	;;#ASMEND
	;;#ASMSTART
	v_dot2_f32_f16 v105, v13, v17, v105
	;;#ASMEND
	;;#ASMSTART
	v_dot2_f32_f16 v105, v14, v18, v105
	;;#ASMEND
	;;#ASMSTART
	v_dot2_f32_f16 v105, v15, v19, v105
	;;#ASMEND
	s_waitcnt lgkmcnt(7)
	;;#ASMSTART
	v_dot2_f32_f16 v106, v12, v20, v106
	;;#ASMEND
	;;#ASMSTART
	v_dot2_f32_f16 v106, v13, v21, v106
	;;#ASMEND
	;;#ASMSTART
	v_dot2_f32_f16 v106, v14, v22, v106
	;;#ASMEND
	;;#ASMSTART
	v_dot2_f32_f16 v106, v15, v23, v106
	;;#ASMEND
	;; [unrolled: 13-line block ×8, first 2 shown]
	;;#ASMSTART
	v_dot2_f32_f16 v113, v134, v16, v113
	;;#ASMEND
	;;#ASMSTART
	v_dot2_f32_f16 v113, v135, v17, v113
	;;#ASMEND
	;; [unrolled: 3-line block ×32, first 2 shown]
	ds_load_b128 v[12:15], v67 offset:96
	ds_load_b128 v[16:19], v68 offset:96
	ds_load_b128 v[20:23], v68 offset:224
	ds_load_b128 v[126:129], v68 offset:352
	ds_load_b128 v[130:133], v68 offset:480
	ds_load_b128 v[134:137], v67 offset:4704
	ds_load_b128 v[138:141], v68 offset:608
	ds_load_b128 v[142:145], v68 offset:736
	ds_load_b128 v[146:149], v68 offset:864
	ds_load_b128 v[150:153], v68 offset:992
	s_waitcnt lgkmcnt(8)
	;;#ASMSTART
	v_dot2_f32_f16 v105, v12, v16, v105
	;;#ASMEND
	;;#ASMSTART
	v_dot2_f32_f16 v105, v13, v17, v105
	;;#ASMEND
	;;#ASMSTART
	v_dot2_f32_f16 v105, v14, v18, v105
	;;#ASMEND
	;;#ASMSTART
	v_dot2_f32_f16 v105, v15, v19, v105
	;;#ASMEND
	s_waitcnt lgkmcnt(7)
	;;#ASMSTART
	v_dot2_f32_f16 v106, v12, v20, v106
	;;#ASMEND
	;;#ASMSTART
	v_dot2_f32_f16 v106, v13, v21, v106
	;;#ASMEND
	;;#ASMSTART
	v_dot2_f32_f16 v106, v14, v22, v106
	;;#ASMEND
	;;#ASMSTART
	v_dot2_f32_f16 v106, v15, v23, v106
	;;#ASMEND
	;; [unrolled: 13-line block ×8, first 2 shown]
	;;#ASMSTART
	v_dot2_f32_f16 v113, v134, v16, v113
	;;#ASMEND
	;;#ASMSTART
	v_dot2_f32_f16 v113, v135, v17, v113
	;;#ASMEND
	;; [unrolled: 3-line block ×32, first 2 shown]
	ds_load_b128 v[12:15], v67 offset:112
	ds_load_b128 v[16:19], v68 offset:112
	;; [unrolled: 1-line block ×10, first 2 shown]
	s_waitcnt lgkmcnt(8)
	;;#ASMSTART
	v_dot2_f32_f16 v105, v12, v16, v105
	;;#ASMEND
	;;#ASMSTART
	v_dot2_f32_f16 v105, v13, v17, v105
	;;#ASMEND
	;;#ASMSTART
	v_dot2_f32_f16 v105, v14, v18, v105
	;;#ASMEND
	;;#ASMSTART
	v_dot2_f32_f16 v105, v15, v19, v105
	;;#ASMEND
	s_waitcnt lgkmcnt(7)
	;;#ASMSTART
	v_dot2_f32_f16 v106, v12, v20, v106
	;;#ASMEND
	;;#ASMSTART
	v_dot2_f32_f16 v106, v13, v21, v106
	;;#ASMEND
	;;#ASMSTART
	v_dot2_f32_f16 v106, v14, v22, v106
	;;#ASMEND
	;;#ASMSTART
	v_dot2_f32_f16 v106, v15, v23, v106
	;;#ASMEND
	s_waitcnt lgkmcnt(6)
	;;#ASMSTART
	v_dot2_f32_f16 v107, v12, v126, v107
	;;#ASMEND
	;;#ASMSTART
	v_dot2_f32_f16 v107, v13, v127, v107
	;;#ASMEND
	;;#ASMSTART
	v_dot2_f32_f16 v107, v14, v128, v107
	;;#ASMEND
	;;#ASMSTART
	v_dot2_f32_f16 v107, v15, v129, v107
	;;#ASMEND
	s_waitcnt lgkmcnt(5)
	;;#ASMSTART
	v_dot2_f32_f16 v108, v12, v130, v108
	;;#ASMEND
	;;#ASMSTART
	v_dot2_f32_f16 v108, v13, v131, v108
	;;#ASMEND
	;;#ASMSTART
	v_dot2_f32_f16 v108, v14, v132, v108
	;;#ASMEND
	;;#ASMSTART
	v_dot2_f32_f16 v108, v15, v133, v108
	;;#ASMEND
	s_waitcnt lgkmcnt(3)
	;;#ASMSTART
	v_dot2_f32_f16 v109, v12, v138, v109
	;;#ASMEND
	;;#ASMSTART
	v_dot2_f32_f16 v109, v13, v139, v109
	;;#ASMEND
	;;#ASMSTART
	v_dot2_f32_f16 v109, v14, v140, v109
	;;#ASMEND
	;;#ASMSTART
	v_dot2_f32_f16 v109, v15, v141, v109
	;;#ASMEND
	s_waitcnt lgkmcnt(2)
	;;#ASMSTART
	v_dot2_f32_f16 v110, v12, v142, v110
	;;#ASMEND
	;;#ASMSTART
	v_dot2_f32_f16 v110, v13, v143, v110
	;;#ASMEND
	;;#ASMSTART
	v_dot2_f32_f16 v110, v14, v144, v110
	;;#ASMEND
	;;#ASMSTART
	v_dot2_f32_f16 v110, v15, v145, v110
	;;#ASMEND
	s_waitcnt lgkmcnt(1)
	;;#ASMSTART
	v_dot2_f32_f16 v111, v12, v146, v111
	;;#ASMEND
	;;#ASMSTART
	v_dot2_f32_f16 v111, v13, v147, v111
	;;#ASMEND
	;;#ASMSTART
	v_dot2_f32_f16 v111, v14, v148, v111
	;;#ASMEND
	;;#ASMSTART
	v_dot2_f32_f16 v111, v15, v149, v111
	;;#ASMEND
	s_waitcnt lgkmcnt(0)
	;;#ASMSTART
	v_dot2_f32_f16 v112, v12, v150, v112
	;;#ASMEND
	;;#ASMSTART
	v_dot2_f32_f16 v112, v13, v151, v112
	;;#ASMEND
	;;#ASMSTART
	v_dot2_f32_f16 v112, v14, v152, v112
	;;#ASMEND
	;;#ASMSTART
	v_dot2_f32_f16 v112, v15, v153, v112
	;;#ASMEND
	;;#ASMSTART
	v_dot2_f32_f16 v113, v134, v16, v113
	;;#ASMEND
	;;#ASMSTART
	v_dot2_f32_f16 v113, v135, v17, v113
	;;#ASMEND
	;; [unrolled: 3-line block ×32, first 2 shown]
	s_clause 0x3
	flat_load_u16 v126, v[8:9]
	flat_load_u16 v127, v[8:9] offset:64
	flat_load_u16 v128, v[10:11]
	flat_load_u16 v129, v[10:11] offset:64
	s_waitcnt vmcnt(0) lgkmcnt(0)
	s_barrier
	buffer_gl0_inv
	s_clause 0x3
	global_load_b128 v[8:11], v[6:7], off
	global_load_b128 v[12:15], v[2:3], off
	;; [unrolled: 1-line block ×4, first 2 shown]
	v_cvt_f32_f16_e32 v0, v126
	v_cvt_f32_f16_e32 v1, v127
	v_cvt_f32_f16_e64 v2, v128
	v_cvt_f32_f16_e64 v3, v129
	s_delay_alu instid0(VALU_DEP_4) | instskip(NEXT) | instid1(VALU_DEP_3)
	v_add_f32_e32 v105, v105, v0
	v_dual_add_f32 v113, v113, v1 :: v_dual_add_f32 v110, v110, v2
	v_add_f32_e32 v108, v108, v0
	v_add_f32_e32 v116, v116, v1
	;; [unrolled: 1-line block ×3, first 2 shown]
	v_dual_add_f32 v107, v107, v0 :: v_dual_add_f32 v118, v118, v3
	v_dual_add_f32 v115, v115, v1 :: v_dual_add_f32 v112, v112, v2
	;; [unrolled: 1-line block ×5, first 2 shown]
	s_delay_alu instid0(VALU_DEP_2) | instskip(NEXT) | instid1(VALU_DEP_2)
	v_dual_add_f32 v5, 0x40051340, v108 :: v_dual_add_f32 v128, 0x40051340, v117
	v_dual_add_f32 v7, 0x40051340, v116 :: v_dual_add_f32 v130, 0x40051340, v111
	;; [unrolled: 1-line block ×3, first 2 shown]
	s_delay_alu instid0(VALU_DEP_4) | instskip(NEXT) | instid1(VALU_DEP_3)
	v_max3_f32 v0, v104, v0, v2
	v_max3_f32 v2, v101, v5, v7
	v_dual_add_f32 v114, v114, v1 :: v_dual_add_f32 v1, 0x40051340, v106
	v_add_f32_e32 v4, 0x40051340, v107
	v_max3_f32 v5, v100, v126, v128
	ds_bpermute_b32 v128, v125, v2
	v_dual_add_f32 v3, 0x40051340, v114 :: v_dual_add_f32 v6, 0x40051340, v115
	v_dual_add_f32 v127, 0x40051340, v110 :: v_dual_add_f32 v132, 0x40051340, v119
	v_add_f32_e32 v129, 0x40051340, v118
	s_delay_alu instid0(VALU_DEP_3) | instskip(NEXT) | instid1(VALU_DEP_4)
	v_max3_f32 v1, v103, v1, v3
	v_max3_f32 v3, v102, v4, v6
	s_delay_alu instid0(VALU_DEP_4)
	v_max3_f32 v7, v98, v130, v132
	ds_bpermute_b32 v126, v125, v1
	v_add_f32_e32 v131, 0x40051340, v112
	s_waitcnt lgkmcnt(1)
	v_max_f32_e32 v128, v128, v128
	v_max3_f32 v4, v99, v127, v129
	ds_bpermute_b32 v127, v125, v0
	ds_bpermute_b32 v129, v125, v3
	v_max_f32_e32 v2, v2, v128
	ds_bpermute_b32 v130, v125, v4
	s_waitcnt lgkmcnt(3)
	v_dual_add_f32 v133, 0x40051340, v120 :: v_dual_max_f32 v126, v126, v126
	s_waitcnt lgkmcnt(0)
	v_max_f32_e32 v130, v130, v130
	s_delay_alu instid0(VALU_DEP_2)
	v_max3_f32 v6, v97, v131, v133
	ds_bpermute_b32 v131, v125, v5
	v_max_f32_e32 v4, v4, v130
	ds_bpermute_b32 v132, v125, v6
	v_max_f32_e32 v127, v127, v127
	ds_bpermute_b32 v125, v125, v7
	s_waitcnt lgkmcnt(1)
	v_dual_max_f32 v131, v131, v131 :: v_dual_max_f32 v132, v132, v132
	v_dual_max_f32 v129, v129, v129 :: v_dual_max_f32 v0, v0, v127
	v_max_f32_e32 v1, v1, v126
	s_waitcnt lgkmcnt(0)
	v_max_f32_e32 v125, v125, v125
	ds_bpermute_b32 v127, v124, v2
	v_max_f32_e32 v6, v6, v132
	ds_bpermute_b32 v126, v124, v0
	;; [unrolled: 2-line block ×3, first 2 shown]
	s_waitcnt lgkmcnt(1)
	v_max_f32_e32 v126, v126, v126
	ds_bpermute_b32 v128, v124, v3
	v_max_f32_e32 v5, v5, v131
	v_max_f32_e32 v127, v127, v127
	ds_bpermute_b32 v131, v124, v6
	s_waitcnt lgkmcnt(2)
	v_dual_max_f32 v0, v0, v126 :: v_dual_max_f32 v129, v129, v129
	v_max_f32_e32 v2, v2, v127
	s_delay_alu instid0(VALU_DEP_2)
	v_max_f32_e32 v4, v4, v129
	ds_bpermute_b32 v126, v123, v2
	s_waitcnt lgkmcnt(2)
	v_max_f32_e32 v128, v128, v128
	ds_bpermute_b32 v130, v124, v5
	v_max_f32_e32 v7, v7, v125
	ds_bpermute_b32 v125, v124, v1
	s_waitcnt lgkmcnt(3)
	v_max_f32_e32 v131, v131, v131
	v_max_f32_e32 v3, v3, v128
	ds_bpermute_b32 v128, v123, v4
	v_max_f32_e32 v6, v6, v131
	s_waitcnt lgkmcnt(3)
	v_max_f32_e32 v126, v126, v126
	ds_bpermute_b32 v127, v123, v3
	v_max_f32_e32 v2, v2, v126
	s_waitcnt lgkmcnt(3)
	v_max_f32_e32 v130, v130, v130
	ds_bpermute_b32 v124, v124, v7
	s_waitcnt lgkmcnt(2)
	v_dual_max_f32 v125, v125, v125 :: v_dual_max_f32 v128, v128, v128
	s_delay_alu instid0(VALU_DEP_1) | instskip(SKIP_1) | instid1(VALU_DEP_2)
	v_max_f32_e32 v4, v4, v128
	s_waitcnt lgkmcnt(0)
	v_dual_max_f32 v124, v124, v124 :: v_dual_max_f32 v1, v1, v125
	ds_bpermute_b32 v125, v123, v0
	v_max_f32_e32 v7, v7, v124
	ds_bpermute_b32 v124, v123, v1
	v_max_f32_e32 v5, v5, v130
	ds_bpermute_b32 v130, v123, v6
	s_waitcnt lgkmcnt(2)
	v_max_f32_e32 v125, v125, v125
	s_waitcnt lgkmcnt(1)
	v_dual_max_f32 v127, v127, v127 :: v_dual_max_f32 v124, v124, v124
	s_delay_alu instid0(VALU_DEP_2)
	v_max_f32_e32 v0, v0, v125
	ds_bpermute_b32 v129, v123, v5
	s_waitcnt lgkmcnt(1)
	v_max_f32_e32 v130, v130, v130
	ds_bpermute_b32 v123, v123, v7
	v_max_f32_e32 v1, v1, v124
	ds_bpermute_b32 v124, v122, v0
	v_dual_max_f32 v3, v3, v127 :: v_dual_max_f32 v6, v6, v130
	ds_bpermute_b32 v125, v122, v2
	ds_bpermute_b32 v127, v122, v4
	s_waitcnt lgkmcnt(4)
	v_max_f32_e32 v129, v129, v129
	s_waitcnt lgkmcnt(2)
	v_dual_max_f32 v123, v123, v123 :: v_dual_max_f32 v124, v124, v124
	ds_bpermute_b32 v126, v122, v3
	v_max_f32_e32 v5, v5, v129
	ds_bpermute_b32 v129, v122, v6
	s_waitcnt lgkmcnt(3)
	v_dual_max_f32 v125, v125, v125 :: v_dual_max_f32 v0, v0, v124
	s_waitcnt lgkmcnt(2)
	s_delay_alu instid0(VALU_DEP_1) | instskip(NEXT) | instid1(VALU_DEP_1)
	v_dual_max_f32 v127, v127, v127 :: v_dual_max_f32 v2, v2, v125
	v_max_f32_e32 v4, v4, v127
	s_waitcnt lgkmcnt(1)
	v_max_f32_e32 v126, v126, v126
	ds_bpermute_b32 v128, v122, v5
	v_max_f32_e32 v7, v7, v123
	ds_bpermute_b32 v123, v122, v1
	s_waitcnt lgkmcnt(2)
	v_max_f32_e32 v129, v129, v129
	s_delay_alu instid0(VALU_DEP_1)
	v_max_f32_e32 v6, v6, v129
	s_waitcnt lgkmcnt(1)
	v_max_f32_e32 v128, v128, v128
	ds_bpermute_b32 v122, v122, v7
	s_waitcnt lgkmcnt(1)
	v_dual_max_f32 v123, v123, v123 :: v_dual_max_f32 v124, v5, v128
	ds_bpermute_b32 v5, v96, v0
	ds_bpermute_b32 v128, v96, v6
	;; [unrolled: 1-line block ×3, first 2 shown]
	s_waitcnt lgkmcnt(3)
	v_dual_max_f32 v122, v122, v122 :: v_dual_max_f32 v1, v1, v123
	v_max_f32_e32 v123, v3, v126
	ds_bpermute_b32 v126, v96, v4
	s_waitcnt lgkmcnt(3)
	v_dual_max_f32 v122, v7, v122 :: v_dual_max_f32 v5, v5, v5
	ds_bpermute_b32 v3, v96, v1
	ds_bpermute_b32 v7, v96, v2
	;; [unrolled: 1-line block ×4, first 2 shown]
	s_waitcnt lgkmcnt(5)
	v_dual_max_f32 v127, v127, v127 :: v_dual_max_f32 v0, v0, v5
	v_max_f32_e32 v128, v128, v128
	s_waitcnt lgkmcnt(3)
	v_dual_max_f32 v126, v126, v126 :: v_dual_max_f32 v3, v3, v3
	s_waitcnt lgkmcnt(2)
	v_max_f32_e32 v7, v7, v7
	s_waitcnt lgkmcnt(0)
	v_dual_max_f32 v125, v125, v125 :: v_dual_max_f32 v96, v96, v96
	v_max_f32_e32 v5, v4, v126
	v_max_f32_e32 v1, v1, v3
	s_delay_alu instid0(VALU_DEP_3)
	v_dual_max_f32 v3, v2, v7 :: v_dual_max_f32 v2, v123, v125
	v_dual_max_f32 v4, v124, v127 :: v_dual_max_f32 v7, v6, v128
	v_max_f32_e32 v6, v122, v96
	v_sub_f32_e32 v96, v104, v0
	v_dual_sub_f32 v104, v113, v0 :: v_dual_sub_f32 v103, v103, v1
	v_dual_sub_f32 v113, v114, v1 :: v_dual_sub_f32 v114, v115, v2
	;; [unrolled: 1-line block ×7, first 2 shown]
	v_dual_sub_f32 v119, v120, v7 :: v_dual_mul_f32 v120, 0x3fb8aa3b, v104
	v_dual_mul_f32 v124, 0x3fb8aa3b, v96 :: v_dual_mul_f32 v125, 0x3fb8aa3b, v113
	v_dual_mul_f32 v128, 0x3fb8aa3b, v108 :: v_dual_mul_f32 v129, 0x3fb8aa3b, v107
	;; [unrolled: 1-line block ×5, first 2 shown]
	v_fma_f32 v145, 0x3fb8aa3b, v104, -v120
	v_rndne_f32_e32 v146, v120
	v_fma_f32 v153, 0x3fb8aa3b, v113, -v125
	v_fma_f32 v159, 0x3fb8aa3b, v108, -v128
	v_rndne_f32_e32 v160, v128
	v_cmp_ngt_f32_e64 s7, 0xc2ce8ed0, v108
	v_cmp_ngt_f32_e64 s48, 0xc2ce8ed0, v104
	v_cmp_nlt_f32_e64 s31, 0x42b17218, v108
	v_cmp_nlt_f32_e64 s50, 0x42b17218, v104
	v_fma_f32 v155, 0x3fb8aa3b, v103, -v126
	v_fma_f32 v157, 0x3fb8aa3b, v114, -v127
	;; [unrolled: 1-line block ×3, first 2 shown]
	v_rndne_f32_e32 v170, v133
	v_fma_f32 v171, 0x3fb8aa3b, v110, -v134
	v_rndne_f32_e32 v172, v134
	v_dual_fmac_f32 v145, 0x32a5705f, v104 :: v_dual_sub_f32 v104, v120, v146
	v_fmac_f32_e32 v153, 0x32a5705f, v113
	v_fmac_f32_e32 v159, 0x32a5705f, v108
	v_sub_f32_e32 v108, v128, v160
	v_cmp_ngt_f32_e64 s12, 0xc2ce8ed0, v116
	v_add_f32_e32 v104, v104, v145
	v_cmp_ngt_f32_e64 s13, 0xc2ce8ed0, v110
	v_cmp_nlt_f32_e64 s37, 0x42b17218, v116
	v_cmp_nlt_f32_e64 s38, 0x42b17218, v110
	v_fma_f32 v173, 0x3fb8aa3b, v109, -v135
	v_fmac_f32_e32 v155, 0x32a5705f, v103
	v_fmac_f32_e32 v157, 0x32a5705f, v114
	v_dual_fmac_f32 v169, 0x32a5705f, v116 :: v_dual_add_f32 v108, v108, v159
	v_sub_f32_e32 v116, v133, v170
	v_dual_fmac_f32 v171, 0x32a5705f, v110 :: v_dual_sub_f32 v110, v134, v172
	v_dual_sub_f32 v105, v105, v0 :: v_dual_sub_f32 v106, v106, v1
	s_delay_alu instid0(VALU_DEP_3) | instskip(NEXT) | instid1(VALU_DEP_3)
	v_add_f32_e32 v116, v116, v169
	v_dual_fmac_f32 v173, 0x32a5705f, v109 :: v_dual_add_f32 v110, v110, v171
	v_dual_sub_f32 v98, v98, v6 :: v_dual_sub_f32 v97, v97, v7
	s_delay_alu instid0(VALU_DEP_4) | instskip(NEXT) | instid1(VALU_DEP_3)
	v_dual_mul_f32 v122, 0x3fb8aa3b, v106 :: v_dual_mul_f32 v123, 0x3fb8aa3b, v105
	v_exp_f32_e32 v110, v110
	v_dual_sub_f32 v100, v100, v4 :: v_dual_sub_f32 v99, v99, v5
	v_dual_sub_f32 v111, v111, v6 :: v_dual_sub_f32 v112, v112, v7
	v_dual_mul_f32 v130, 0x3fb8aa3b, v102 :: v_dual_mul_f32 v131, 0x3fb8aa3b, v115
	v_dual_mul_f32 v142, 0x3fb8aa3b, v98 :: v_dual_mul_f32 v143, 0x3fb8aa3b, v119
	v_fma_f32 v147, 0x3fb8aa3b, v106, -v122
	v_rndne_f32_e32 v148, v122
	v_rndne_f32_e32 v154, v125
	v_cvt_i32_f32_e32 v134, v172
	v_dual_mul_f32 v136, 0x3fb8aa3b, v100 :: v_dual_mul_f32 v137, 0x3fb8aa3b, v117
	v_dual_mul_f32 v140, 0x3fb8aa3b, v112 :: v_dual_mul_f32 v141, 0x3fb8aa3b, v111
	v_cmp_ngt_f32_e32 vcc_lo, 0xc2ce8ed0, v106
	v_cmp_ngt_f32_e64 s4, 0xc2ce8ed0, v113
	v_cmp_nlt_f32_e64 s25, 0x42b17218, v106
	v_cmp_nlt_f32_e64 s28, 0x42b17218, v113
	v_fma_f32 v151, 0x3fb8aa3b, v96, -v124
	v_rndne_f32_e32 v158, v127
	v_fma_f32 v163, 0x3fb8aa3b, v102, -v130
	v_rndne_f32_e32 v164, v130
	;; [unrolled: 2-line block ×4, first 2 shown]
	v_dual_fmac_f32 v147, 0x32a5705f, v106 :: v_dual_sub_f32 v106, v122, v148
	v_sub_f32_e32 v113, v125, v154
	v_ldexp_f32 v110, v110, v134
	v_cmp_ngt_f32_e64 s6, 0xc2ce8ed0, v114
	v_cmp_ngt_f32_e64 s9, 0xc2ce8ed0, v102
	;; [unrolled: 1-line block ×4, first 2 shown]
	v_cmp_nlt_f32_e64 s30, 0x42b17218, v114
	v_cmp_nlt_f32_e64 s34, 0x42b17218, v102
	;; [unrolled: 1-line block ×4, first 2 shown]
	v_fma_f32 v161, 0x3fb8aa3b, v107, -v129
	v_rndne_f32_e32 v162, v129
	v_fma_f32 v177, 0x3fb8aa3b, v117, -v137
	v_rndne_f32_e32 v178, v137
	;; [unrolled: 2-line block ×3, first 2 shown]
	v_dual_fmac_f32 v151, 0x32a5705f, v96 :: v_dual_sub_f32 v114, v127, v158
	v_dual_fmac_f32 v163, 0x32a5705f, v102 :: v_dual_sub_f32 v102, v130, v164
	v_fmac_f32_e32 v165, 0x32a5705f, v115
	v_dual_sub_f32 v115, v131, v166 :: v_dual_add_f32 v106, v106, v147
	v_dual_fmac_f32 v187, 0x32a5705f, v98 :: v_dual_sub_f32 v98, v142, v188
	v_add_f32_e32 v113, v113, v153
	v_cndmask_b32_e64 v110, 0, v110, s13
	v_cmp_ngt_f32_e64 s8, 0xc2ce8ed0, v107
	v_cmp_ngt_f32_e64 s17, 0xc2ce8ed0, v117
	;; [unrolled: 1-line block ×3, first 2 shown]
	v_cmp_nlt_f32_e64 s33, 0x42b17218, v107
	v_cmp_nlt_f32_e64 s41, 0x42b17218, v117
	;; [unrolled: 1-line block ×3, first 2 shown]
	v_rndne_f32_e32 v176, v136
	v_fmac_f32_e32 v161, 0x32a5705f, v107
	v_dual_sub_f32 v107, v129, v162 :: v_dual_add_f32 v98, v98, v187
	v_exp_f32_e32 v106, v106
	v_exp_f32_e32 v113, v113
	v_cndmask_b32_e64 v110, 0x7f800000, v110, s38
	v_fmac_f32_e32 v183, 0x32a5705f, v112
	v_dual_sub_f32 v112, v140, v184 :: v_dual_fmac_f32 v177, 0x32a5705f, v117
	v_dual_sub_f32 v117, v137, v178 :: v_dual_mul_f32 v138, 0x3fb8aa3b, v99
	v_mul_f32_e32 v139, 0x3fb8aa3b, v118
	v_cvt_i32_f32_e32 v122, v148
	v_cvt_i32_f32_e32 v125, v154
	v_exp_f32_e32 v98, v98
	v_fma_f32 v179, 0x3fb8aa3b, v99, -v138
	v_cvt_i32_f32_e32 v142, v188
	v_ldexp_f32 v106, v106, v122
	v_ldexp_f32 v113, v113, v125
	v_rndne_f32_e32 v156, v126
	v_fmac_f32_e32 v179, 0x32a5705f, v99
	v_cmp_ngt_f32_e64 s5, 0xc2ce8ed0, v103
	v_cndmask_b32_e32 v106, 0, v106, vcc_lo
	v_cndmask_b32_e64 v113, 0, v113, s4
	v_ldexp_f32 v98, v98, v142
	v_cmp_nlt_f32_e64 s29, 0x42b17218, v103
	v_fma_f32 v149, 0x3fb8aa3b, v105, -v123
	v_rndne_f32_e32 v152, v124
	v_fma_f32 v167, 0x3fb8aa3b, v101, -v132
	v_rndne_f32_e32 v168, v132
	v_fma_f32 v175, 0x3fb8aa3b, v100, -v136
	v_fma_f32 v181, 0x3fb8aa3b, v118, -v139
	v_rndne_f32_e32 v182, v139
	v_sub_f32_e32 v103, v126, v156
	v_cndmask_b32_e64 v98, 0, v98, s22
	v_cndmask_b32_e64 v106, 0x7f800000, v106, s25
	;; [unrolled: 1-line block ×3, first 2 shown]
	v_cmp_ngt_f32_e64 s3, 0xc2ce8ed0, v96
	v_cmp_ngt_f32_e64 s11, 0xc2ce8ed0, v101
	;; [unrolled: 1-line block ×4, first 2 shown]
	v_cmp_nlt_f32_e64 s27, 0x42b17218, v96
	v_cmp_nlt_f32_e64 s36, 0x42b17218, v101
	;; [unrolled: 1-line block ×4, first 2 shown]
	v_rndne_f32_e32 v174, v135
	v_dual_fmac_f32 v149, 0x32a5705f, v105 :: v_dual_sub_f32 v96, v124, v152
	v_fmac_f32_e32 v167, 0x32a5705f, v101
	v_dual_sub_f32 v101, v132, v168 :: v_dual_add_f32 v102, v102, v163
	v_fmac_f32_e32 v181, 0x32a5705f, v118
	v_sub_f32_e32 v118, v139, v182
	v_dual_add_f32 v103, v103, v155 :: v_dual_add_f32 v114, v114, v157
	v_add_f32_e32 v115, v115, v165
	v_cndmask_b32_e64 v125, 0x7f800000, v98, s46
	v_dual_add_f32 v98, v106, v113 :: v_dual_fmac_f32 v175, 0x32a5705f, v100
	v_add_f32_e32 v118, v118, v181
	v_sub_f32_e32 v100, v136, v176
	v_cmp_ngt_f32_e64 s15, 0xc2ce8ed0, v109
	v_cmp_nlt_f32_e64 s39, 0x42b17218, v109
	v_rndne_f32_e32 v150, v123
	s_delay_alu instid0(VALU_DEP_4)
	v_dual_sub_f32 v109, v135, v174 :: v_dual_add_f32 v100, v100, v175
	v_exp_f32_e32 v103, v103
	v_exp_f32_e32 v114, v114
	;; [unrolled: 1-line block ×5, first 2 shown]
	v_mul_f32_e32 v144, 0x3fb8aa3b, v97
	v_cmp_ngt_f32_e64 s2, 0xc2ce8ed0, v105
	v_cmp_nlt_f32_e64 s26, 0x42b17218, v105
	v_sub_f32_e32 v105, v123, v150
	v_cvt_i32_f32_e32 v126, v156
	v_cvt_i32_f32_e32 v127, v158
	v_cvt_i32_f32_e32 v128, v160
	v_cvt_i32_f32_e32 v130, v164
	v_cvt_i32_f32_e32 v131, v166
	v_exp_f32_e32 v100, v100
	v_cvt_i32_f32_e32 v136, v176
	v_add_f32_e32 v105, v105, v149
	v_ldexp_f32 v103, v103, v126
	v_ldexp_f32 v114, v114, v127
	;; [unrolled: 1-line block ×5, first 2 shown]
	v_rndne_f32_e32 v180, v138
	v_exp_f32_e32 v105, v105
	v_ldexp_f32 v100, v100, v136
	v_cndmask_b32_e64 v103, 0, v103, s5
	v_cndmask_b32_e64 v114, 0, v114, s6
	;; [unrolled: 1-line block ×5, first 2 shown]
	v_cmp_ngt_f32_e64 s18, 0xc2ce8ed0, v99
	v_cmp_nlt_f32_e64 s42, 0x42b17218, v99
	v_cvt_i32_f32_e32 v123, v150
	v_dual_add_f32 v112, v112, v183 :: v_dual_add_f32 v117, v117, v177
	v_cndmask_b32_e64 v100, 0, v100, s16
	v_cndmask_b32_e64 v122, 0x7f800000, v103, s29
	;; [unrolled: 1-line block ×6, first 2 shown]
	v_sub_f32_e32 v99, v138, v180
	v_exp_f32_e32 v117, v117
	v_ldexp_f32 v105, v105, v123
	v_cndmask_b32_e64 v123, 0x7f800000, v100, s40
	s_delay_alu instid0(VALU_DEP_3)
	v_dual_add_f32 v100, v108, v102 :: v_dual_add_f32 v99, v99, v179
	v_cvt_i32_f32_e32 v137, v178
	v_cvt_i32_f32_e32 v138, v180
	v_add_f32_e32 v96, v96, v151
	v_fma_f32 v189, 0x3fb8aa3b, v119, -v143
	v_exp_f32_e32 v99, v99
	s_delay_alu instid0(TRANS32_DEP_2)
	v_ldexp_f32 v117, v117, v137
	v_rndne_f32_e32 v190, v143
	v_exp_f32_e32 v96, v96
	v_cvt_i32_f32_e32 v124, v152
	v_cmp_ngt_f32_e64 s23, 0xc2ce8ed0, v119
	v_cndmask_b32_e64 v117, 0, v117, s17
	v_cmp_nlt_f32_e64 s47, 0x42b17218, v119
	v_cvt_f16_f32_e64 v130, v108
	v_cvt_f16_f32_e32 v108, v102
	v_ldexp_f32 v99, v99, v138
	v_cndmask_b32_e64 v117, 0x7f800000, v117, s41
	v_exp_f32_e32 v112, v112
	v_ldexp_f32 v96, v96, v124
	v_cvt_i32_f32_e32 v140, v184
	v_cndmask_b32_e64 v99, 0, v99, s18
	v_add_f32_e32 v102, v110, v117
	v_add_f32_e32 v109, v109, v173
	v_fma_f32 v185, 0x3fb8aa3b, v111, -v141
	v_rndne_f32_e32 v186, v141
	v_cndmask_b32_e64 v124, 0x7f800000, v99, s42
	v_fmac_f32_e32 v189, 0x32a5705f, v119
	v_sub_f32_e32 v119, v143, v190
	v_cvt_i32_f32_e32 v143, v190
	v_ldexp_f32 v112, v112, v140
	v_fmac_f32_e32 v102, v90, v124
	v_exp_f32_e32 v109, v109
	v_add_f32_e32 v119, v119, v189
	v_fma_f32 v191, 0x3fb8aa3b, v97, -v144
	v_cndmask_b32_e64 v112, 0, v112, s20
	v_rndne_f32_e32 v192, v144
	v_cmp_ngt_f32_e64 s21, 0xc2ce8ed0, v111
	v_exp_f32_e32 v119, v119
	v_cmp_nlt_f32_e64 s45, 0x42b17218, v111
	v_cvt_i32_f32_e32 v135, v174
	v_dual_fmac_f32 v185, 0x32a5705f, v111 :: v_dual_fmac_f32 v98, v94, v122
	v_cndmask_b32_e64 v112, 0x7f800000, v112, s44
	v_cmp_ngt_f32_e64 s24, 0xc2ce8ed0, v97
	v_cmp_nlt_f32_e64 s49, 0x42b17218, v97
	v_fmac_f32_e32 v191, 0x32a5705f, v97
	v_sub_f32_e32 v97, v144, v192
	s_delay_alu instid0(TRANS32_DEP_1)
	v_ldexp_f32 v119, v119, v143
	v_add_f32_e32 v107, v107, v161
	v_add_f32_e32 v101, v101, v167
	v_ldexp_f32 v109, v109, v135
	v_cvt_f16_f32_e64 v135, v112
	v_cndmask_b32_e64 v119, 0, v119, s23
	v_add_f32_e32 v97, v97, v191
	v_exp_f32_e32 v104, v104
	v_exp_f32_e32 v107, v107
	;; [unrolled: 1-line block ×3, first 2 shown]
	v_cndmask_b32_e64 v119, 0x7f800000, v119, s47
	v_sub_f32_e32 v111, v141, v186
	v_exp_f32_e32 v116, v116
	v_exp_f32_e32 v118, v118
	;; [unrolled: 1-line block ×3, first 2 shown]
	s_delay_alu instid0(VALU_DEP_1)
	v_dual_add_f32 v112, v112, v119 :: v_dual_add_f32 v111, v111, v185
	v_cvt_i32_f32_e32 v120, v146
	v_cvt_i32_f32_e32 v129, v162
	;; [unrolled: 1-line block ×4, first 2 shown]
	v_exp_f32_e32 v111, v111
	v_cvt_i32_f32_e32 v139, v182
	v_cvt_i32_f32_e32 v141, v186
	;; [unrolled: 1-line block ×3, first 2 shown]
	v_ldexp_f32 v104, v104, v120
	v_ldexp_f32 v107, v107, v129
	;; [unrolled: 1-line block ×7, first 2 shown]
	v_cndmask_b32_e64 v104, 0, v104, s48
	v_cndmask_b32_e64 v105, 0, v105, s2
	v_cndmask_b32_e64 v96, 0, v96, s3
	v_cndmask_b32_e64 v107, 0, v107, s8
	v_cndmask_b32_e64 v101, 0, v101, s11
	v_cndmask_b32_e64 v116, 0, v116, s12
	v_cndmask_b32_e64 v109, 0, v109, s15
	v_cndmask_b32_e64 v118, 0, v118, s19
	v_cndmask_b32_e64 v111, 0, v111, s21
	v_cndmask_b32_e64 v97, 0, v97, s24
	v_cndmask_b32_e64 v120, 0x7f800000, v104, s50
	v_cndmask_b32_e64 v105, 0x7f800000, v105, s26
	v_cndmask_b32_e64 v96, 0x7f800000, v96, s27
	v_cndmask_b32_e64 v107, 0x7f800000, v107, s33
	v_cndmask_b32_e64 v115, 0x7f800000, v101, s36
	v_cndmask_b32_e64 v116, 0x7f800000, v116, s37
	v_cndmask_b32_e64 v109, 0x7f800000, v109, s39
	v_cndmask_b32_e64 v118, 0x7f800000, v118, s43
	v_cndmask_b32_e64 v111, 0x7f800000, v111, s45
	v_cndmask_b32_e64 v104, 0x7f800000, v97, s49
	v_add_f32_e32 v97, v105, v120
	v_cvt_f16_f32_e32 v126, v96
	v_cvt_f16_f32_e32 v127, v106
	;; [unrolled: 1-line block ×5, first 2 shown]
	v_add_f32_e32 v99, v107, v103
	v_cvt_f16_f32_e64 v128, v103
	v_cvt_f16_f32_e64 v129, v114
	v_cvt_f16_f32_e32 v107, v107
	v_cvt_f16_f32_e64 v131, v115
	v_add_f32_e32 v101, v109, v116
	v_cvt_f16_f32_e64 v133, v110
	v_cvt_f16_f32_e32 v109, v109
	v_add_f32_e32 v103, v111, v118
	v_cvt_f16_f32_e32 v111, v111
	v_cvt_f16_f32_e32 v120, v120
	;; [unrolled: 1-line block ×3, first 2 shown]
	v_cvt_f16_f32_e64 v132, v123
	v_cvt_f16_f32_e32 v110, v117
	v_cvt_f16_f32_e32 v117, v124
	;; [unrolled: 1-line block ×3, first 2 shown]
	v_cvt_f16_f32_e64 v134, v125
	v_cvt_f16_f32_e32 v119, v119
	v_cvt_f16_f32_e64 v136, v104
	v_fmac_f32_e32 v97, v95, v96
	v_pk_mul_f16 v95, v126, v88 op_sel_hi:[0,1]
	v_pk_mul_f16 v190, v113, v87 op_sel_hi:[0,1]
	;; [unrolled: 1-line block ×4, first 2 shown]
	v_pack_b32_f16 v88, v111, v135
	v_pack_b32_f16 v87, v109, v133
	;; [unrolled: 1-line block ×4, first 2 shown]
	v_fmac_f32_e32 v100, v92, v115
	v_fmac_f32_e32 v101, v91, v123
	v_pk_mul_f16 v193, v132, v43 op_sel_hi:[0,1]
	v_pk_mul_f16 v194, v117, v42 op_sel_hi:[0,1]
	v_fmac_f32_e32 v103, v89, v125
	v_pack_b32_f16 v92, v118, v119
	v_pack_b32_f16 v91, v116, v110
	;; [unrolled: 1-line block ×4, first 2 shown]
	v_pk_mul_f16 v195, v134, v41 op_sel_hi:[0,1]
	v_pk_mul_f16 v196, v136, v40 op_sel_hi:[0,1]
	v_dual_fmac_f32 v99, v93, v114 :: v_dual_mov_b32 v96, v112
	ds_store_b128 v77, v[85:88]
	ds_store_b128 v77, v[89:92] offset:512
	s_waitcnt vmcnt(3)
	ds_store_b128 v71, v[8:11]
	s_waitcnt vmcnt(2)
	ds_store_b128 v73, v[12:15]
	;; [unrolled: 2-line block ×4, first 2 shown]
	s_waitcnt lgkmcnt(0)
	s_barrier
	buffer_gl0_inv
	ds_load_2addr_b32 v[12:13], v55 offset1:32
	ds_load_b128 v[8:11], v72
	ds_load_b128 v[16:19], v72 offset:16
	ds_load_b128 v[20:23], v72 offset:32
	;; [unrolled: 1-line block ×3, first 2 shown]
	ds_load_2addr_b32 v[40:41], v55 offset0:64 offset1:96
	ds_load_2addr_b32 v[93:94], v55 offset0:128 offset1:160
	ds_load_b128 v[89:92], v72 offset:64
	ds_load_b128 v[105:108], v72 offset:80
	ds_load_2addr_b32 v[202:203], v55 offset0:192 offset1:224
	ds_load_b128 v[109:112], v72 offset:96
	ds_load_b128 v[113:116], v72 offset:112
	ds_load_2addr_b32 v[204:205], v78 offset1:32
	ds_load_b128 v[117:120], v72 offset:128
	ds_load_b128 v[122:125], v72 offset:144
	ds_load_2addr_b32 v[206:207], v78 offset0:64 offset1:96
	ds_load_b128 v[126:129], v72 offset:160
	ds_load_b128 v[130:133], v72 offset:176
	ds_load_2addr_b32 v[208:209], v78 offset0:128 offset1:160
	;; [unrolled: 3-line block ×3, first 2 shown]
	ds_load_b128 v[142:145], v72 offset:224
	ds_load_b128 v[146:149], v72 offset:240
	ds_load_2addr_b32 v[212:213], v79 offset1:32
	ds_load_b128 v[150:153], v72 offset:256
	ds_load_b128 v[154:157], v72 offset:272
	ds_load_2addr_b32 v[214:215], v79 offset0:64 offset1:96
	ds_load_b128 v[158:161], v72 offset:288
	ds_load_b128 v[162:165], v72 offset:304
	ds_load_2addr_b32 v[216:217], v79 offset0:128 offset1:160
	;; [unrolled: 3-line block ×3, first 2 shown]
	ds_load_b128 v[174:177], v72 offset:352
	ds_load_b128 v[178:181], v72 offset:368
	ds_load_2addr_b32 v[42:43], v80 offset1:32
	ds_load_b128 v[182:185], v72 offset:384
	ds_load_b128 v[186:189], v72 offset:400
	ds_load_2addr_b32 v[14:15], v80 offset0:64 offset1:96
	s_waitcnt lgkmcnt(38)
	v_pk_fma_f16 v95, v12, v8, v95 op_sel_hi:[1,0,1]
	v_pk_fma_f16 v8, v12, v8, v190 op_sel:[0,1,0]
	v_pk_fma_f16 v197, v12, v9, v191 op_sel_hi:[1,0,1]
	v_pk_fma_f16 v9, v12, v9, v192 op_sel:[0,1,0]
	v_pk_fma_f16 v198, v12, v10, v193 op_sel_hi:[1,0,1]
	v_pk_fma_f16 v10, v12, v10, v194 op_sel:[0,1,0]
	v_pk_fma_f16 v194, v12, v11, v195 op_sel_hi:[1,0,1]
	v_pk_fma_f16 v11, v12, v11, v196 op_sel:[0,1,0]
	s_waitcnt lgkmcnt(37)
	v_pk_fma_f16 v12, v13, v16, v95 op_sel_hi:[1,0,1]
	v_pk_fma_f16 v8, v13, v16, v8 op_sel:[0,1,0]
	v_pk_fma_f16 v95, v13, v17, v197 op_sel_hi:[1,0,1]
	v_pk_fma_f16 v9, v13, v17, v9 op_sel:[0,1,0]
	v_pk_fma_f16 v198, v13, v18, v198 op_sel_hi:[1,0,1]
	v_pk_fma_f16 v10, v13, v18, v10 op_sel:[0,1,0]
	v_pk_fma_f16 v18, v13, v19, v194 op_sel_hi:[1,0,1]
	v_pk_fma_f16 v11, v13, v19, v11 op_sel:[0,1,0]
	;; [unrolled: 9-line block ×3, first 2 shown]
	v_pk_fma_f16 v12, v41, v85, v12 op_sel_hi:[1,0,1]
	v_pk_fma_f16 v8, v41, v85, v8 op_sel:[0,1,0]
	v_pk_fma_f16 v13, v41, v86, v13 op_sel_hi:[1,0,1]
	v_pk_fma_f16 v9, v41, v86, v9 op_sel:[0,1,0]
	v_pk_fma_f16 v20, v41, v87, v19 op_sel_hi:[1,0,1]
	v_pk_fma_f16 v10, v41, v87, v10 op_sel:[0,1,0]
	v_pk_fma_f16 v21, v41, v88, v18 op_sel_hi:[1,0,1]
	v_pk_fma_f16 v11, v41, v88, v11 op_sel:[0,1,0]
	s_waitcnt lgkmcnt(32)
	v_pk_fma_f16 v12, v93, v89, v12 op_sel_hi:[1,0,1]
	v_pk_fma_f16 v8, v93, v89, v8 op_sel:[0,1,0]
	v_pk_fma_f16 v13, v93, v90, v13 op_sel_hi:[1,0,1]
	v_pk_fma_f16 v9, v93, v90, v9 op_sel:[0,1,0]
	v_pk_fma_f16 v20, v93, v91, v20 op_sel_hi:[1,0,1]
	v_pk_fma_f16 v10, v93, v91, v10 op_sel:[0,1,0]
	v_pk_fma_f16 v21, v93, v92, v21 op_sel_hi:[1,0,1]
	v_pk_fma_f16 v11, v93, v92, v11 op_sel:[0,1,0]
	s_waitcnt lgkmcnt(31)
	;; [unrolled: 9-line block ×18, first 2 shown]
	v_pk_fma_f16 v211, v217, v170, v209 op_sel_hi:[1,0,1]
	v_pk_fma_f16 v95, v217, v170, v95 op_sel:[0,1,0]
	v_pk_fma_f16 v170, v217, v171, v166 op_sel_hi:[1,0,1]
	v_pk_fma_f16 v171, v217, v171, v167 op_sel:[0,1,0]
	;; [unrolled: 2-line block ×4, first 2 shown]
	ds_load_b128 v[190:193], v72 offset:416
	s_waitcnt lgkmcnt(6)
	v_pk_fma_f16 v211, v218, v174, v211 op_sel_hi:[1,0,1]
	v_pk_fma_f16 v95, v218, v174, v95 op_sel:[0,1,0]
	v_pk_fma_f16 v174, v218, v175, v170 op_sel_hi:[1,0,1]
	v_pk_fma_f16 v175, v218, v175, v171 op_sel:[0,1,0]
	;; [unrolled: 2-line block ×4, first 2 shown]
	s_waitcnt lgkmcnt(5)
	v_pk_fma_f16 v213, v219, v178, v211 op_sel_hi:[1,0,1]
	v_pk_fma_f16 v95, v219, v178, v95 op_sel:[0,1,0]
	v_pk_fma_f16 v178, v219, v179, v174 op_sel_hi:[1,0,1]
	v_pk_fma_f16 v179, v219, v179, v175 op_sel:[0,1,0]
	;; [unrolled: 2-line block ×4, first 2 shown]
	ds_load_b128 v[194:197], v72 offset:432
	ds_load_2addr_b32 v[16:17], v80 offset0:128 offset1:160
	ds_load_b128 v[198:201], v72 offset:448
	s_waitcnt lgkmcnt(6)
	v_pk_fma_f16 v213, v42, v182, v213 op_sel_hi:[1,0,1]
	v_pk_fma_f16 v95, v42, v182, v95 op_sel:[0,1,0]
	v_pk_fma_f16 v182, v42, v183, v178 op_sel_hi:[1,0,1]
	v_pk_fma_f16 v183, v42, v183, v179 op_sel:[0,1,0]
	v_pk_fma_f16 v212, v42, v184, v212 op_sel_hi:[1,0,1]
	v_pk_fma_f16 v184, v42, v184, v180 op_sel:[0,1,0]
	v_pk_fma_f16 v214, v42, v185, v214 op_sel_hi:[1,0,1]
	v_pk_fma_f16 v42, v42, v185, v181 op_sel:[0,1,0]
	s_waitcnt lgkmcnt(5)
	v_pk_fma_f16 v213, v43, v186, v213 op_sel_hi:[1,0,1]
	v_pk_fma_f16 v95, v43, v186, v95 op_sel:[0,1,0]
	v_pk_fma_f16 v186, v43, v187, v182 op_sel_hi:[1,0,1]
	v_pk_fma_f16 v187, v43, v187, v183 op_sel:[0,1,0]
	;; [unrolled: 2-line block ×4, first 2 shown]
	ds_load_b128 v[85:88], v72 offset:464
	ds_load_2addr_b32 v[18:19], v80 offset0:192 offset1:224
	ds_load_b128 v[89:92], v72 offset:480
	s_waitcnt lgkmcnt(6)
	v_pk_fma_f16 v213, v14, v190, v213 op_sel_hi:[1,0,1]
	v_pk_fma_f16 v95, v14, v190, v95 op_sel:[0,1,0]
	v_pk_fma_f16 v190, v14, v191, v186 op_sel_hi:[1,0,1]
	v_pk_fma_f16 v191, v14, v191, v187 op_sel:[0,1,0]
	;; [unrolled: 2-line block ×4, first 2 shown]
	s_waitcnt lgkmcnt(5)
	v_pk_fma_f16 v215, v15, v194, v213 op_sel_hi:[1,0,1]
	v_pk_fma_f16 v95, v15, v194, v95 op_sel:[0,1,0]
	v_pk_fma_f16 v194, v15, v195, v190 op_sel_hi:[1,0,1]
	v_pk_fma_f16 v195, v15, v195, v191 op_sel:[0,1,0]
	;; [unrolled: 2-line block ×4, first 2 shown]
	ds_load_b128 v[105:108], v72 offset:496
	ds_load_2addr_b32 v[20:21], v81 offset1:32
	ds_load_b128 v[109:112], v72 offset:512
	s_waitcnt lgkmcnt(6)
	v_pk_fma_f16 v15, v16, v198, v215 op_sel_hi:[1,0,1]
	v_pk_fma_f16 v95, v16, v198, v95 op_sel:[0,1,0]
	v_pk_fma_f16 v198, v16, v199, v194 op_sel_hi:[1,0,1]
	v_pk_fma_f16 v199, v16, v199, v195 op_sel:[0,1,0]
	v_pk_fma_f16 v215, v16, v200, v216 op_sel_hi:[1,0,1]
	v_pk_fma_f16 v200, v16, v200, v196 op_sel:[0,1,0]
	v_pk_fma_f16 v214, v16, v201, v214 op_sel_hi:[1,0,1]
	v_pk_fma_f16 v14, v16, v201, v14 op_sel:[0,1,0]
	s_waitcnt lgkmcnt(5)
	v_pk_fma_f16 v201, v17, v85, v15 op_sel_hi:[1,0,1]
	v_pk_fma_f16 v85, v17, v85, v95 op_sel:[0,1,0]
	v_pk_fma_f16 v95, v17, v86, v198 op_sel_hi:[1,0,1]
	v_pk_fma_f16 v86, v17, v86, v199 op_sel:[0,1,0]
	v_pk_fma_f16 v215, v17, v87, v215 op_sel_hi:[1,0,1]
	v_pk_fma_f16 v87, v17, v87, v200 op_sel:[0,1,0]
	v_pk_fma_f16 v200, v17, v88, v214 op_sel_hi:[1,0,1]
	v_pk_fma_f16 v88, v17, v88, v14 op_sel:[0,1,0]
	ds_load_b128 v[113:116], v72 offset:528
	ds_load_2addr_b32 v[22:23], v81 offset0:64 offset1:96
	ds_load_b128 v[117:120], v72 offset:544
	s_waitcnt lgkmcnt(6)
	v_pk_fma_f16 v201, v18, v89, v201 op_sel_hi:[1,0,1]
	v_pk_fma_f16 v89, v18, v89, v85 op_sel:[0,1,0]
	v_pk_fma_f16 v95, v18, v90, v95 op_sel_hi:[1,0,1]
	v_pk_fma_f16 v90, v18, v90, v86 op_sel:[0,1,0]
	v_pk_fma_f16 v214, v18, v91, v215 op_sel_hi:[1,0,1]
	v_pk_fma_f16 v91, v18, v91, v87 op_sel:[0,1,0]
	v_pk_fma_f16 v200, v18, v92, v200 op_sel_hi:[1,0,1]
	v_pk_fma_f16 v18, v18, v92, v88 op_sel:[0,1,0]
	s_waitcnt lgkmcnt(5)
	v_pk_fma_f16 v215, v19, v105, v201 op_sel_hi:[1,0,1]
	v_pk_fma_f16 v105, v19, v105, v89 op_sel:[0,1,0]
	v_pk_fma_f16 v95, v19, v106, v95 op_sel_hi:[1,0,1]
	v_pk_fma_f16 v106, v19, v106, v90 op_sel:[0,1,0]
	v_pk_fma_f16 v214, v19, v107, v214 op_sel_hi:[1,0,1]
	v_pk_fma_f16 v107, v19, v107, v91 op_sel:[0,1,0]
	v_pk_fma_f16 v216, v19, v108, v200 op_sel_hi:[1,0,1]
	v_pk_fma_f16 v18, v19, v108, v18 op_sel:[0,1,0]
	ds_load_b128 v[122:125], v72 offset:560
	ds_load_2addr_b32 v[12:13], v81 offset0:128 offset1:160
	;; [unrolled: 21-line block ×3, first 2 shown]
	ds_load_b128 v[130:133], v72 offset:608
	s_waitcnt lgkmcnt(6)
	v_pk_fma_f16 v116, v22, v117, v112 op_sel_hi:[1,0,1]
	v_pk_fma_f16 v117, v22, v117, v109 op_sel:[0,1,0]
	v_pk_fma_f16 v95, v22, v118, v95 op_sel_hi:[1,0,1]
	v_pk_fma_f16 v118, v22, v118, v110 op_sel:[0,1,0]
	;; [unrolled: 2-line block ×4, first 2 shown]
	s_waitcnt lgkmcnt(5)
	v_pk_fma_f16 v120, v23, v122, v116 op_sel_hi:[1,0,1]
	v_pk_fma_f16 v117, v23, v122, v117 op_sel:[0,1,0]
	v_pk_fma_f16 v95, v23, v123, v95 op_sel_hi:[1,0,1]
	v_pk_fma_f16 v118, v23, v123, v118 op_sel:[0,1,0]
	;; [unrolled: 2-line block ×4, first 2 shown]
	ds_load_b128 v[134:137], v72 offset:624
	ds_load_2addr_b32 v[93:94], v82 offset1:32
	ds_load_b128 v[138:141], v72 offset:640
	s_waitcnt lgkmcnt(6)
	v_pk_fma_f16 v120, v12, v8, v120 op_sel_hi:[1,0,1]
	v_pk_fma_f16 v117, v12, v8, v117 op_sel:[0,1,0]
	v_pk_fma_f16 v95, v12, v9, v95 op_sel_hi:[1,0,1]
	v_pk_fma_f16 v118, v12, v9, v118 op_sel:[0,1,0]
	;; [unrolled: 2-line block ×4, first 2 shown]
	s_waitcnt lgkmcnt(5)
	v_pk_fma_f16 v124, v13, v126, v120 op_sel_hi:[1,0,1]
	v_pk_fma_f16 v125, v13, v126, v117 op_sel:[0,1,0]
	v_pk_fma_f16 v95, v13, v127, v95 op_sel_hi:[1,0,1]
	v_pk_fma_f16 v126, v13, v127, v118 op_sel:[0,1,0]
	;; [unrolled: 2-line block ×4, first 2 shown]
	ds_load_b128 v[142:145], v72 offset:656
	ds_load_2addr_b32 v[202:203], v82 offset0:64 offset1:96
	ds_load_b128 v[146:149], v72 offset:672
	v_fmac_f32_e32 v96, v121, v104
	s_waitcnt lgkmcnt(6)
	v_pk_fma_f16 v13, v40, v130, v124 op_sel_hi:[1,0,1]
	v_pk_fma_f16 v104, v40, v130, v125 op_sel:[0,1,0]
	v_pk_fma_f16 v95, v40, v131, v95 op_sel_hi:[1,0,1]
	v_pk_fma_f16 v121, v40, v131, v126 op_sel:[0,1,0]
	;; [unrolled: 2-line block ×4, first 2 shown]
	s_waitcnt lgkmcnt(5)
	v_pk_fma_f16 v13, v41, v134, v13 op_sel_hi:[1,0,1]
	v_pk_fma_f16 v40, v41, v134, v104 op_sel:[0,1,0]
	v_pk_fma_f16 v95, v41, v135, v95 op_sel_hi:[1,0,1]
	v_pk_fma_f16 v104, v41, v135, v121 op_sel:[0,1,0]
	;; [unrolled: 2-line block ×4, first 2 shown]
	ds_load_b128 v[150:153], v72 offset:688
	ds_load_2addr_b32 v[204:205], v82 offset0:128 offset1:160
	ds_load_b128 v[154:157], v72 offset:704
	s_waitcnt lgkmcnt(6)
	v_pk_fma_f16 v13, v93, v138, v13 op_sel_hi:[1,0,1]
	v_pk_fma_f16 v40, v93, v138, v40 op_sel:[0,1,0]
	v_pk_fma_f16 v41, v93, v139, v95 op_sel_hi:[1,0,1]
	v_pk_fma_f16 v95, v93, v139, v104 op_sel:[0,1,0]
	;; [unrolled: 2-line block ×4, first 2 shown]
	s_waitcnt lgkmcnt(5)
	v_pk_fma_f16 v13, v94, v142, v13 op_sel_hi:[1,0,1]
	v_pk_fma_f16 v40, v94, v142, v40 op_sel:[0,1,0]
	v_pk_fma_f16 v41, v94, v143, v41 op_sel_hi:[1,0,1]
	v_pk_fma_f16 v93, v94, v143, v95 op_sel:[0,1,0]
	;; [unrolled: 2-line block ×4, first 2 shown]
	ds_load_b128 v[158:161], v72 offset:720
	ds_load_2addr_b32 v[206:207], v82 offset0:192 offset1:224
	ds_load_b128 v[162:165], v72 offset:736
	s_waitcnt lgkmcnt(6)
	v_pk_fma_f16 v13, v202, v146, v13 op_sel_hi:[1,0,1]
	v_pk_fma_f16 v40, v202, v146, v40 op_sel:[0,1,0]
	v_pk_fma_f16 v41, v202, v147, v41 op_sel_hi:[1,0,1]
	v_pk_fma_f16 v93, v202, v147, v93 op_sel:[0,1,0]
	v_pk_fma_f16 v94, v202, v148, v95 op_sel_hi:[1,0,1]
	v_pk_fma_f16 v95, v202, v148, v104 op_sel:[0,1,0]
	v_pk_fma_f16 v104, v202, v149, v121 op_sel_hi:[1,0,1]
	v_pk_fma_f16 v12, v202, v149, v12 op_sel:[0,1,0]
	s_waitcnt lgkmcnt(5)
	v_pk_fma_f16 v13, v203, v150, v13 op_sel_hi:[1,0,1]
	v_pk_fma_f16 v40, v203, v150, v40 op_sel:[0,1,0]
	v_pk_fma_f16 v41, v203, v151, v41 op_sel_hi:[1,0,1]
	v_pk_fma_f16 v93, v203, v151, v93 op_sel:[0,1,0]
	;; [unrolled: 2-line block ×4, first 2 shown]
	ds_load_b128 v[166:169], v72 offset:752
	ds_load_2addr_b32 v[208:209], v83 offset1:32
	ds_load_b128 v[170:173], v72 offset:768
	s_waitcnt lgkmcnt(6)
	v_pk_fma_f16 v13, v204, v154, v13 op_sel_hi:[1,0,1]
	v_pk_fma_f16 v40, v204, v154, v40 op_sel:[0,1,0]
	v_pk_fma_f16 v41, v204, v155, v41 op_sel_hi:[1,0,1]
	v_pk_fma_f16 v93, v204, v155, v93 op_sel:[0,1,0]
	v_pk_fma_f16 v94, v204, v156, v94 op_sel_hi:[1,0,1]
	v_pk_fma_f16 v95, v204, v156, v95 op_sel:[0,1,0]
	v_pk_fma_f16 v104, v204, v157, v104 op_sel_hi:[1,0,1]
	v_pk_fma_f16 v12, v204, v157, v12 op_sel:[0,1,0]
	s_waitcnt lgkmcnt(5)
	v_pk_fma_f16 v13, v205, v158, v13 op_sel_hi:[1,0,1]
	v_pk_fma_f16 v40, v205, v158, v40 op_sel:[0,1,0]
	v_pk_fma_f16 v41, v205, v159, v41 op_sel_hi:[1,0,1]
	v_pk_fma_f16 v93, v205, v159, v93 op_sel:[0,1,0]
	v_pk_fma_f16 v94, v205, v160, v94 op_sel_hi:[1,0,1]
	v_pk_fma_f16 v95, v205, v160, v95 op_sel:[0,1,0]
	v_pk_fma_f16 v104, v205, v161, v104 op_sel_hi:[1,0,1]
	v_pk_fma_f16 v12, v205, v161, v12 op_sel:[0,1,0]
	ds_load_b128 v[174:177], v72 offset:784
	ds_load_2addr_b32 v[210:211], v83 offset0:64 offset1:96
	ds_load_b128 v[178:181], v72 offset:800
	s_waitcnt lgkmcnt(6)
	v_pk_fma_f16 v13, v206, v162, v13 op_sel_hi:[1,0,1]
	v_pk_fma_f16 v40, v206, v162, v40 op_sel:[0,1,0]
	v_pk_fma_f16 v41, v206, v163, v41 op_sel_hi:[1,0,1]
	v_pk_fma_f16 v93, v206, v163, v93 op_sel:[0,1,0]
	v_pk_fma_f16 v94, v206, v164, v94 op_sel_hi:[1,0,1]
	v_pk_fma_f16 v95, v206, v164, v95 op_sel:[0,1,0]
	v_pk_fma_f16 v104, v206, v165, v104 op_sel_hi:[1,0,1]
	v_pk_fma_f16 v12, v206, v165, v12 op_sel:[0,1,0]
	s_waitcnt lgkmcnt(5)
	v_pk_fma_f16 v13, v207, v166, v13 op_sel_hi:[1,0,1]
	v_pk_fma_f16 v40, v207, v166, v40 op_sel:[0,1,0]
	v_pk_fma_f16 v41, v207, v167, v41 op_sel_hi:[1,0,1]
	v_pk_fma_f16 v93, v207, v167, v93 op_sel:[0,1,0]
	v_pk_fma_f16 v94, v207, v168, v94 op_sel_hi:[1,0,1]
	v_pk_fma_f16 v95, v207, v168, v95 op_sel:[0,1,0]
	v_pk_fma_f16 v104, v207, v169, v104 op_sel_hi:[1,0,1]
	v_pk_fma_f16 v12, v207, v169, v12 op_sel:[0,1,0]
	ds_load_b128 v[182:185], v72 offset:816
	ds_load_2addr_b32 v[42:43], v83 offset0:128 offset1:160
	;; [unrolled: 21-line block ×3, first 2 shown]
	ds_load_b128 v[194:197], v72 offset:864
	s_waitcnt lgkmcnt(6)
	v_pk_fma_f16 v13, v210, v178, v13 op_sel_hi:[1,0,1]
	v_pk_fma_f16 v40, v210, v178, v40 op_sel:[0,1,0]
	v_pk_fma_f16 v41, v210, v179, v41 op_sel_hi:[1,0,1]
	v_pk_fma_f16 v93, v210, v179, v93 op_sel:[0,1,0]
	;; [unrolled: 2-line block ×4, first 2 shown]
	s_waitcnt lgkmcnt(5)
	v_pk_fma_f16 v13, v211, v182, v13 op_sel_hi:[1,0,1]
	v_pk_fma_f16 v40, v211, v182, v40 op_sel:[0,1,0]
	v_pk_fma_f16 v41, v211, v183, v41 op_sel_hi:[1,0,1]
	v_pk_fma_f16 v93, v211, v183, v93 op_sel:[0,1,0]
	;; [unrolled: 2-line block ×4, first 2 shown]
	ds_load_b128 v[14:17], v72 offset:880
	ds_load_2addr_b32 v[198:199], v84 offset1:32
	ds_load_b128 v[85:88], v72 offset:896
	s_waitcnt lgkmcnt(6)
	v_pk_fma_f16 v13, v42, v186, v13 op_sel_hi:[1,0,1]
	v_pk_fma_f16 v40, v42, v186, v40 op_sel:[0,1,0]
	v_pk_fma_f16 v41, v42, v187, v41 op_sel_hi:[1,0,1]
	v_pk_fma_f16 v93, v42, v187, v93 op_sel:[0,1,0]
	v_pk_fma_f16 v94, v42, v188, v94 op_sel_hi:[1,0,1]
	v_pk_fma_f16 v95, v42, v188, v95 op_sel:[0,1,0]
	v_pk_fma_f16 v104, v42, v189, v104 op_sel_hi:[1,0,1]
	v_pk_fma_f16 v12, v42, v189, v12 op_sel:[0,1,0]
	s_waitcnt lgkmcnt(5)
	v_pk_fma_f16 v13, v43, v190, v13 op_sel_hi:[1,0,1]
	v_pk_fma_f16 v40, v43, v190, v40 op_sel:[0,1,0]
	v_pk_fma_f16 v41, v43, v191, v41 op_sel_hi:[1,0,1]
	v_pk_fma_f16 v42, v43, v191, v93 op_sel:[0,1,0]
	v_pk_fma_f16 v93, v43, v192, v94 op_sel_hi:[1,0,1]
	v_pk_fma_f16 v94, v43, v192, v95 op_sel:[0,1,0]
	v_pk_fma_f16 v95, v43, v193, v104 op_sel_hi:[1,0,1]
	v_pk_fma_f16 v12, v43, v193, v12 op_sel:[0,1,0]
	ds_load_b128 v[89:92], v72 offset:912
	ds_load_2addr_b32 v[200:201], v84 offset0:64 offset1:96
	ds_load_b128 v[105:108], v72 offset:928
	s_waitcnt lgkmcnt(6)
	v_pk_fma_f16 v13, v212, v194, v13 op_sel_hi:[1,0,1]
	v_pk_fma_f16 v40, v212, v194, v40 op_sel:[0,1,0]
	v_pk_fma_f16 v41, v212, v195, v41 op_sel_hi:[1,0,1]
	v_pk_fma_f16 v42, v212, v195, v42 op_sel:[0,1,0]
	v_pk_fma_f16 v43, v212, v196, v93 op_sel_hi:[1,0,1]
	v_pk_fma_f16 v93, v212, v196, v94 op_sel:[0,1,0]
	v_pk_fma_f16 v94, v212, v197, v95 op_sel_hi:[1,0,1]
	v_pk_fma_f16 v12, v212, v197, v12 op_sel:[0,1,0]
	s_waitcnt lgkmcnt(5)
	v_pk_fma_f16 v13, v213, v14, v13 op_sel_hi:[1,0,1]
	v_pk_fma_f16 v14, v213, v14, v40 op_sel:[0,1,0]
	v_pk_fma_f16 v40, v213, v15, v41 op_sel_hi:[1,0,1]
	v_pk_fma_f16 v15, v213, v15, v42 op_sel:[0,1,0]
	v_pk_fma_f16 v41, v213, v16, v43 op_sel_hi:[1,0,1]
	v_pk_fma_f16 v16, v213, v16, v93 op_sel:[0,1,0]
	v_pk_fma_f16 v42, v213, v17, v94 op_sel_hi:[1,0,1]
	v_pk_fma_f16 v12, v213, v17, v12 op_sel:[0,1,0]
	ds_load_b128 v[18:21], v72 offset:944
	ds_load_2addr_b32 v[214:215], v84 offset0:128 offset1:160
	;; [unrolled: 21-line block ×3, first 2 shown]
	ds_load_b128 v[8:11], v72 offset:992
	ds_load_b128 v[117:120], v72 offset:1008
	s_waitcnt lgkmcnt(7)
	v_pk_fma_f16 v13, v200, v105, v13 op_sel_hi:[1,0,1]
	v_pk_fma_f16 v14, v200, v105, v14 op_sel:[0,1,0]
	v_pk_fma_f16 v17, v200, v106, v17 op_sel_hi:[1,0,1]
	v_pk_fma_f16 v15, v200, v106, v15 op_sel:[0,1,0]
	;; [unrolled: 2-line block ×4, first 2 shown]
	s_waitcnt lgkmcnt(0)
	s_barrier
	buffer_gl0_inv
	s_load_b32 s2, s[54:55], 0x4
	v_pk_fma_f16 v13, v201, v18, v13 op_sel_hi:[1,0,1]
	v_pk_fma_f16 v14, v201, v18, v14 op_sel:[0,1,0]
	v_pk_fma_f16 v17, v201, v19, v17 op_sel_hi:[1,0,1]
	v_pk_fma_f16 v15, v201, v19, v15 op_sel:[0,1,0]
	;; [unrolled: 2-line block ×16, first 2 shown]
	s_waitcnt lgkmcnt(0)
	s_lshl_b32 s2, s2, 6
	v_pk_fma_f16 v88, v23, v117, v13 op_sel_hi:[1,0,1]
	v_pk_fma_f16 v87, v23, v117, v8 op_sel:[0,1,0]
	v_pk_fma_f16 v86, v23, v118, v14 op_sel_hi:[1,0,1]
	v_pk_fma_f16 v85, v23, v118, v9 op_sel:[0,1,0]
	;; [unrolled: 2-line block ×4, first 2 shown]
	s_add_i32 s65, s2, s65
	s_delay_alu instid0(SALU_CYCLE_1)
	s_cmp_ge_i32 s65, s66
	s_cbranch_scc0 .LBB21_9
; %bb.10:
	v_mov_b32_e32 v10, v56
.LBB21_11:
	v_cmp_lt_i32_e32 vcc_lo, v62, v57
	s_cmp_lg_u64 s[52:53], 0
	s_cselect_b32 s2, -1, 0
	s_cmp_eq_u32 s14, 0
	v_cndmask_b32_e32 v8, v10, v62, vcc_lo
	v_cmp_lt_i32_e32 vcc_lo, v61, v57
	v_lshlrev_b32_e32 v26, 1, v54
	s_cselect_b32 s3, -1, 0
	s_delay_alu instid0(SALU_CYCLE_1) | instskip(SKIP_2) | instid1(VALU_DEP_2)
	s_and_b32 s2, s3, s2
	v_cndmask_b32_e32 v17, v10, v61, vcc_lo
	v_cmp_lt_i32_e32 vcc_lo, v60, v57
	v_lshlrev_b32_e32 v17, 2, v17
	v_lshlrev_b32_e32 v8, 2, v8
	v_cndmask_b32_e32 v25, v10, v60, vcc_lo
	v_cmp_lt_i32_e32 vcc_lo, v59, v57
	ds_bpermute_b32 v9, v8, v97
	v_lshlrev_b32_e32 v25, 2, v25
	s_waitcnt lgkmcnt(0)
	v_add_f32_e32 v9, v97, v9
	ds_bpermute_b32 v11, v8, v98
	ds_bpermute_b32 v13, v8, v100
	;; [unrolled: 1-line block ×8, first 2 shown]
	s_waitcnt lgkmcnt(7)
	v_add_f32_e32 v11, v98, v11
	s_waitcnt lgkmcnt(5)
	v_dual_add_f32 v13, v100, v13 :: v_dual_add_f32 v14, v101, v14
	s_waitcnt lgkmcnt(3)
	v_dual_add_f32 v12, v99, v12 :: v_dual_add_f32 v15, v102, v15
	s_waitcnt lgkmcnt(2)
	v_add_f32_e32 v16, v103, v16
	s_waitcnt lgkmcnt(1)
	v_add_f32_e32 v8, v96, v8
	ds_bpermute_b32 v19, v17, v11
	ds_bpermute_b32 v22, v17, v14
	;; [unrolled: 1-line block ×7, first 2 shown]
	s_waitcnt lgkmcnt(7)
	v_add_f32_e32 v9, v9, v18
	s_waitcnt lgkmcnt(5)
	v_dual_add_f32 v11, v11, v19 :: v_dual_add_f32 v14, v14, v22
	s_waitcnt lgkmcnt(3)
	v_dual_add_f32 v12, v12, v20 :: v_dual_add_f32 v13, v13, v21
	s_waitcnt lgkmcnt(1)
	v_add_f32_e32 v16, v16, v24
	s_waitcnt lgkmcnt(0)
	v_add_f32_e32 v8, v8, v17
	ds_bpermute_b32 v21, v25, v14
	ds_bpermute_b32 v17, v25, v9
	;; [unrolled: 1-line block ×3, first 2 shown]
	v_add_f32_e32 v15, v15, v23
	ds_bpermute_b32 v24, v25, v8
	ds_bpermute_b32 v23, v25, v16
	;; [unrolled: 1-line block ×4, first 2 shown]
	s_waitcnt lgkmcnt(6)
	v_add_f32_e32 v14, v14, v21
	ds_bpermute_b32 v22, v25, v15
	v_cndmask_b32_e32 v25, v10, v59, vcc_lo
	s_waitcnt lgkmcnt(5)
	v_dual_add_f32 v9, v9, v17 :: v_dual_add_f32 v12, v12, v19
	s_waitcnt lgkmcnt(3)
	v_add_f32_e32 v16, v16, v23
	v_dual_add_f32 v8, v8, v24 :: v_dual_lshlrev_b32 v25, 2, v25
	v_cmp_lt_i32_e32 vcc_lo, v58, v57
	s_waitcnt lgkmcnt(1)
	v_add_f32_e32 v13, v13, v20
	ds_bpermute_b32 v17, v25, v9
	v_cndmask_b32_e32 v10, v10, v58, vcc_lo
	ds_bpermute_b32 v19, v25, v12
	ds_bpermute_b32 v21, v25, v14
	;; [unrolled: 1-line block ×3, first 2 shown]
	v_add_f32_e32 v11, v11, v18
	ds_bpermute_b32 v20, v25, v13
	ds_bpermute_b32 v23, v25, v16
	v_lshlrev_b32_e32 v10, 2, v10
	s_waitcnt lgkmcnt(6)
	v_add_f32_e32 v15, v15, v22
	s_and_b32 vcc_lo, exec_lo, s2
	s_waitcnt lgkmcnt(4)
	v_dual_add_f32 v9, v9, v17 :: v_dual_add_f32 v12, v12, v19
	s_waitcnt lgkmcnt(3)
	v_add_f32_e32 v14, v14, v21
	ds_bpermute_b32 v18, v25, v11
	ds_bpermute_b32 v22, v25, v15
	;; [unrolled: 1-line block ×4, first 2 shown]
	s_waitcnt lgkmcnt(6)
	v_add_f32_e32 v17, v8, v24
	ds_bpermute_b32 v8, v10, v9
	s_waitcnt lgkmcnt(5)
	v_dual_add_f32 v13, v13, v20 :: v_dual_add_f32 v16, v16, v23
	ds_bpermute_b32 v24, v10, v17
	ds_bpermute_b32 v20, v10, v13
	;; [unrolled: 1-line block ×3, first 2 shown]
	s_waitcnt lgkmcnt(7)
	v_add_f32_e32 v11, v11, v18
	s_waitcnt lgkmcnt(6)
	v_add_f32_e32 v15, v15, v22
	ds_bpermute_b32 v18, v10, v11
	s_waitcnt lgkmcnt(4)
	v_add_f32_e32 v8, v9, v8
	ds_bpermute_b32 v22, v10, v15
	v_add_f32_e32 v10, v12, v19
	v_add_f32_e32 v12, v14, v21
	s_waitcnt lgkmcnt(1)
	v_dual_add_f32 v14, v16, v23 :: v_dual_add_f32 v9, v11, v18
	v_add_f32_e32 v11, v13, v20
	s_waitcnt lgkmcnt(0)
	v_add_f32_e32 v13, v15, v22
	v_add_f32_e32 v15, v17, v24
	s_cbranch_vccz .LBB21_14
; %bb.12:
	s_ashr_i32 s65, s64, 31
	v_dual_mov_b32 v16, 0 :: v_dual_max_f32 v17, v1, v1
	s_lshl_b64 s[2:3], s[64:65], 2
	v_dual_max_f32 v18, v2, v2 :: v_dual_max_f32 v21, v5, v5
	s_add_u32 s2, s52, s2
	s_addc_u32 s3, s53, s3
	v_max_f32_e32 v19, v3, v3
	global_load_b128 v[27:30], v16, s[2:3]
	v_max_f32_e32 v16, v0, v0
	v_max_f32_e32 v20, v4, v4
	s_waitcnt vmcnt(0)
	v_dual_max_f32 v22, v6, v6 :: v_dual_max_f32 v25, v29, v29
	v_dual_max_f32 v23, v27, v27 :: v_dual_max_f32 v24, v28, v28
	;; [unrolled: 1-line block ×3, first 2 shown]
	s_delay_alu instid0(VALU_DEP_3) | instskip(NEXT) | instid1(VALU_DEP_3)
	v_max_f32_e32 v18, v18, v25
	v_dual_max_f32 v16, v16, v23 :: v_dual_max_f32 v21, v21, v24
	v_max_f32_e32 v17, v17, v24
	s_delay_alu instid0(VALU_DEP_4) | instskip(SKIP_2) | instid1(VALU_DEP_4)
	v_max_f32_e32 v19, v19, v31
	v_max_f32_e32 v20, v20, v23
	v_dual_max_f32 v22, v22, v25 :: v_dual_max_f32 v23, v32, v31
	v_dual_sub_f32 v24, v0, v16 :: v_dual_sub_f32 v31, v1, v17
	v_dual_sub_f32 v25, v27, v16 :: v_dual_sub_f32 v32, v28, v17
	v_sub_f32_e32 v33, v2, v18
	v_dual_sub_f32 v34, v29, v18 :: v_dual_sub_f32 v35, v3, v19
	v_dual_sub_f32 v36, v30, v19 :: v_dual_sub_f32 v37, v4, v20
	;; [unrolled: 1-line block ×4, first 2 shown]
	v_dual_sub_f32 v55, v7, v23 :: v_dual_mov_b32 v0, v16
	v_dual_mov_b32 v1, v17 :: v_dual_mov_b32 v2, v18
	v_dual_mov_b32 v3, v19 :: v_dual_mov_b32 v4, v20
	;; [unrolled: 1-line block ×3, first 2 shown]
	v_dual_mov_b32 v7, v23 :: v_dual_mul_f32 v16, 0x3fb8aa3b, v24
	v_dual_sub_f32 v29, v29, v22 :: v_dual_sub_f32 v30, v30, v23
	v_dual_mul_f32 v17, 0x3fb8aa3b, v25 :: v_dual_mul_f32 v18, 0x3fb8aa3b, v31
	s_delay_alu instid0(VALU_DEP_3) | instskip(SKIP_4) | instid1(VALU_DEP_4)
	v_fma_f32 v64, 0x3fb8aa3b, v24, -v16
	v_rndne_f32_e32 v65, v16
	v_dual_mul_f32 v19, 0x3fb8aa3b, v32 :: v_dual_mul_f32 v20, 0x3fb8aa3b, v33
	v_mul_f32_e32 v63, 0x3fb8aa3b, v30
	v_fma_f32 v66, 0x3fb8aa3b, v25, -v17
	v_sub_f32_e32 v16, v16, v65
	v_rndne_f32_e32 v67, v17
	v_fmac_f32_e32 v64, 0x32a5705f, v24
	v_dual_mul_f32 v21, 0x3fb8aa3b, v34 :: v_dual_mul_f32 v22, 0x3fb8aa3b, v35
	v_fma_f32 v68, 0x3fb8aa3b, v31, -v18
	v_rndne_f32_e32 v69, v18
	v_rndne_f32_e32 v71, v19
	v_dual_fmac_f32 v66, 0x32a5705f, v25 :: v_dual_sub_f32 v17, v17, v67
	v_add_f32_e32 v16, v16, v64
	v_fma_f32 v70, 0x3fb8aa3b, v32, -v19
	v_rndne_f32_e32 v75, v21
	v_dual_sub_f32 v18, v18, v69 :: v_dual_sub_f32 v19, v19, v71
	v_dual_fmac_f32 v68, 0x32a5705f, v31 :: v_dual_add_f32 v17, v17, v66
	v_exp_f32_e32 v16, v16
	v_fma_f32 v74, 0x3fb8aa3b, v34, -v21
	v_cvt_i32_f32_e32 v65, v65
	s_delay_alu instid0(VALU_DEP_3)
	v_dual_sub_f32 v21, v21, v75 :: v_dual_add_f32 v18, v18, v68
	v_exp_f32_e32 v17, v17
	v_dual_mul_f32 v23, 0x3fb8aa3b, v36 :: v_dual_mul_f32 v56, 0x3fb8aa3b, v37
	v_dual_mul_f32 v57, 0x3fb8aa3b, v27 :: v_dual_mul_f32 v58, 0x3fb8aa3b, v38
	v_cvt_i32_f32_e32 v67, v67
	v_exp_f32_e32 v18, v18
	s_delay_alu instid0(TRANS32_DEP_3)
	v_ldexp_f32 v16, v16, v65
	v_cmp_ngt_f32_e32 vcc_lo, 0xc2ce8ed0, v24
	v_dual_mul_f32 v59, 0x3fb8aa3b, v28 :: v_dual_mul_f32 v60, 0x3fb8aa3b, v39
	v_fma_f32 v72, 0x3fb8aa3b, v33, -v20
	v_rndne_f32_e32 v73, v20
	v_fma_f32 v76, 0x3fb8aa3b, v35, -v22
	v_rndne_f32_e32 v79, v23
	v_fma_f32 v84, 0x3fb8aa3b, v38, -v58
	v_cvt_i32_f32_e32 v69, v69
	v_fmac_f32_e32 v70, 0x32a5705f, v32
	v_ldexp_f32 v17, v17, v67
	v_cndmask_b32_e32 v16, 0, v16, vcc_lo
	v_cmp_ngt_f32_e32 vcc_lo, 0xc2ce8ed0, v25
	v_dual_mul_f32 v61, 0x3fb8aa3b, v29 :: v_dual_mul_f32 v62, 0x3fb8aa3b, v55
	v_fma_f32 v78, 0x3fb8aa3b, v36, -v23
	v_rndne_f32_e32 v83, v57
	v_rndne_f32_e32 v91, v59
	v_fmac_f32_e32 v72, 0x32a5705f, v33
	v_dual_sub_f32 v20, v20, v73 :: v_dual_sub_f32 v23, v23, v79
	v_dual_fmac_f32 v76, 0x32a5705f, v35 :: v_dual_add_f32 v19, v19, v70
	v_dual_fmac_f32 v84, 0x32a5705f, v38 :: v_dual_cndmask_b32 v17, 0, v17
	v_ldexp_f32 v18, v18, v69
	v_cmp_ngt_f32_e32 vcc_lo, 0xc2ce8ed0, v31
	v_rndne_f32_e32 v77, v22
	v_fma_f32 v82, 0x3fb8aa3b, v27, -v57
	v_fma_f32 v90, 0x3fb8aa3b, v28, -v59
	v_rndne_f32_e32 v95, v61
	v_dual_fmac_f32 v74, 0x32a5705f, v34 :: v_dual_sub_f32 v57, v57, v83
	v_sub_f32_e32 v59, v59, v91
	v_exp_f32_e32 v19, v19
	v_cndmask_b32_e32 v18, 0, v18, vcc_lo
	v_add_f32_e32 v20, v20, v72
	v_fma_f32 v94, 0x3fb8aa3b, v29, -v61
	v_rndne_f32_e32 v99, v63
	v_cvt_i32_f32_e32 v71, v71
	v_dual_sub_f32 v22, v22, v77 :: v_dual_sub_f32 v61, v61, v95
	v_dual_fmac_f32 v78, 0x32a5705f, v36 :: v_dual_add_f32 v21, v21, v74
	v_exp_f32_e32 v20, v20
	v_fma_f32 v80, 0x3fb8aa3b, v37, -v56
	v_rndne_f32_e32 v93, v60
	v_fma_f32 v98, 0x3fb8aa3b, v30, -v63
	v_cvt_i32_f32_e32 v73, v73
	v_dual_sub_f32 v63, v63, v99 :: v_dual_add_f32 v22, v22, v76
	v_exp_f32_e32 v21, v21
	v_ldexp_f32 v19, v19, v71
	v_cmp_ngt_f32_e32 vcc_lo, 0xc2ce8ed0, v32
	v_fma_f32 v92, 0x3fb8aa3b, v39, -v60
	v_cvt_i32_f32_e32 v75, v75
	v_dual_fmac_f32 v80, 0x32a5705f, v37 :: v_dual_add_f32 v23, v23, v78
	v_dual_sub_f32 v60, v60, v93 :: v_dual_cndmask_b32 v19, 0, v19
	v_exp_f32_e32 v22, v22
	v_ldexp_f32 v20, v20, v73
	v_cmp_ngt_f32_e32 vcc_lo, 0xc2ce8ed0, v33
	v_cvt_i32_f32_e32 v77, v77
	v_exp_f32_e32 v23, v23
	v_ldexp_f32 v21, v21, v75
	v_cvt_i32_f32_e32 v79, v79
	v_cndmask_b32_e32 v20, 0, v20, vcc_lo
	v_cmp_ngt_f32_e32 vcc_lo, 0xc2ce8ed0, v34
	v_fmac_f32_e32 v92, 0x32a5705f, v39
	v_ldexp_f32 v22, v22, v77
	v_rndne_f32_e32 v89, v58
	v_cvt_i32_f32_e32 v95, v95
	v_cndmask_b32_e32 v21, 0, v21, vcc_lo
	v_cmp_ngt_f32_e32 vcc_lo, 0xc2ce8ed0, v35
	v_ldexp_f32 v23, v23, v79
	v_rndne_f32_e32 v81, v56
	v_cvt_i32_f32_e32 v83, v83
	v_fma_f32 v96, 0x3fb8aa3b, v55, -v62
	v_cndmask_b32_e32 v22, 0, v22, vcc_lo
	v_cmp_ngt_f32_e32 vcc_lo, 0xc2ce8ed0, v36
	v_fmac_f32_e32 v94, 0x32a5705f, v29
	v_rndne_f32_e32 v97, v62
	v_cvt_i32_f32_e32 v91, v91
	v_dual_add_f32 v60, v60, v92 :: v_dual_cndmask_b32 v23, 0, v23
	s_delay_alu instid0(VALU_DEP_4) | instskip(SKIP_2) | instid1(VALU_DEP_4)
	v_dual_sub_f32 v58, v58, v89 :: v_dual_add_f32 v61, v61, v94
	v_cmp_ngt_f32_e32 vcc_lo, 0xc2ce8ed0, v37
	v_cvt_i32_f32_e32 v89, v89
	v_exp_f32_e32 v60, v60
	s_delay_alu instid0(VALU_DEP_3) | instskip(SKIP_3) | instid1(VALU_DEP_3)
	v_add_f32_e32 v58, v58, v84
	v_exp_f32_e32 v61, v61
	v_cvt_i32_f32_e32 v93, v93
	v_cvt_i32_f32_e32 v99, v99
	v_exp_f32_e32 v58, v58
	s_delay_alu instid0(TRANS32_DEP_3) | instid1(VALU_DEP_2)
	v_ldexp_f32 v60, v60, v93
	s_waitcnt_depctr 0xfff
	v_ldexp_f32 v61, v61, v95
	v_fmac_f32_e32 v98, 0x32a5705f, v30
	v_fmac_f32_e32 v90, 0x32a5705f, v28
	v_ldexp_f32 v58, v58, v89
	s_delay_alu instid0(VALU_DEP_3) | instskip(NEXT) | instid1(VALU_DEP_3)
	v_dual_add_f32 v63, v63, v98 :: v_dual_fmac_f32 v82, 0x32a5705f, v27
	v_dual_add_f32 v59, v59, v90 :: v_dual_sub_f32 v56, v56, v81
	v_cvt_i32_f32_e32 v81, v81
	s_delay_alu instid0(VALU_DEP_3) | instskip(NEXT) | instid1(VALU_DEP_3)
	v_exp_f32_e32 v63, v63
	v_add_f32_e32 v57, v57, v82
	s_delay_alu instid0(VALU_DEP_3) | instskip(SKIP_1) | instid1(VALU_DEP_2)
	v_exp_f32_e32 v59, v59
	v_add_f32_e32 v56, v56, v80
	v_exp_f32_e32 v57, v57
	s_delay_alu instid0(VALU_DEP_1) | instskip(SKIP_1) | instid1(TRANS32_DEP_3)
	v_exp_f32_e32 v56, v56
	v_ldexp_f32 v63, v63, v99
	v_ldexp_f32 v59, v59, v91
	s_waitcnt_depctr 0xfff
	v_ldexp_f32 v57, v57, v83
	v_ldexp_f32 v56, v56, v81
	s_delay_alu instid0(VALU_DEP_1) | instskip(SKIP_1) | instid1(VALU_DEP_4)
	v_cndmask_b32_e32 v56, 0, v56, vcc_lo
	v_cmp_ngt_f32_e32 vcc_lo, 0xc2ce8ed0, v27
	v_dual_fmac_f32 v96, 0x32a5705f, v55 :: v_dual_cndmask_b32 v57, 0, v57
	v_cmp_ngt_f32_e32 vcc_lo, 0xc2ce8ed0, v38
	v_cndmask_b32_e32 v58, 0, v58, vcc_lo
	v_cmp_ngt_f32_e32 vcc_lo, 0xc2ce8ed0, v28
	v_sub_f32_e32 v62, v62, v97
	v_cvt_i32_f32_e32 v97, v97
	s_delay_alu instid0(VALU_DEP_2) | instskip(SKIP_1) | instid1(VALU_DEP_2)
	v_dual_cndmask_b32 v59, 0, v59 :: v_dual_add_f32 v62, v62, v96
	v_cmp_ngt_f32_e32 vcc_lo, 0xc2ce8ed0, v39
	v_exp_f32_e32 v62, v62
	v_cndmask_b32_e32 v60, 0, v60, vcc_lo
	v_cmp_ngt_f32_e32 vcc_lo, 0xc2ce8ed0, v29
	v_cndmask_b32_e32 v61, 0, v61, vcc_lo
	v_cmp_ngt_f32_e32 vcc_lo, 0xc2ce8ed0, v55
	s_waitcnt_depctr 0xfff
	v_ldexp_f32 v62, v62, v97
	s_delay_alu instid0(VALU_DEP_1)
	v_cndmask_b32_e32 v62, 0, v62, vcc_lo
	v_cmp_ngt_f32_e32 vcc_lo, 0xc2ce8ed0, v30
	v_cndmask_b32_e32 v63, 0, v63, vcc_lo
	v_cmp_nlt_f32_e32 vcc_lo, 0x42b17218, v24
	v_cndmask_b32_e32 v24, 0x7f800000, v16, vcc_lo
	v_cmp_nlt_f32_e32 vcc_lo, 0x42b17218, v25
	;; [unrolled: 2-line block ×3, first 2 shown]
	s_delay_alu instid0(VALU_DEP_2) | instskip(SKIP_4) | instid1(VALU_DEP_3)
	v_dual_fmac_f32 v16, v8, v24 :: v_dual_cndmask_b32 v25, 0x7f800000, v18
	v_cmp_nlt_f32_e32 vcc_lo, 0x42b17218, v32
	v_cvt_f16_f32_e32 v8, v24
	v_cndmask_b32_e32 v17, 0x7f800000, v19, vcc_lo
	v_cmp_nlt_f32_e32 vcc_lo, 0x42b17218, v33
	v_pk_mul_f16 v88, v88, v8 op_sel_hi:[1,0]
	s_delay_alu instid0(VALU_DEP_3)
	v_dual_mov_b32 v8, v16 :: v_dual_fmac_f32 v17, v9, v25
	v_cndmask_b32_e32 v31, 0x7f800000, v20, vcc_lo
	v_cmp_nlt_f32_e32 vcc_lo, 0x42b17218, v34
	v_cvt_f16_f32_e32 v9, v25
	v_cndmask_b32_e32 v18, 0x7f800000, v21, vcc_lo
	v_cmp_nlt_f32_e32 vcc_lo, 0x42b17218, v35
	s_delay_alu instid0(VALU_DEP_3) | instskip(SKIP_4) | instid1(VALU_DEP_2)
	v_pk_mul_f16 v87, v87, v9 op_sel_hi:[1,0]
	v_dual_mov_b32 v9, v17 :: v_dual_cndmask_b32 v32, 0x7f800000, v22
	v_cmp_nlt_f32_e32 vcc_lo, 0x42b17218, v36
	v_cndmask_b32_e32 v19, 0x7f800000, v23, vcc_lo
	v_cmp_nlt_f32_e32 vcc_lo, 0x42b17218, v37
	v_fmac_f32_e32 v19, v11, v32
	v_cndmask_b32_e32 v33, 0x7f800000, v56, vcc_lo
	v_cmp_nlt_f32_e32 vcc_lo, 0x42b17218, v27
	v_cvt_f16_f32_e32 v11, v32
	v_cndmask_b32_e32 v20, 0x7f800000, v57, vcc_lo
	v_cmp_nlt_f32_e32 vcc_lo, 0x42b17218, v38
	s_delay_alu instid0(VALU_DEP_3) | instskip(NEXT) | instid1(VALU_DEP_3)
	v_pk_mul_f16 v85, v85, v11 op_sel_hi:[1,0]
	v_dual_mov_b32 v11, v19 :: v_dual_fmac_f32 v20, v12, v33
	v_dual_fmac_f32 v18, v10, v31 :: v_dual_cndmask_b32 v27, 0x7f800000, v58
	v_cmp_nlt_f32_e32 vcc_lo, 0x42b17218, v28
	v_cvt_f16_f32_e32 v10, v31
	v_cvt_f16_f32_e32 v12, v33
	v_cndmask_b32_e32 v21, 0x7f800000, v59, vcc_lo
	v_cmp_nlt_f32_e32 vcc_lo, 0x42b17218, v39
	s_delay_alu instid0(VALU_DEP_4) | instskip(NEXT) | instid1(VALU_DEP_4)
	v_pk_mul_f16 v86, v86, v10 op_sel_hi:[1,0]
	v_pk_mul_f16 v43, v43, v12 op_sel_hi:[1,0]
	s_delay_alu instid0(VALU_DEP_4) | instskip(SKIP_2) | instid1(VALU_DEP_2)
	v_dual_mov_b32 v10, v18 :: v_dual_fmac_f32 v21, v13, v27
	v_cvt_f16_f32_e32 v13, v27
	v_mov_b32_e32 v12, v20
	v_pk_mul_f16 v42, v42, v13 op_sel_hi:[1,0]
	s_delay_alu instid0(VALU_DEP_4) | instskip(SKIP_3) | instid1(VALU_DEP_2)
	v_dual_mov_b32 v13, v21 :: v_dual_cndmask_b32 v28, 0x7f800000, v60
	v_cmp_nlt_f32_e32 vcc_lo, 0x42b17218, v29
	v_cndmask_b32_e32 v22, 0x7f800000, v61, vcc_lo
	v_cmp_nlt_f32_e32 vcc_lo, 0x42b17218, v55
	v_dual_fmac_f32 v22, v14, v28 :: v_dual_cndmask_b32 v29, 0x7f800000, v62
	v_cmp_nlt_f32_e32 vcc_lo, 0x42b17218, v30
	v_cvt_f16_f32_e32 v14, v28
	v_cndmask_b32_e32 v23, 0x7f800000, v63, vcc_lo
	s_delay_alu instid0(VALU_DEP_2) | instskip(NEXT) | instid1(VALU_DEP_2)
	v_pk_mul_f16 v41, v41, v14 op_sel_hi:[1,0]
	v_dual_mov_b32 v14, v22 :: v_dual_fmac_f32 v23, v15, v29
	v_cvt_f16_f32_e32 v15, v29
	s_delay_alu instid0(VALU_DEP_1) | instskip(NEXT) | instid1(VALU_DEP_3)
	v_pk_mul_f16 v40, v40, v15 op_sel_hi:[1,0]
	v_mov_b32_e32 v15, v23
	s_mov_b32 s2, exec_lo
	v_cmpx_gt_i32_e64 s62, v53
	s_cbranch_execnz .LBB21_15
.LBB21_13:
	s_nop 0
	s_sendmsg sendmsg(MSG_DEALLOC_VGPRS)
	s_endpgm
.LBB21_14:
	s_delay_alu instid0(VALU_DEP_1) | instskip(NEXT) | instid1(VALU_DEP_3)
	v_dual_mov_b32 v23, v15 :: v_dual_mov_b32 v22, v14
	v_dual_mov_b32 v21, v13 :: v_dual_mov_b32 v20, v12
	;; [unrolled: 1-line block ×4, first 2 shown]
	s_mov_b32 s2, exec_lo
	v_cmpx_gt_i32_e64 s62, v53
	s_cbranch_execz .LBB21_13
.LBB21_15:
	s_load_b32 s1, s[0:1], 0xd4
	v_mov_b32_e32 v28, 1.0
	s_waitcnt lgkmcnt(0)
	s_cmp_lg_u32 s1, 1
	s_cselect_b32 s4, -1, 0
	s_cmp_eq_u32 s1, 1
	s_cselect_b32 s2, -1, 0
	s_and_b32 vcc_lo, exec_lo, s4
	s_cbranch_vccnz .LBB21_17
; %bb.16:
	v_div_scale_f32 v24, null, v8, v8, 1.0
	s_delay_alu instid0(VALU_DEP_1) | instskip(SKIP_2) | instid1(VALU_DEP_1)
	v_rcp_f32_e32 v25, v24
	s_waitcnt_depctr 0xfff
	v_fma_f32 v27, -v24, v25, 1.0
	v_fmac_f32_e32 v25, v27, v25
	v_div_scale_f32 v27, vcc_lo, 1.0, v8, 1.0
	s_delay_alu instid0(VALU_DEP_1) | instskip(NEXT) | instid1(VALU_DEP_1)
	v_mul_f32_e32 v28, v27, v25
	v_fma_f32 v29, -v24, v28, v27
	s_delay_alu instid0(VALU_DEP_1) | instskip(NEXT) | instid1(VALU_DEP_1)
	v_fmac_f32_e32 v28, v29, v25
	v_fma_f32 v24, -v24, v28, v27
	s_delay_alu instid0(VALU_DEP_1) | instskip(NEXT) | instid1(VALU_DEP_1)
	v_div_fmas_f32 v24, v24, v25, v28
	v_div_fixup_f32 v28, v24, v8, 1.0
.LBB21_17:
	s_mul_i32 s3, s70, s62
	v_mov_b32_e32 v30, 0
	s_add_i32 s3, s3, s51
	v_cmp_eq_u32_e32 vcc_lo, 0, v54
	v_add_nc_u32_e32 v8, s3, v52
	s_and_b32 s5, vcc_lo, s4
	s_delay_alu instid0(VALU_DEP_1) | instskip(NEXT) | instid1(VALU_DEP_1)
	v_mul_lo_u32 v27, v8, s63
	v_add_nc_u32_e32 v8, s64, v27
	s_delay_alu instid0(VALU_DEP_1) | instskip(SKIP_2) | instid1(VALU_DEP_2)
	v_mad_u64_u32 v[24:25], null, s1, v8, s[14:15]
	v_lshrrev_b32_e32 v8, 16, v88
	v_cvt_f32_f16_e32 v25, v88
	v_cvt_f32_f16_e32 v8, v8
	s_delay_alu instid0(VALU_DEP_2) | instskip(SKIP_1) | instid1(VALU_DEP_3)
	v_mul_f32_e32 v31, v28, v25
	v_lshl_add_u32 v29, v24, 6, v26
	v_mul_f32_e32 v32, v28, v8
	s_delay_alu instid0(VALU_DEP_2) | instskip(NEXT) | instid1(VALU_DEP_1)
	v_lshlrev_b64 v[29:30], 2, v[29:30]
	v_add_co_u32 v28, s0, s56, v29
	s_delay_alu instid0(VALU_DEP_1)
	v_add_co_ci_u32_e64 v29, s0, s57, v30, s0
	global_store_b64 v[28:29], v[31:32], off
	s_and_saveexec_b32 s0, s5
	s_cbranch_execz .LBB21_19
; %bb.18:
	v_ashrrev_i32_e32 v25, 31, v24
	v_mov_b32_e32 v28, v0
	v_mov_b32_e32 v29, v16
	s_delay_alu instid0(VALU_DEP_3) | instskip(NEXT) | instid1(VALU_DEP_1)
	v_lshlrev_b64 v[24:25], 3, v[24:25]
	v_add_co_u32 v24, vcc_lo, s58, v24
	s_delay_alu instid0(VALU_DEP_2)
	v_add_co_ci_u32_e32 v25, vcc_lo, s59, v25, vcc_lo
	global_store_b64 v[24:25], v[28:29], off
.LBB21_19:
	s_or_b32 exec_lo, exec_lo, s0
	v_cndmask_b32_e64 v24, 0, 1, s2
	v_mov_b32_e32 v0, 1.0
	s_and_not1_b32 vcc_lo, exec_lo, s2
	s_cbranch_vccnz .LBB21_21
; %bb.20:
	v_div_scale_f32 v0, null, v9, v9, 1.0
	s_delay_alu instid0(VALU_DEP_1) | instskip(SKIP_2) | instid1(VALU_DEP_1)
	v_rcp_f32_e32 v8, v0
	s_waitcnt_depctr 0xfff
	v_fma_f32 v16, -v0, v8, 1.0
	v_fmac_f32_e32 v8, v16, v8
	v_div_scale_f32 v16, vcc_lo, 1.0, v9, 1.0
	s_delay_alu instid0(VALU_DEP_1) | instskip(NEXT) | instid1(VALU_DEP_1)
	v_mul_f32_e32 v25, v16, v8
	v_fma_f32 v28, -v0, v25, v16
	s_delay_alu instid0(VALU_DEP_1) | instskip(NEXT) | instid1(VALU_DEP_1)
	v_fmac_f32_e32 v25, v28, v8
	v_fma_f32 v0, -v0, v25, v16
	s_delay_alu instid0(VALU_DEP_1) | instskip(NEXT) | instid1(VALU_DEP_1)
	v_div_fmas_f32 v0, v0, v8, v25
	v_div_fixup_f32 v0, v0, v9, 1.0
.LBB21_21:
	s_add_i32 s4, s64, 1
	s_delay_alu instid0(SALU_CYCLE_1) | instskip(NEXT) | instid1(VALU_DEP_1)
	v_dual_mov_b32 v29, 0 :: v_dual_add_nc_u32 v16, s4, v27
	v_mad_u64_u32 v[8:9], null, s1, v16, s[14:15]
	v_lshrrev_b32_e32 v9, 16, v87
	v_cvt_f32_f16_e32 v16, v87
	s_delay_alu instid0(VALU_DEP_2) | instskip(NEXT) | instid1(VALU_DEP_4)
	v_cvt_f32_f16_e32 v9, v9
	v_lshl_add_u32 v28, v8, 6, v26
	s_delay_alu instid0(VALU_DEP_3) | instskip(NEXT) | instid1(VALU_DEP_3)
	v_mul_f32_e32 v30, v0, v16
	v_mul_f32_e32 v31, v0, v9
	s_delay_alu instid0(VALU_DEP_3) | instskip(NEXT) | instid1(VALU_DEP_1)
	v_lshlrev_b64 v[28:29], 2, v[28:29]
	v_add_co_u32 v28, vcc_lo, s56, v28
	s_delay_alu instid0(VALU_DEP_2)
	v_add_co_ci_u32_e32 v29, vcc_lo, s57, v29, vcc_lo
	global_store_b64 v[28:29], v[30:31], off
	s_and_saveexec_b32 s0, s5
	s_cbranch_execz .LBB21_23
; %bb.22:
	v_ashrrev_i32_e32 v9, 31, v8
	v_mov_b32_e32 v16, v1
	s_delay_alu instid0(VALU_DEP_2) | instskip(NEXT) | instid1(VALU_DEP_1)
	v_lshlrev_b64 v[8:9], 3, v[8:9]
	v_add_co_u32 v8, vcc_lo, s58, v8
	s_delay_alu instid0(VALU_DEP_2)
	v_add_co_ci_u32_e32 v9, vcc_lo, s59, v9, vcc_lo
	global_store_b64 v[8:9], v[16:17], off
.LBB21_23:
	s_or_b32 exec_lo, exec_lo, s0
	v_cmp_ne_u32_e32 vcc_lo, 1, v24
	v_mov_b32_e32 v8, 1.0
	s_cbranch_vccnz .LBB21_25
; %bb.24:
	v_div_scale_f32 v0, null, v10, v10, 1.0
	s_delay_alu instid0(VALU_DEP_1) | instskip(SKIP_2) | instid1(VALU_DEP_1)
	v_rcp_f32_e32 v1, v0
	s_waitcnt_depctr 0xfff
	v_fma_f32 v8, -v0, v1, 1.0
	v_fmac_f32_e32 v1, v8, v1
	v_div_scale_f32 v8, vcc_lo, 1.0, v10, 1.0
	s_delay_alu instid0(VALU_DEP_1) | instskip(NEXT) | instid1(VALU_DEP_1)
	v_mul_f32_e32 v9, v8, v1
	v_fma_f32 v16, -v0, v9, v8
	s_delay_alu instid0(VALU_DEP_1) | instskip(NEXT) | instid1(VALU_DEP_1)
	v_fmac_f32_e32 v9, v16, v1
	v_fma_f32 v0, -v0, v9, v8
	s_delay_alu instid0(VALU_DEP_1) | instskip(NEXT) | instid1(VALU_DEP_1)
	v_div_fmas_f32 v0, v0, v1, v9
	v_div_fixup_f32 v8, v0, v10, 1.0
.LBB21_25:
	s_add_i32 s2, s64, 2
	v_cvt_f32_f16_e32 v16, v86
	v_dual_mov_b32 v10, 0 :: v_dual_add_nc_u32 v9, s2, v27
	s_delay_alu instid0(VALU_DEP_2) | instskip(NEXT) | instid1(VALU_DEP_2)
	v_mul_f32_e32 v16, v8, v16
	v_mad_u64_u32 v[0:1], null, s1, v9, s[14:15]
	v_lshrrev_b32_e32 v1, 16, v86
	s_delay_alu instid0(VALU_DEP_1) | instskip(NEXT) | instid1(VALU_DEP_3)
	v_cvt_f32_f16_e32 v1, v1
	v_lshl_add_u32 v9, v0, 6, v26
	s_delay_alu instid0(VALU_DEP_2) | instskip(NEXT) | instid1(VALU_DEP_2)
	v_mul_f32_e32 v17, v8, v1
	v_lshlrev_b64 v[9:10], 2, v[9:10]
	s_delay_alu instid0(VALU_DEP_1) | instskip(NEXT) | instid1(VALU_DEP_2)
	v_add_co_u32 v8, vcc_lo, s56, v9
	v_add_co_ci_u32_e32 v9, vcc_lo, s57, v10, vcc_lo
	global_store_b64 v[8:9], v[16:17], off
	s_and_saveexec_b32 s0, s5
	s_cbranch_execz .LBB21_27
; %bb.26:
	v_ashrrev_i32_e32 v1, 31, v0
	v_mov_b32_e32 v17, v2
	s_delay_alu instid0(VALU_DEP_2) | instskip(NEXT) | instid1(VALU_DEP_1)
	v_lshlrev_b64 v[0:1], 3, v[0:1]
	v_add_co_u32 v0, vcc_lo, s58, v0
	s_delay_alu instid0(VALU_DEP_2)
	v_add_co_ci_u32_e32 v1, vcc_lo, s59, v1, vcc_lo
	global_store_b64 v[0:1], v[17:18], off
.LBB21_27:
	s_or_b32 exec_lo, exec_lo, s0
	v_cmp_ne_u32_e32 vcc_lo, 1, v24
	v_mov_b32_e32 v2, 1.0
	s_cbranch_vccnz .LBB21_29
; %bb.28:
	v_div_scale_f32 v0, null, v11, v11, 1.0
	s_delay_alu instid0(VALU_DEP_1) | instskip(SKIP_2) | instid1(VALU_DEP_1)
	v_rcp_f32_e32 v1, v0
	s_waitcnt_depctr 0xfff
	v_fma_f32 v2, -v0, v1, 1.0
	v_fmac_f32_e32 v1, v2, v1
	v_div_scale_f32 v2, vcc_lo, 1.0, v11, 1.0
	s_delay_alu instid0(VALU_DEP_1) | instskip(NEXT) | instid1(VALU_DEP_1)
	v_mul_f32_e32 v8, v2, v1
	v_fma_f32 v9, -v0, v8, v2
	s_delay_alu instid0(VALU_DEP_1) | instskip(NEXT) | instid1(VALU_DEP_1)
	v_fmac_f32_e32 v8, v9, v1
	v_fma_f32 v0, -v0, v8, v2
	s_delay_alu instid0(VALU_DEP_1) | instskip(NEXT) | instid1(VALU_DEP_1)
	v_div_fmas_f32 v0, v0, v1, v8
	v_div_fixup_f32 v2, v0, v11, 1.0
.LBB21_29:
	s_add_i32 s0, s64, 3
	v_cvt_f32_f16_e32 v10, v85
	v_dual_mov_b32 v9, 0 :: v_dual_add_nc_u32 v8, s0, v27
	s_delay_alu instid0(VALU_DEP_1) | instskip(SKIP_1) | instid1(VALU_DEP_1)
	v_mad_u64_u32 v[0:1], null, s1, v8, s[14:15]
	v_lshrrev_b32_e32 v1, 16, v85
	v_cvt_f32_f16_e32 v11, v1
	s_delay_alu instid0(VALU_DEP_3) | instskip(SKIP_1) | instid1(VALU_DEP_3)
	v_lshl_add_u32 v8, v0, 6, v26
	v_mul_f32_e32 v1, v2, v10
	v_mul_f32_e32 v2, v2, v11
	s_delay_alu instid0(VALU_DEP_3) | instskip(NEXT) | instid1(VALU_DEP_1)
	v_lshlrev_b64 v[8:9], 2, v[8:9]
	v_add_co_u32 v8, vcc_lo, s56, v8
	s_delay_alu instid0(VALU_DEP_2)
	v_add_co_ci_u32_e32 v9, vcc_lo, s57, v9, vcc_lo
	global_store_b64 v[8:9], v[1:2], off
	s_and_saveexec_b32 s6, s5
	s_cbranch_execz .LBB21_31
; %bb.30:
	v_ashrrev_i32_e32 v1, 31, v0
	v_mov_b32_e32 v18, v3
	s_delay_alu instid0(VALU_DEP_2) | instskip(NEXT) | instid1(VALU_DEP_1)
	v_lshlrev_b64 v[0:1], 3, v[0:1]
	v_add_co_u32 v0, vcc_lo, s58, v0
	s_delay_alu instid0(VALU_DEP_2)
	v_add_co_ci_u32_e32 v1, vcc_lo, s59, v1, vcc_lo
	global_store_b64 v[0:1], v[18:19], off
.LBB21_31:
	s_or_b32 exec_lo, exec_lo, s6
	v_cmp_gt_i32_e32 vcc_lo, s62, v51
	s_and_b32 exec_lo, exec_lo, vcc_lo
	s_cbranch_execz .LBB21_13
; %bb.32:
	v_cmp_ne_u32_e32 vcc_lo, 1, v24
	v_mov_b32_e32 v2, 1.0
	s_cbranch_vccnz .LBB21_34
; %bb.33:
	v_div_scale_f32 v0, null, v12, v12, 1.0
	s_delay_alu instid0(VALU_DEP_1) | instskip(SKIP_2) | instid1(VALU_DEP_1)
	v_rcp_f32_e32 v1, v0
	s_waitcnt_depctr 0xfff
	v_fma_f32 v2, -v0, v1, 1.0
	v_fmac_f32_e32 v1, v2, v1
	v_div_scale_f32 v2, vcc_lo, 1.0, v12, 1.0
	s_delay_alu instid0(VALU_DEP_1) | instskip(NEXT) | instid1(VALU_DEP_1)
	v_mul_f32_e32 v3, v2, v1
	v_fma_f32 v8, -v0, v3, v2
	s_delay_alu instid0(VALU_DEP_1) | instskip(NEXT) | instid1(VALU_DEP_1)
	v_fmac_f32_e32 v3, v8, v1
	v_fma_f32 v0, -v0, v3, v2
	s_delay_alu instid0(VALU_DEP_1) | instskip(NEXT) | instid1(VALU_DEP_1)
	v_div_fmas_f32 v0, v0, v1, v3
	v_div_fixup_f32 v2, v0, v12, 1.0
.LBB21_34:
	v_add_nc_u32_e32 v0, s3, v50
	v_cvt_f32_f16_e32 v3, v43
	s_delay_alu instid0(VALU_DEP_2) | instskip(SKIP_1) | instid1(VALU_DEP_2)
	v_mad_u64_u32 v[8:9], null, v0, s63, s[64:65]
	v_mov_b32_e32 v9, 0
	v_mad_u64_u32 v[0:1], null, s1, v8, s[14:15]
	v_lshrrev_b32_e32 v1, 16, v43
	s_delay_alu instid0(VALU_DEP_1) | instskip(NEXT) | instid1(VALU_DEP_3)
	v_cvt_f32_f16_e32 v10, v1
	v_lshl_add_u32 v8, v0, 6, v26
	v_mul_f32_e32 v1, v2, v3
	s_delay_alu instid0(VALU_DEP_3) | instskip(NEXT) | instid1(VALU_DEP_3)
	v_mul_f32_e32 v2, v2, v10
	v_lshlrev_b64 v[8:9], 2, v[8:9]
	s_delay_alu instid0(VALU_DEP_1) | instskip(NEXT) | instid1(VALU_DEP_2)
	v_add_co_u32 v8, vcc_lo, s56, v8
	v_add_co_ci_u32_e32 v9, vcc_lo, s57, v9, vcc_lo
	global_store_b64 v[8:9], v[1:2], off
	s_and_saveexec_b32 s6, s5
	s_cbranch_execz .LBB21_36
; %bb.35:
	v_ashrrev_i32_e32 v1, 31, v0
	v_mov_b32_e32 v19, v4
	s_delay_alu instid0(VALU_DEP_2) | instskip(NEXT) | instid1(VALU_DEP_1)
	v_lshlrev_b64 v[0:1], 3, v[0:1]
	v_add_co_u32 v0, vcc_lo, s58, v0
	s_delay_alu instid0(VALU_DEP_2)
	v_add_co_ci_u32_e32 v1, vcc_lo, s59, v1, vcc_lo
	global_store_b64 v[0:1], v[19:20], off
.LBB21_36:
	s_or_b32 exec_lo, exec_lo, s6
	v_cmp_gt_i32_e32 vcc_lo, s62, v48
	s_and_b32 exec_lo, exec_lo, vcc_lo
	s_cbranch_execz .LBB21_13
; %bb.37:
	v_cmp_ne_u32_e32 vcc_lo, 1, v24
	v_mov_b32_e32 v2, 1.0
	s_cbranch_vccnz .LBB21_39
; %bb.38:
	v_div_scale_f32 v0, null, v13, v13, 1.0
	s_delay_alu instid0(VALU_DEP_1) | instskip(SKIP_2) | instid1(VALU_DEP_1)
	v_rcp_f32_e32 v1, v0
	s_waitcnt_depctr 0xfff
	v_fma_f32 v2, -v0, v1, 1.0
	v_fmac_f32_e32 v1, v2, v1
	v_div_scale_f32 v2, vcc_lo, 1.0, v13, 1.0
	s_delay_alu instid0(VALU_DEP_1) | instskip(NEXT) | instid1(VALU_DEP_1)
	v_mul_f32_e32 v3, v2, v1
	v_fma_f32 v4, -v0, v3, v2
	s_delay_alu instid0(VALU_DEP_1) | instskip(NEXT) | instid1(VALU_DEP_1)
	v_fmac_f32_e32 v3, v4, v1
	v_fma_f32 v0, -v0, v3, v2
	s_delay_alu instid0(VALU_DEP_1) | instskip(NEXT) | instid1(VALU_DEP_1)
	v_div_fmas_f32 v0, v0, v1, v3
	v_div_fixup_f32 v2, v0, v13, 1.0
.LBB21_39:
	v_cvt_f32_f16_e32 v8, v42
	v_add_nc_u32_e32 v0, s3, v46
	s_delay_alu instid0(VALU_DEP_1) | instskip(SKIP_1) | instid1(VALU_DEP_2)
	v_mad_u64_u32 v[3:4], null, v0, s63, s[4:5]
	v_mov_b32_e32 v4, 0
	v_mad_u64_u32 v[0:1], null, s1, v3, s[14:15]
	v_lshrrev_b32_e32 v1, 16, v42
	s_delay_alu instid0(VALU_DEP_1) | instskip(SKIP_1) | instid1(VALU_DEP_4)
	v_cvt_f32_f16_e32 v9, v1
	v_mul_f32_e32 v1, v2, v8
	v_lshl_add_u32 v3, v0, 6, v26
	s_delay_alu instid0(VALU_DEP_3) | instskip(NEXT) | instid1(VALU_DEP_2)
	v_mul_f32_e32 v2, v2, v9
	v_lshlrev_b64 v[3:4], 2, v[3:4]
	s_delay_alu instid0(VALU_DEP_1) | instskip(NEXT) | instid1(VALU_DEP_2)
	v_add_co_u32 v3, vcc_lo, s56, v3
	v_add_co_ci_u32_e32 v4, vcc_lo, s57, v4, vcc_lo
	global_store_b64 v[3:4], v[1:2], off
	s_and_saveexec_b32 s4, s5
	s_cbranch_execz .LBB21_41
; %bb.40:
	v_ashrrev_i32_e32 v1, 31, v0
	v_mov_b32_e32 v20, v5
	s_delay_alu instid0(VALU_DEP_2) | instskip(NEXT) | instid1(VALU_DEP_1)
	v_lshlrev_b64 v[0:1], 3, v[0:1]
	v_add_co_u32 v0, vcc_lo, s58, v0
	s_delay_alu instid0(VALU_DEP_2)
	v_add_co_ci_u32_e32 v1, vcc_lo, s59, v1, vcc_lo
	global_store_b64 v[0:1], v[20:21], off
.LBB21_41:
	s_or_b32 exec_lo, exec_lo, s4
	v_cmp_gt_i32_e32 vcc_lo, s62, v49
	s_and_b32 exec_lo, exec_lo, vcc_lo
	s_cbranch_execz .LBB21_13
; %bb.42:
	v_cmp_ne_u32_e32 vcc_lo, 1, v24
	v_mov_b32_e32 v2, 1.0
	s_cbranch_vccnz .LBB21_44
; %bb.43:
	v_div_scale_f32 v0, null, v14, v14, 1.0
	s_delay_alu instid0(VALU_DEP_1) | instskip(SKIP_2) | instid1(VALU_DEP_1)
	v_rcp_f32_e32 v1, v0
	s_waitcnt_depctr 0xfff
	v_fma_f32 v2, -v0, v1, 1.0
	v_fmac_f32_e32 v1, v2, v1
	v_div_scale_f32 v2, vcc_lo, 1.0, v14, 1.0
	s_delay_alu instid0(VALU_DEP_1) | instskip(NEXT) | instid1(VALU_DEP_1)
	v_mul_f32_e32 v3, v2, v1
	v_fma_f32 v4, -v0, v3, v2
	s_delay_alu instid0(VALU_DEP_1) | instskip(NEXT) | instid1(VALU_DEP_1)
	v_fmac_f32_e32 v3, v4, v1
	v_fma_f32 v0, -v0, v3, v2
	s_delay_alu instid0(VALU_DEP_1) | instskip(NEXT) | instid1(VALU_DEP_1)
	v_div_fmas_f32 v0, v0, v1, v3
	v_div_fixup_f32 v2, v0, v14, 1.0
.LBB21_44:
	v_cvt_f32_f16_e32 v5, v41
	v_add_nc_u32_e32 v0, s3, v47
	s_delay_alu instid0(VALU_DEP_1) | instskip(SKIP_1) | instid1(VALU_DEP_2)
	v_mad_u64_u32 v[3:4], null, v0, s63, s[2:3]
	v_mov_b32_e32 v4, 0
	v_mad_u64_u32 v[0:1], null, s1, v3, s[14:15]
	v_lshrrev_b32_e32 v1, 16, v41
	s_delay_alu instid0(VALU_DEP_1) | instskip(SKIP_1) | instid1(VALU_DEP_4)
	v_cvt_f32_f16_e32 v8, v1
	v_mul_f32_e32 v1, v2, v5
	v_lshl_add_u32 v3, v0, 6, v26
	s_delay_alu instid0(VALU_DEP_3) | instskip(NEXT) | instid1(VALU_DEP_2)
	;; [unrolled: 56-line block ×3, first 2 shown]
	v_mul_f32_e32 v2, v2, v6
	v_lshlrev_b64 v[3:4], 2, v[3:4]
	s_delay_alu instid0(VALU_DEP_1) | instskip(NEXT) | instid1(VALU_DEP_2)
	v_add_co_u32 v3, vcc_lo, s56, v3
	v_add_co_ci_u32_e32 v4, vcc_lo, s57, v4, vcc_lo
	global_store_b64 v[3:4], v[1:2], off
	s_and_b32 exec_lo, exec_lo, s5
	s_cbranch_execz .LBB21_13
; %bb.50:
	v_ashrrev_i32_e32 v1, 31, v0
	v_mov_b32_e32 v22, v7
	s_delay_alu instid0(VALU_DEP_2) | instskip(NEXT) | instid1(VALU_DEP_1)
	v_lshlrev_b64 v[0:1], 3, v[0:1]
	v_add_co_u32 v0, vcc_lo, s58, v0
	s_delay_alu instid0(VALU_DEP_2)
	v_add_co_ci_u32_e32 v1, vcc_lo, s59, v1, vcc_lo
	global_store_b64 v[0:1], v[22:23], off
	s_nop 0
	s_sendmsg sendmsg(MSG_DEALLOC_VGPRS)
	s_endpgm
	.section	.rodata,"a",@progbits
	.p2align	6, 0x0
	.amdhsa_kernel _ZL15flash_attn_tileILi64ELi64ELi8ELi4ELb0EEvPKcS1_S1_S1_S1_PKiPfP15HIP_vector_typeIfLj2EEffffjfiS5_IjLj3EEiiiiiiiiiiiliiliiiiil
		.amdhsa_group_segment_fixed_size 17408
		.amdhsa_private_segment_fixed_size 0
		.amdhsa_kernarg_size 464
		.amdhsa_user_sgpr_count 13
		.amdhsa_user_sgpr_dispatch_ptr 0
		.amdhsa_user_sgpr_queue_ptr 0
		.amdhsa_user_sgpr_kernarg_segment_ptr 1
		.amdhsa_user_sgpr_dispatch_id 0
		.amdhsa_user_sgpr_private_segment_size 0
		.amdhsa_wavefront_size32 1
		.amdhsa_uses_dynamic_stack 0
		.amdhsa_enable_private_segment 0
		.amdhsa_system_sgpr_workgroup_id_x 1
		.amdhsa_system_sgpr_workgroup_id_y 1
		.amdhsa_system_sgpr_workgroup_id_z 1
		.amdhsa_system_sgpr_workgroup_info 0
		.amdhsa_system_vgpr_workitem_id 1
		.amdhsa_next_free_vgpr 220
		.amdhsa_next_free_sgpr 75
		.amdhsa_reserve_vcc 1
		.amdhsa_float_round_mode_32 0
		.amdhsa_float_round_mode_16_64 0
		.amdhsa_float_denorm_mode_32 3
		.amdhsa_float_denorm_mode_16_64 3
		.amdhsa_dx10_clamp 1
		.amdhsa_ieee_mode 1
		.amdhsa_fp16_overflow 0
		.amdhsa_workgroup_processor_mode 1
		.amdhsa_memory_ordered 1
		.amdhsa_forward_progress 0
		.amdhsa_shared_vgpr_count 0
		.amdhsa_exception_fp_ieee_invalid_op 0
		.amdhsa_exception_fp_denorm_src 0
		.amdhsa_exception_fp_ieee_div_zero 0
		.amdhsa_exception_fp_ieee_overflow 0
		.amdhsa_exception_fp_ieee_underflow 0
		.amdhsa_exception_fp_ieee_inexact 0
		.amdhsa_exception_int_div_zero 0
	.end_amdhsa_kernel
	.section	.text._ZL15flash_attn_tileILi64ELi64ELi8ELi4ELb0EEvPKcS1_S1_S1_S1_PKiPfP15HIP_vector_typeIfLj2EEffffjfiS5_IjLj3EEiiiiiiiiiiiliiliiiiil,"axG",@progbits,_ZL15flash_attn_tileILi64ELi64ELi8ELi4ELb0EEvPKcS1_S1_S1_S1_PKiPfP15HIP_vector_typeIfLj2EEffffjfiS5_IjLj3EEiiiiiiiiiiiliiliiiiil,comdat
.Lfunc_end21:
	.size	_ZL15flash_attn_tileILi64ELi64ELi8ELi4ELb0EEvPKcS1_S1_S1_S1_PKiPfP15HIP_vector_typeIfLj2EEffffjfiS5_IjLj3EEiiiiiiiiiiiliiliiiiil, .Lfunc_end21-_ZL15flash_attn_tileILi64ELi64ELi8ELi4ELb0EEvPKcS1_S1_S1_S1_PKiPfP15HIP_vector_typeIfLj2EEffffjfiS5_IjLj3EEiiiiiiiiiiiliiliiiiil
                                        ; -- End function
	.section	.AMDGPU.csdata,"",@progbits
; Kernel info:
; codeLenInByte = 28440
; NumSgprs: 77
; NumVgprs: 220
; ScratchSize: 0
; MemoryBound: 0
; FloatMode: 240
; IeeeMode: 1
; LDSByteSize: 17408 bytes/workgroup (compile time only)
; SGPRBlocks: 9
; VGPRBlocks: 27
; NumSGPRsForWavesPerEU: 77
; NumVGPRsForWavesPerEU: 220
; Occupancy: 6
; WaveLimiterHint : 1
; COMPUTE_PGM_RSRC2:SCRATCH_EN: 0
; COMPUTE_PGM_RSRC2:USER_SGPR: 13
; COMPUTE_PGM_RSRC2:TRAP_HANDLER: 0
; COMPUTE_PGM_RSRC2:TGID_X_EN: 1
; COMPUTE_PGM_RSRC2:TGID_Y_EN: 1
; COMPUTE_PGM_RSRC2:TGID_Z_EN: 1
; COMPUTE_PGM_RSRC2:TIDIG_COMP_CNT: 1
	.section	.text._ZL33flash_attn_stream_k_fixup_uniformILi64ELi8ELi4EEvPfPK15HIP_vector_typeIfLj2EEiiiiiiS1_IjLj3EES5_S5_,"axG",@progbits,_ZL33flash_attn_stream_k_fixup_uniformILi64ELi8ELi4EEvPfPK15HIP_vector_typeIfLj2EEiiiiiiS1_IjLj3EES5_S5_,comdat
	.globl	_ZL33flash_attn_stream_k_fixup_uniformILi64ELi8ELi4EEvPfPK15HIP_vector_typeIfLj2EEiiiiiiS1_IjLj3EES5_S5_ ; -- Begin function _ZL33flash_attn_stream_k_fixup_uniformILi64ELi8ELi4EEvPfPK15HIP_vector_typeIfLj2EEiiiiiiS1_IjLj3EES5_S5_
	.p2align	8
	.type	_ZL33flash_attn_stream_k_fixup_uniformILi64ELi8ELi4EEvPfPK15HIP_vector_typeIfLj2EEiiiiiiS1_IjLj3EES5_S5_,@function
_ZL33flash_attn_stream_k_fixup_uniformILi64ELi8ELi4EEvPfPK15HIP_vector_typeIfLj2EEiiiiiiS1_IjLj3EES5_S5_: ; @_ZL33flash_attn_stream_k_fixup_uniformILi64ELi8ELi4EEvPfPK15HIP_vector_typeIfLj2EEiiiiiiS1_IjLj3EES5_S5_
; %bb.0:
	s_clause 0x1
	s_load_b256 s[4:11], s[0:1], 0x1c
	s_load_b128 s[16:19], s[0:1], 0x3c
	s_waitcnt lgkmcnt(0)
	s_mul_hi_u32 s2, s7, s13
	s_delay_alu instid0(SALU_CYCLE_1) | instskip(NEXT) | instid1(SALU_CYCLE_1)
	s_add_i32 s2, s13, s2
	s_lshr_b32 s2, s2, s8
	s_delay_alu instid0(SALU_CYCLE_1) | instskip(SKIP_2) | instid1(SALU_CYCLE_1)
	s_mul_i32 s3, s2, s9
	s_load_b64 s[8:9], s[0:1], 0x10
	s_sub_i32 s7, s13, s3
	s_mul_hi_u32 s3, s7, s10
	s_delay_alu instid0(SALU_CYCLE_1) | instskip(NEXT) | instid1(SALU_CYCLE_1)
	s_add_i32 s3, s7, s3
	s_lshr_b32 s3, s3, s11
	s_delay_alu instid0(SALU_CYCLE_1) | instskip(NEXT) | instid1(SALU_CYCLE_1)
	s_mul_i32 s10, s3, s16
	s_sub_i32 s7, s7, s10
	s_delay_alu instid0(SALU_CYCLE_1) | instskip(NEXT) | instid1(SALU_CYCLE_1)
	s_mul_hi_u32 s10, s7, s17
	s_add_i32 s10, s7, s10
	s_delay_alu instid0(SALU_CYCLE_1) | instskip(NEXT) | instid1(SALU_CYCLE_1)
	s_lshr_b32 s10, s10, s18
	s_mul_i32 s11, s10, s19
	s_lshl_b32 s10, s10, 2
	s_sub_i32 s7, s7, s11
	s_delay_alu instid0(SALU_CYCLE_1) | instskip(NEXT) | instid1(SALU_CYCLE_1)
	s_lshl_b32 s11, s7, 3
	s_add_i32 s11, s11, s14
	s_waitcnt lgkmcnt(0)
	s_cmp_lt_i32 s11, s8
	s_cselect_b32 s11, -1, 0
	s_add_i32 s12, s10, s15
	s_delay_alu instid0(SALU_CYCLE_1) | instskip(SKIP_1) | instid1(SALU_CYCLE_1)
	s_cmp_lt_i32 s12, s5
	s_cselect_b32 s12, -1, 0
	s_and_b32 s11, s11, s12
	s_delay_alu instid0(SALU_CYCLE_1)
	s_and_not1_b32 vcc_lo, exec_lo, s11
	s_cbranch_vccnz .LBB22_6
; %bb.1:
	s_mul_i32 s2, s2, s8
	s_mul_i32 s5, s3, s5
	s_add_i32 s2, s2, s14
	s_mul_i32 s7, s9, s7
	s_mul_i32 s2, s2, s9
	s_lshl_b32 s7, s7, 9
	s_add_i32 s8, s2, s15
	s_load_b128 s[0:3], s[0:1], 0x0
	s_add_i32 s5, s8, s5
	s_lshl_b32 s9, s14, 2
	s_add_i32 s5, s5, s10
	s_delay_alu instid0(SALU_CYCLE_1) | instskip(NEXT) | instid1(SALU_CYCLE_1)
	s_lshl_b32 s5, s5, 6
	s_add_i32 s7, s7, s5
	s_mul_i32 s5, s13, s6
	v_or_b32_e32 v1, s7, v0
	s_add_i32 s10, s5, s6
	s_delay_alu instid0(VALU_DEP_1) | instskip(NEXT) | instid1(VALU_DEP_1)
	v_ashrrev_i32_e32 v2, 31, v1
	v_lshlrev_b64 v[1:2], 2, v[1:2]
	s_waitcnt lgkmcnt(0)
	s_delay_alu instid0(VALU_DEP_1) | instskip(NEXT) | instid1(VALU_DEP_2)
	v_add_co_u32 v1, vcc_lo, s0, v1
	v_add_co_ci_u32_e32 v2, vcc_lo, s1, v2, vcc_lo
	s_add_i32 s0, s9, s15
	s_lshl_b32 s1, s10, 5
	s_delay_alu instid0(SALU_CYCLE_1) | instskip(SKIP_2) | instid1(SALU_CYCLE_1)
	s_add_i32 s0, s0, s1
	global_load_b32 v5, v[1:2], off
	s_sub_i32 s0, s0, 32
	s_ashr_i32 s1, s0, 31
	s_delay_alu instid0(SALU_CYCLE_1) | instskip(NEXT) | instid1(SALU_CYCLE_1)
	s_lshl_b64 s[0:1], s[0:1], 3
	s_add_u32 s0, s2, s0
	s_addc_u32 s1, s3, s1
	s_add_i32 s7, s10, -2
	s_load_b32 s11, s[0:1], 0x4
	s_cmp_lt_i32 s7, s5
	s_cbranch_scc1 .LBB22_4
; %bb.2:
	s_lshl_b32 s16, s4, 7
	s_load_b32 s12, s[0:1], 0x0
	s_ashr_i32 s17, s16, 31
	s_delay_alu instid0(SALU_CYCLE_1) | instskip(NEXT) | instid1(SALU_CYCLE_1)
	s_lshl_b64 s[0:1], s[16:17], 2
	s_add_u32 s7, s2, s0
	s_addc_u32 s8, s3, s1
	s_add_i32 s13, s13, 1
	s_lshl_b32 s0, s14, 8
	s_lshl_b32 s1, s15, 6
	s_mul_i32 s6, s6, s13
	s_add_i32 s0, s1, s0
	s_lshl_b32 s1, s6, 11
	s_delay_alu instid0(SALU_CYCLE_1)
	s_add_i32 s0, s0, s1
	s_lshl_b32 s1, s6, 5
	v_or_b32_e32 v0, s0, v0
	s_lshl_b32 s0, s4, 5
	s_add_i32 s1, s15, s1
	s_waitcnt lgkmcnt(0)
	v_mov_b32_e32 v6, s11
	s_add_i32 s0, s1, s0
	v_dual_mov_b32 v0, s12 :: v_dual_add_nc_u32 v3, 0xfffff000, v0
	s_add_i32 s0, s0, s9
	s_add_i32 s4, s10, -1
	s_sub_i32 s0, s0, 64
.LBB22_3:                               ; =>This Inner Loop Header: Depth=1
	s_delay_alu instid0(VALU_DEP_1) | instskip(SKIP_1) | instid1(SALU_CYCLE_1)
	v_ashrrev_i32_e32 v4, 31, v3
	s_ashr_i32 s1, s0, 31
	s_lshl_b64 s[10:11], s[0:1], 3
	s_delay_alu instid0(SALU_CYCLE_1) | instskip(NEXT) | instid1(VALU_DEP_1)
	s_add_u32 s10, s2, s10
	v_lshlrev_b64 v[7:8], 2, v[3:4]
	s_addc_u32 s11, s3, s11
	s_add_i32 s4, s4, -1
	s_sub_i32 s0, s0, 32
	s_cmp_le_i32 s4, s5
	s_load_b64 s[10:11], s[10:11], 0x0
	v_add_co_u32 v7, vcc_lo, s7, v7
	v_add_co_ci_u32_e32 v8, vcc_lo, s8, v8, vcc_lo
	global_load_b32 v4, v[7:8], off
	v_max_f32_e32 v7, v0, v0
	s_waitcnt lgkmcnt(0)
	v_max_f32_e64 v8, s10, s10
	s_delay_alu instid0(VALU_DEP_1) | instskip(NEXT) | instid1(VALU_DEP_1)
	v_max_f32_e32 v7, v7, v8
	v_sub_f32_e32 v8, s10, v7
	s_delay_alu instid0(VALU_DEP_1) | instskip(NEXT) | instid1(VALU_DEP_1)
	v_dual_sub_f32 v0, v0, v7 :: v_dual_mul_f32 v9, 0x3fb8aa3b, v8
	v_fma_f32 v10, 0x3fb8aa3b, v8, -v9
	v_rndne_f32_e32 v11, v9
	s_delay_alu instid0(VALU_DEP_3) | instskip(NEXT) | instid1(VALU_DEP_2)
	v_mul_f32_e32 v12, 0x3fb8aa3b, v0
	v_dual_fmac_f32 v10, 0x32a5705f, v8 :: v_dual_sub_f32 v9, v9, v11
	v_cvt_i32_f32_e32 v11, v11
	s_delay_alu instid0(VALU_DEP_3) | instskip(SKIP_1) | instid1(VALU_DEP_4)
	v_fma_f32 v13, 0x3fb8aa3b, v0, -v12
	v_rndne_f32_e32 v14, v12
	v_add_f32_e32 v9, v9, v10
	v_cmp_ngt_f32_e32 vcc_lo, 0xc2ce8ed0, v8
	s_delay_alu instid0(VALU_DEP_3) | instskip(NEXT) | instid1(VALU_DEP_3)
	v_sub_f32_e32 v10, v12, v14
	v_exp_f32_e32 v9, v9
	s_waitcnt_depctr 0xfff
	v_ldexp_f32 v9, v9, v11
	v_cvt_i32_f32_e32 v11, v14
	s_delay_alu instid0(VALU_DEP_2) | instskip(SKIP_1) | instid1(VALU_DEP_2)
	v_cndmask_b32_e32 v9, 0, v9, vcc_lo
	v_cmp_nlt_f32_e32 vcc_lo, 0x42b17218, v8
	v_cndmask_b32_e32 v9, 0x7f800000, v9, vcc_lo
	v_cmp_ngt_f32_e32 vcc_lo, 0xc2ce8ed0, v0
	v_fmac_f32_e32 v13, 0x32a5705f, v0
	s_delay_alu instid0(VALU_DEP_1) | instskip(NEXT) | instid1(VALU_DEP_1)
	v_add_f32_e32 v10, v10, v13
	v_exp_f32_e32 v10, v10
	s_waitcnt_depctr 0xfff
	v_ldexp_f32 v10, v10, v11
	s_delay_alu instid0(VALU_DEP_1)
	v_dual_mov_b32 v11, v6 :: v_dual_cndmask_b32 v10, 0, v10
	v_cmp_le_f32_e32 vcc_lo, 0xc1a00000, v8
	s_waitcnt vmcnt(1)
	v_dual_cndmask_b32 v8, 0, v9 :: v_dual_mov_b32 v9, v5
	v_cmp_nlt_f32_e32 vcc_lo, 0x42b17218, v0
	v_cndmask_b32_e32 v5, 0x7f800000, v10, vcc_lo
	s_delay_alu instid0(VALU_DEP_3) | instskip(SKIP_2) | instid1(VALU_DEP_3)
	v_mul_f32_e32 v10, s11, v8
	v_cmp_le_f32_e32 vcc_lo, 0xc1a00000, v0
	v_mov_b32_e32 v0, v7
	v_mov_b32_e32 v6, v10
	s_waitcnt vmcnt(0)
	v_dual_cndmask_b32 v12, 0, v5 :: v_dual_mul_f32 v5, v4, v8
	s_delay_alu instid0(VALU_DEP_1) | instskip(NEXT) | instid1(VALU_DEP_2)
	v_dual_fmac_f32 v6, v11, v12 :: v_dual_add_nc_u32 v3, 0xfffff800, v3
	v_fmac_f32_e32 v5, v9, v12
	s_cbranch_scc0 .LBB22_3
	s_branch .LBB22_5
.LBB22_4:
	s_waitcnt lgkmcnt(0)
	v_mov_b32_e32 v6, s11
.LBB22_5:
	s_waitcnt vmcnt(0)
	s_delay_alu instid0(VALU_DEP_1) | instskip(NEXT) | instid1(VALU_DEP_1)
	v_div_scale_f32 v0, null, v6, v6, v5
	v_rcp_f32_e32 v3, v0
	s_waitcnt_depctr 0xfff
	v_fma_f32 v4, -v0, v3, 1.0
	s_delay_alu instid0(VALU_DEP_1) | instskip(SKIP_1) | instid1(VALU_DEP_1)
	v_fmac_f32_e32 v3, v4, v3
	v_div_scale_f32 v4, vcc_lo, v5, v6, v5
	v_mul_f32_e32 v7, v4, v3
	s_delay_alu instid0(VALU_DEP_1) | instskip(NEXT) | instid1(VALU_DEP_1)
	v_fma_f32 v8, -v0, v7, v4
	v_fmac_f32_e32 v7, v8, v3
	s_delay_alu instid0(VALU_DEP_1) | instskip(NEXT) | instid1(VALU_DEP_1)
	v_fma_f32 v0, -v0, v7, v4
	v_div_fmas_f32 v0, v0, v3, v7
	s_delay_alu instid0(VALU_DEP_1)
	v_div_fixup_f32 v0, v0, v6, v5
	global_store_b32 v[1:2], v0, off
.LBB22_6:
	s_nop 0
	s_sendmsg sendmsg(MSG_DEALLOC_VGPRS)
	s_endpgm
	.section	.rodata,"a",@progbits
	.p2align	6, 0x0
	.amdhsa_kernel _ZL33flash_attn_stream_k_fixup_uniformILi64ELi8ELi4EEvPfPK15HIP_vector_typeIfLj2EEiiiiiiS1_IjLj3EES5_S5_
		.amdhsa_group_segment_fixed_size 0
		.amdhsa_private_segment_fixed_size 0
		.amdhsa_kernarg_size 76
		.amdhsa_user_sgpr_count 13
		.amdhsa_user_sgpr_dispatch_ptr 0
		.amdhsa_user_sgpr_queue_ptr 0
		.amdhsa_user_sgpr_kernarg_segment_ptr 1
		.amdhsa_user_sgpr_dispatch_id 0
		.amdhsa_user_sgpr_private_segment_size 0
		.amdhsa_wavefront_size32 1
		.amdhsa_uses_dynamic_stack 0
		.amdhsa_enable_private_segment 0
		.amdhsa_system_sgpr_workgroup_id_x 1
		.amdhsa_system_sgpr_workgroup_id_y 1
		.amdhsa_system_sgpr_workgroup_id_z 1
		.amdhsa_system_sgpr_workgroup_info 0
		.amdhsa_system_vgpr_workitem_id 0
		.amdhsa_next_free_vgpr 15
		.amdhsa_next_free_sgpr 20
		.amdhsa_reserve_vcc 1
		.amdhsa_float_round_mode_32 0
		.amdhsa_float_round_mode_16_64 0
		.amdhsa_float_denorm_mode_32 3
		.amdhsa_float_denorm_mode_16_64 3
		.amdhsa_dx10_clamp 1
		.amdhsa_ieee_mode 1
		.amdhsa_fp16_overflow 0
		.amdhsa_workgroup_processor_mode 1
		.amdhsa_memory_ordered 1
		.amdhsa_forward_progress 0
		.amdhsa_shared_vgpr_count 0
		.amdhsa_exception_fp_ieee_invalid_op 0
		.amdhsa_exception_fp_denorm_src 0
		.amdhsa_exception_fp_ieee_div_zero 0
		.amdhsa_exception_fp_ieee_overflow 0
		.amdhsa_exception_fp_ieee_underflow 0
		.amdhsa_exception_fp_ieee_inexact 0
		.amdhsa_exception_int_div_zero 0
	.end_amdhsa_kernel
	.section	.text._ZL33flash_attn_stream_k_fixup_uniformILi64ELi8ELi4EEvPfPK15HIP_vector_typeIfLj2EEiiiiiiS1_IjLj3EES5_S5_,"axG",@progbits,_ZL33flash_attn_stream_k_fixup_uniformILi64ELi8ELi4EEvPfPK15HIP_vector_typeIfLj2EEiiiiiiS1_IjLj3EES5_S5_,comdat
.Lfunc_end22:
	.size	_ZL33flash_attn_stream_k_fixup_uniformILi64ELi8ELi4EEvPfPK15HIP_vector_typeIfLj2EEiiiiiiS1_IjLj3EES5_S5_, .Lfunc_end22-_ZL33flash_attn_stream_k_fixup_uniformILi64ELi8ELi4EEvPfPK15HIP_vector_typeIfLj2EEiiiiiiS1_IjLj3EES5_S5_
                                        ; -- End function
	.section	.AMDGPU.csdata,"",@progbits
; Kernel info:
; codeLenInByte = 996
; NumSgprs: 22
; NumVgprs: 15
; ScratchSize: 0
; MemoryBound: 0
; FloatMode: 240
; IeeeMode: 1
; LDSByteSize: 0 bytes/workgroup (compile time only)
; SGPRBlocks: 2
; VGPRBlocks: 1
; NumSGPRsForWavesPerEU: 22
; NumVGPRsForWavesPerEU: 15
; Occupancy: 16
; WaveLimiterHint : 0
; COMPUTE_PGM_RSRC2:SCRATCH_EN: 0
; COMPUTE_PGM_RSRC2:USER_SGPR: 13
; COMPUTE_PGM_RSRC2:TRAP_HANDLER: 0
; COMPUTE_PGM_RSRC2:TGID_X_EN: 1
; COMPUTE_PGM_RSRC2:TGID_Y_EN: 1
; COMPUTE_PGM_RSRC2:TGID_Z_EN: 1
; COMPUTE_PGM_RSRC2:TIDIG_COMP_CNT: 0
	.section	.text._ZL33flash_attn_stream_k_fixup_generalILi64ELi8ELi4EEvPfPK15HIP_vector_typeIfLj2EEiiiiS1_IjLj3EES5_S5_S5_,"axG",@progbits,_ZL33flash_attn_stream_k_fixup_generalILi64ELi8ELi4EEvPfPK15HIP_vector_typeIfLj2EEiiiiS1_IjLj3EES5_S5_S5_,comdat
	.globl	_ZL33flash_attn_stream_k_fixup_generalILi64ELi8ELi4EEvPfPK15HIP_vector_typeIfLj2EEiiiiS1_IjLj3EES5_S5_S5_ ; -- Begin function _ZL33flash_attn_stream_k_fixup_generalILi64ELi8ELi4EEvPfPK15HIP_vector_typeIfLj2EEiiiiS1_IjLj3EES5_S5_S5_
	.p2align	8
	.type	_ZL33flash_attn_stream_k_fixup_generalILi64ELi8ELi4EEvPfPK15HIP_vector_typeIfLj2EEiiiiS1_IjLj3EES5_S5_S5_,@function
_ZL33flash_attn_stream_k_fixup_generalILi64ELi8ELi4EEvPfPK15HIP_vector_typeIfLj2EEiiiiS1_IjLj3EES5_S5_S5_: ; @_ZL33flash_attn_stream_k_fixup_generalILi64ELi8ELi4EEvPfPK15HIP_vector_typeIfLj2EEiiiiS1_IjLj3EES5_S5_S5_
; %bb.0:
	s_clause 0x1
	s_load_b128 s[4:7], s[0:1], 0x10
	s_load_b32 s20, s[0:1], 0x50
	s_mov_b32 s2, 0
	s_waitcnt lgkmcnt(0)
	s_mul_hi_i32 s3, s7, s13
	s_mul_i32 s12, s7, s13
	s_cmp_lg_u64 s[2:3], 0
	s_cbranch_scc0 .LBB23_21
; %bb.1:
	v_cvt_f32_ubyte0_e32 v1, 0
	v_cvt_f32_u32_e32 v2, s20
	s_sub_u32 s10, 0, s20
	s_subb_u32 s11, 0, 0
	s_delay_alu instid0(VALU_DEP_1) | instskip(NEXT) | instid1(VALU_DEP_1)
	v_fmamk_f32 v1, v1, 0x4f800000, v2
	v_rcp_f32_e32 v1, v1
	s_waitcnt_depctr 0xfff
	v_mul_f32_e32 v1, 0x5f7ffffc, v1
	s_delay_alu instid0(VALU_DEP_1) | instskip(NEXT) | instid1(VALU_DEP_1)
	v_mul_f32_e32 v2, 0x2f800000, v1
	v_trunc_f32_e32 v2, v2
	s_delay_alu instid0(VALU_DEP_1) | instskip(SKIP_1) | instid1(VALU_DEP_2)
	v_fmamk_f32 v1, v2, 0xcf800000, v1
	v_cvt_u32_f32_e32 v2, v2
	v_cvt_u32_f32_e32 v1, v1
	s_delay_alu instid0(VALU_DEP_2) | instskip(NEXT) | instid1(VALU_DEP_2)
	v_readfirstlane_b32 s8, v2
	v_readfirstlane_b32 s9, v1
	s_delay_alu instid0(VALU_DEP_2) | instskip(NEXT) | instid1(VALU_DEP_1)
	s_mul_i32 s16, s10, s8
	s_mul_hi_u32 s18, s10, s9
	s_mul_i32 s17, s11, s9
	s_add_i32 s16, s18, s16
	s_mul_i32 s19, s10, s9
	s_add_i32 s16, s16, s17
	s_mul_hi_u32 s18, s9, s19
	s_mul_hi_u32 s21, s8, s19
	s_mul_i32 s17, s8, s19
	s_mul_hi_u32 s19, s9, s16
	s_mul_i32 s9, s9, s16
	s_mul_hi_u32 s22, s8, s16
	s_add_u32 s9, s18, s9
	s_addc_u32 s18, 0, s19
	s_add_u32 s9, s9, s17
	s_mul_i32 s16, s8, s16
	s_addc_u32 s9, s18, s21
	s_addc_u32 s17, s22, 0
	s_add_u32 s9, s9, s16
	s_addc_u32 s16, 0, s17
	v_add_co_u32 v1, s9, v1, s9
	s_delay_alu instid0(VALU_DEP_1) | instskip(SKIP_1) | instid1(VALU_DEP_1)
	s_cmp_lg_u32 s9, 0
	s_addc_u32 s8, s8, s16
	v_readfirstlane_b32 s9, v1
	s_mul_i32 s16, s10, s8
	s_delay_alu instid0(VALU_DEP_1)
	s_mul_hi_u32 s17, s10, s9
	s_mul_i32 s11, s11, s9
	s_add_i32 s16, s17, s16
	s_mul_i32 s10, s10, s9
	s_add_i32 s16, s16, s11
	s_mul_hi_u32 s17, s8, s10
	s_mul_i32 s18, s8, s10
	s_mul_hi_u32 s10, s9, s10
	s_mul_hi_u32 s19, s9, s16
	s_mul_i32 s9, s9, s16
	s_mul_hi_u32 s11, s8, s16
	s_add_u32 s9, s10, s9
	s_addc_u32 s10, 0, s19
	s_add_u32 s9, s9, s18
	s_mul_i32 s16, s8, s16
	s_addc_u32 s9, s10, s17
	s_addc_u32 s10, s11, 0
	s_add_u32 s9, s9, s16
	s_addc_u32 s10, 0, s10
	v_add_co_u32 v1, s9, v1, s9
	s_delay_alu instid0(VALU_DEP_1) | instskip(SKIP_2) | instid1(SALU_CYCLE_1)
	s_cmp_lg_u32 s9, 0
	s_addc_u32 s16, s8, s10
	s_ashr_i32 s8, s3, 31
	s_add_u32 s10, s12, s8
	s_addc_u32 s11, s3, s8
	v_readfirstlane_b32 s3, v1
	s_mov_b32 s9, s8
	s_delay_alu instid0(SALU_CYCLE_1) | instskip(NEXT) | instid1(SALU_CYCLE_1)
	s_xor_b64 s[10:11], s[10:11], s[8:9]
	s_mul_i32 s18, s10, s16
	s_delay_alu instid0(VALU_DEP_1)
	s_mul_hi_u32 s19, s10, s3
	s_mul_hi_u32 s17, s10, s16
	;; [unrolled: 1-line block ×3, first 2 shown]
	s_mul_i32 s3, s11, s3
	s_add_u32 s18, s19, s18
	s_addc_u32 s17, 0, s17
	s_mul_hi_u32 s21, s11, s16
	s_add_u32 s3, s18, s3
	s_mul_i32 s16, s11, s16
	s_addc_u32 s3, s17, s22
	s_addc_u32 s17, s21, 0
	s_add_u32 s3, s3, s16
	s_addc_u32 s16, 0, s17
	s_mul_i32 s18, s20, s3
	s_add_u32 s17, s3, 1
	v_sub_co_u32 v1, s10, s10, s18
	s_mul_hi_u32 s18, s20, s3
	s_addc_u32 s19, s16, 0
	s_mul_i32 s21, s20, s16
	s_delay_alu instid0(VALU_DEP_1)
	v_sub_co_u32 v2, s22, v1, s20
	s_add_u32 s23, s3, 2
	s_addc_u32 s24, s16, 0
	s_add_i32 s18, s18, s21
	s_cmp_lg_u32 s10, 0
	v_readfirstlane_b32 s10, v2
	s_subb_u32 s11, s11, s18
	s_cmp_lg_u32 s22, 0
	s_subb_u32 s18, s11, 0
	s_delay_alu instid0(VALU_DEP_1) | instskip(SKIP_4) | instid1(SALU_CYCLE_1)
	s_cmp_ge_u32 s10, s20
	s_cselect_b32 s10, -1, 0
	s_cmp_eq_u32 s18, 0
	v_readfirstlane_b32 s18, v1
	s_cselect_b32 s10, s10, -1
	s_cmp_lg_u32 s10, 0
	s_cselect_b32 s10, s23, s17
	s_cselect_b32 s17, s24, s19
	s_cmp_ge_u32 s18, s20
	s_cselect_b32 s18, -1, 0
	s_cmp_eq_u32 s11, 0
	s_cselect_b32 s11, s18, -1
	s_delay_alu instid0(SALU_CYCLE_1) | instskip(SKIP_2) | instid1(SALU_CYCLE_1)
	s_cmp_lg_u32 s11, 0
	s_cselect_b32 s11, s17, s16
	s_cselect_b32 s10, s10, s3
	s_xor_b64 s[10:11], s[10:11], s[8:9]
	s_delay_alu instid0(SALU_CYCLE_1)
	s_sub_u32 s16, s10, s8
	s_load_b128 s[8:11], s[0:1], 0x44
	s_and_not1_b32 vcc_lo, exec_lo, s2
	s_cbranch_vccnz .LBB23_3
.LBB23_2:
	v_cvt_f32_u32_e32 v1, s20
	s_sub_i32 s3, 0, s20
	s_delay_alu instid0(VALU_DEP_1) | instskip(SKIP_2) | instid1(VALU_DEP_1)
	v_rcp_iflag_f32_e32 v1, v1
	s_waitcnt_depctr 0xfff
	v_mul_f32_e32 v1, 0x4f7ffffe, v1
	v_cvt_u32_f32_e32 v1, v1
	s_delay_alu instid0(VALU_DEP_1) | instskip(NEXT) | instid1(VALU_DEP_1)
	v_readfirstlane_b32 s2, v1
	s_mul_i32 s3, s3, s2
	s_delay_alu instid0(SALU_CYCLE_1) | instskip(NEXT) | instid1(SALU_CYCLE_1)
	s_mul_hi_u32 s3, s2, s3
	s_add_i32 s2, s2, s3
	s_delay_alu instid0(SALU_CYCLE_1) | instskip(NEXT) | instid1(SALU_CYCLE_1)
	s_mul_hi_u32 s2, s12, s2
	s_mul_i32 s3, s2, s20
	s_waitcnt lgkmcnt(0)
	s_add_i32 s11, s2, 1
	s_sub_i32 s3, s12, s3
	s_delay_alu instid0(SALU_CYCLE_1)
	s_sub_i32 s12, s3, s20
	s_cmp_ge_u32 s3, s20
	s_cselect_b32 s2, s11, s2
	s_cselect_b32 s3, s12, s3
	s_add_i32 s11, s2, 1
	s_cmp_ge_u32 s3, s20
	s_cselect_b32 s16, s11, s2
.LBB23_3:
	s_waitcnt lgkmcnt(0)
	s_add_i32 s11, s13, 1
	s_mov_b32 s2, 0
	s_mul_hi_i32 s3, s7, s11
	s_mul_i32 s11, s7, s11
	s_cmp_lg_u64 s[2:3], 0
	s_cbranch_scc0 .LBB23_22
; %bb.4:
	v_cvt_f32_ubyte0_e32 v1, 0
	v_cvt_f32_u32_e32 v2, s20
	s_sub_u32 s18, 0, s20
	s_subb_u32 s19, 0, 0
	s_delay_alu instid0(VALU_DEP_1) | instskip(NEXT) | instid1(VALU_DEP_1)
	v_fmamk_f32 v1, v1, 0x4f800000, v2
	v_rcp_f32_e32 v1, v1
	s_waitcnt_depctr 0xfff
	v_mul_f32_e32 v1, 0x5f7ffffc, v1
	s_delay_alu instid0(VALU_DEP_1) | instskip(NEXT) | instid1(VALU_DEP_1)
	v_mul_f32_e32 v2, 0x2f800000, v1
	v_trunc_f32_e32 v2, v2
	s_delay_alu instid0(VALU_DEP_1) | instskip(SKIP_1) | instid1(VALU_DEP_2)
	v_fmamk_f32 v1, v2, 0xcf800000, v1
	v_cvt_u32_f32_e32 v2, v2
	v_cvt_u32_f32_e32 v1, v1
	s_delay_alu instid0(VALU_DEP_2) | instskip(NEXT) | instid1(VALU_DEP_2)
	v_readfirstlane_b32 s12, v2
	v_readfirstlane_b32 s17, v1
	s_delay_alu instid0(VALU_DEP_2) | instskip(NEXT) | instid1(VALU_DEP_1)
	s_mul_i32 s21, s18, s12
	s_mul_hi_u32 s23, s18, s17
	s_mul_i32 s22, s19, s17
	s_add_i32 s21, s23, s21
	s_mul_i32 s24, s18, s17
	s_add_i32 s21, s21, s22
	s_mul_hi_u32 s23, s17, s24
	s_mul_hi_u32 s25, s12, s24
	s_mul_i32 s22, s12, s24
	s_mul_hi_u32 s24, s17, s21
	s_mul_i32 s17, s17, s21
	s_mul_hi_u32 s26, s12, s21
	s_add_u32 s17, s23, s17
	s_addc_u32 s23, 0, s24
	s_add_u32 s17, s17, s22
	s_mul_i32 s21, s12, s21
	s_addc_u32 s17, s23, s25
	s_addc_u32 s22, s26, 0
	s_add_u32 s17, s17, s21
	s_addc_u32 s21, 0, s22
	v_add_co_u32 v1, s17, v1, s17
	s_delay_alu instid0(VALU_DEP_1) | instskip(SKIP_1) | instid1(VALU_DEP_1)
	s_cmp_lg_u32 s17, 0
	s_addc_u32 s12, s12, s21
	v_readfirstlane_b32 s17, v1
	s_mul_i32 s21, s18, s12
	s_delay_alu instid0(VALU_DEP_1)
	s_mul_hi_u32 s22, s18, s17
	s_mul_i32 s19, s19, s17
	s_add_i32 s21, s22, s21
	s_mul_i32 s18, s18, s17
	s_add_i32 s21, s21, s19
	s_mul_hi_u32 s22, s12, s18
	s_mul_i32 s23, s12, s18
	s_mul_hi_u32 s18, s17, s18
	s_mul_hi_u32 s24, s17, s21
	s_mul_i32 s17, s17, s21
	s_mul_hi_u32 s19, s12, s21
	s_add_u32 s17, s18, s17
	s_addc_u32 s18, 0, s24
	s_add_u32 s17, s17, s23
	s_mul_i32 s21, s12, s21
	s_addc_u32 s17, s18, s22
	s_addc_u32 s18, s19, 0
	s_add_u32 s17, s17, s21
	s_addc_u32 s18, 0, s18
	v_add_co_u32 v1, s17, v1, s17
	s_delay_alu instid0(VALU_DEP_1) | instskip(SKIP_2) | instid1(SALU_CYCLE_1)
	s_cmp_lg_u32 s17, 0
	s_addc_u32 s12, s12, s18
	s_ashr_i32 s18, s3, 31
	s_add_u32 s22, s11, s18
	s_addc_u32 s23, s3, s18
	v_readfirstlane_b32 s3, v1
	s_mov_b32 s19, s18
	s_delay_alu instid0(SALU_CYCLE_1) | instskip(NEXT) | instid1(SALU_CYCLE_1)
	s_xor_b64 s[22:23], s[22:23], s[18:19]
	s_mul_i32 s21, s22, s12
	s_delay_alu instid0(VALU_DEP_1)
	s_mul_hi_u32 s24, s22, s3
	s_mul_hi_u32 s17, s22, s12
	;; [unrolled: 1-line block ×3, first 2 shown]
	s_mul_i32 s3, s23, s3
	s_add_u32 s21, s24, s21
	s_addc_u32 s17, 0, s17
	s_mul_hi_u32 s25, s23, s12
	s_add_u32 s3, s21, s3
	s_mul_i32 s12, s23, s12
	s_addc_u32 s3, s17, s26
	s_addc_u32 s17, s25, 0
	s_add_u32 s3, s3, s12
	s_addc_u32 s12, 0, s17
	s_mul_i32 s21, s20, s3
	s_add_u32 s17, s3, 1
	v_sub_co_u32 v1, s21, s22, s21
	s_mul_hi_u32 s22, s20, s3
	s_addc_u32 s24, s12, 0
	s_mul_i32 s25, s20, s12
	s_delay_alu instid0(VALU_DEP_1)
	v_sub_co_u32 v2, s26, v1, s20
	s_add_u32 s27, s3, 2
	s_addc_u32 s28, s12, 0
	s_add_i32 s22, s22, s25
	s_cmp_lg_u32 s21, 0
	v_readfirstlane_b32 s21, v2
	s_subb_u32 s22, s23, s22
	s_cmp_lg_u32 s26, 0
	s_subb_u32 s23, s22, 0
	s_delay_alu instid0(VALU_DEP_1) | instskip(SKIP_4) | instid1(SALU_CYCLE_1)
	s_cmp_ge_u32 s21, s20
	s_cselect_b32 s21, -1, 0
	s_cmp_eq_u32 s23, 0
	v_readfirstlane_b32 s23, v1
	s_cselect_b32 s21, s21, -1
	s_cmp_lg_u32 s21, 0
	s_cselect_b32 s17, s27, s17
	s_cselect_b32 s21, s28, s24
	s_cmp_ge_u32 s23, s20
	s_cselect_b32 s23, -1, 0
	s_cmp_eq_u32 s22, 0
	s_cselect_b32 s22, s23, -1
	s_delay_alu instid0(SALU_CYCLE_1) | instskip(SKIP_2) | instid1(SALU_CYCLE_1)
	s_cmp_lg_u32 s22, 0
	s_cselect_b32 s23, s21, s12
	s_cselect_b32 s22, s17, s3
	s_xor_b64 s[22:23], s[22:23], s[18:19]
	s_delay_alu instid0(SALU_CYCLE_1)
	s_sub_u32 s18, s22, s18
	s_and_not1_b32 vcc_lo, exec_lo, s2
	s_cbranch_vccnz .LBB23_6
.LBB23_5:
	v_cvt_f32_u32_e32 v1, s20
	s_sub_i32 s3, 0, s20
	s_delay_alu instid0(VALU_DEP_1) | instskip(SKIP_2) | instid1(VALU_DEP_1)
	v_rcp_iflag_f32_e32 v1, v1
	s_waitcnt_depctr 0xfff
	v_mul_f32_e32 v1, 0x4f7ffffe, v1
	v_cvt_u32_f32_e32 v1, v1
	s_delay_alu instid0(VALU_DEP_1) | instskip(NEXT) | instid1(VALU_DEP_1)
	v_readfirstlane_b32 s2, v1
	s_mul_i32 s3, s3, s2
	s_delay_alu instid0(SALU_CYCLE_1) | instskip(NEXT) | instid1(SALU_CYCLE_1)
	s_mul_hi_u32 s3, s2, s3
	s_add_i32 s2, s2, s3
	s_delay_alu instid0(SALU_CYCLE_1) | instskip(NEXT) | instid1(SALU_CYCLE_1)
	s_mul_hi_u32 s2, s11, s2
	s_mul_i32 s3, s2, s20
	s_delay_alu instid0(SALU_CYCLE_1)
	s_sub_i32 s3, s11, s3
	s_add_i32 s11, s2, 1
	s_sub_i32 s12, s3, s20
	s_cmp_ge_u32 s3, s20
	s_cselect_b32 s2, s11, s2
	s_cselect_b32 s3, s12, s3
	s_add_i32 s11, s2, 1
	s_cmp_ge_u32 s3, s20
	s_cselect_b32 s18, s11, s2
.LBB23_6:
	s_delay_alu instid0(SALU_CYCLE_1) | instskip(SKIP_3) | instid1(SALU_CYCLE_1)
	s_cmp_eq_u32 s16, s18
	s_mul_hi_u32 s2, s16, s8
	s_cselect_b32 s3, -1, 0
	s_add_i32 s2, s2, s16
	s_lshr_b32 s11, s2, s9
	s_delay_alu instid0(SALU_CYCLE_1) | instskip(NEXT) | instid1(SALU_CYCLE_1)
	s_mul_i32 s2, s11, s10
	s_cmp_eq_u32 s2, s16
	s_mul_hi_u32 s2, s18, s8
	s_cselect_b32 s12, -1, 0
	s_add_i32 s2, s2, s18
	s_delay_alu instid0(SALU_CYCLE_1) | instskip(NEXT) | instid1(SALU_CYCLE_1)
	s_lshr_b32 s2, s2, s9
	s_cmp_eq_u32 s11, s2
	s_mul_i32 s2, s2, s10
	s_cselect_b32 s17, -1, 0
	s_cmp_lg_u32 s2, s18
	s_cselect_b32 s2, -1, 0
	s_or_b32 s3, s3, s12
	s_and_b32 s2, s17, s2
	s_delay_alu instid0(SALU_CYCLE_1) | instskip(NEXT) | instid1(SALU_CYCLE_1)
	s_or_b32 s2, s3, s2
	s_and_b32 vcc_lo, exec_lo, s2
	s_cbranch_vccnz .LBB23_24
; %bb.7:
	s_load_b256 s[24:31], s[0:1], 0x20
	s_waitcnt lgkmcnt(0)
	s_mul_hi_u32 s2, s16, s24
	s_delay_alu instid0(SALU_CYCLE_1) | instskip(NEXT) | instid1(SALU_CYCLE_1)
	s_add_i32 s2, s2, s16
	s_lshr_b32 s17, s2, s25
	s_load_b32 s2, s[0:1], 0x40
	s_mul_i32 s3, s17, s26
	s_delay_alu instid0(SALU_CYCLE_1) | instskip(NEXT) | instid1(SALU_CYCLE_1)
	s_sub_i32 s3, s16, s3
	s_mul_hi_u32 s12, s3, s27
	s_delay_alu instid0(SALU_CYCLE_1) | instskip(NEXT) | instid1(SALU_CYCLE_1)
	s_add_i32 s12, s3, s12
	s_lshr_b32 s21, s12, s28
	s_delay_alu instid0(SALU_CYCLE_1) | instskip(NEXT) | instid1(SALU_CYCLE_1)
	s_mul_i32 s12, s21, s29
	s_sub_i32 s3, s3, s12
	s_delay_alu instid0(SALU_CYCLE_1) | instskip(NEXT) | instid1(SALU_CYCLE_1)
	s_mul_hi_u32 s12, s3, s30
	s_add_i32 s12, s3, s12
	s_delay_alu instid0(SALU_CYCLE_1)
	s_lshr_b32 s12, s12, s31
	s_waitcnt lgkmcnt(0)
	s_mul_i32 s2, s12, s2
	s_lshl_b32 s23, s12, 2
	s_sub_i32 s2, s3, s2
	s_mov_b32 s12, 0
	s_mul_hi_u32 s3, s2, s8
	s_delay_alu instid0(SALU_CYCLE_1) | instskip(NEXT) | instid1(SALU_CYCLE_1)
	s_add_i32 s2, s2, s3
	s_lshr_b32 s22, s2, s9
	s_delay_alu instid0(SALU_CYCLE_1) | instskip(NEXT) | instid1(SALU_CYCLE_1)
	s_lshl_b32 s2, s22, 3
	s_add_i32 s2, s2, s14
	s_delay_alu instid0(SALU_CYCLE_1) | instskip(SKIP_2) | instid1(SALU_CYCLE_1)
	s_cmp_lt_i32 s2, s4
	s_cselect_b32 s2, -1, 0
	s_add_i32 s3, s23, s15
	s_cmp_lt_i32 s3, s6
	s_cselect_b32 s3, -1, 0
	s_delay_alu instid0(SALU_CYCLE_1) | instskip(NEXT) | instid1(SALU_CYCLE_1)
	s_and_b32 s2, s2, s3
	s_and_not1_b32 vcc_lo, exec_lo, s2
	s_cbranch_vccnz .LBB23_24
; %bb.8:
	s_load_b128 s[0:3], s[0:1], 0x0
	s_lshl_b32 s18, s20, 7
	s_mov_b32 s19, s12
	s_lshl_b32 s24, s14, 2
	s_lshl_b64 s[18:19], s[18:19], 2
	s_mul_i32 s4, s17, s4
	s_add_i32 s17, s24, s15
	s_mul_i32 s21, s21, s6
	v_cvt_f32_ubyte0_e32 v4, 0
	v_cvt_f32_u32_e32 v5, s20
	s_waitcnt lgkmcnt(0)
	s_add_u32 s18, s2, s18
	s_addc_u32 s19, s3, s19
	s_add_i32 s4, s4, s14
	s_delay_alu instid0(SALU_CYCLE_1) | instskip(SKIP_4) | instid1(SALU_CYCLE_1)
	s_mul_i32 s4, s4, s5
	s_mul_i32 s5, s5, s22
	s_add_i32 s4, s4, s15
	s_lshl_b32 s5, s5, 9
	s_add_i32 s4, s4, s21
	s_add_i32 s4, s4, s23
	s_delay_alu instid0(SALU_CYCLE_1) | instskip(NEXT) | instid1(SALU_CYCLE_1)
	s_lshl_b32 s4, s4, 6
	s_add_i32 s5, s5, s4
	s_delay_alu instid0(SALU_CYCLE_1) | instskip(SKIP_1) | instid1(VALU_DEP_2)
	v_or_b32_e32 v1, s5, v0
	v_lshl_or_b32 v0, s17, 6, v0
	v_ashrrev_i32_e32 v2, 31, v1
	s_delay_alu instid0(VALU_DEP_1) | instskip(NEXT) | instid1(VALU_DEP_1)
	v_lshlrev_b64 v[1:2], 2, v[1:2]
	v_add_co_u32 v1, vcc_lo, s0, v1
	s_delay_alu instid0(VALU_DEP_2) | instskip(SKIP_1) | instid1(SALU_CYCLE_1)
	v_add_co_ci_u32_e32 v2, vcc_lo, s1, v2, vcc_lo
	s_lshl_b32 s0, s13, 5
	s_add_i32 s0, s17, s0
	global_load_b32 v3, v[1:2], off
	s_ashr_i32 s1, s0, 31
	s_delay_alu instid0(SALU_CYCLE_1) | instskip(NEXT) | instid1(SALU_CYCLE_1)
	s_lshl_b64 s[0:1], s[0:1], 3
	s_add_u32 s0, s2, s0
	s_addc_u32 s1, s3, s1
	s_add_i32 s14, s13, -1
	s_load_b64 s[0:1], s[0:1], 0x0
	v_fmac_f32_e32 v5, 0x4f800000, v4
	s_sub_i32 s6, 0, s20
	s_waitcnt lgkmcnt(0)
	v_mov_b32_e32 v8, s0
	s_delay_alu instid0(VALU_DEP_2) | instskip(SKIP_2) | instid1(VALU_DEP_2)
	v_rcp_f32_e32 v4, v5
	v_cvt_f32_u32_e32 v5, s20
	v_mov_b32_e32 v7, s1
	v_rcp_iflag_f32_e32 v5, v5
	s_waitcnt_depctr 0xfff
	v_mul_f32_e32 v4, 0x5f7ffffc, v4
	s_delay_alu instid0(VALU_DEP_1) | instskip(SKIP_1) | instid1(VALU_DEP_2)
	v_mul_f32_e32 v6, 0x2f800000, v4
	v_mul_f32_e32 v9, 0x4f7ffffe, v5
	v_trunc_f32_e32 v6, v6
	s_delay_alu instid0(VALU_DEP_1) | instskip(SKIP_1) | instid1(VALU_DEP_4)
	v_fmac_f32_e32 v4, 0xcf800000, v6
	v_cvt_u32_f32_e32 v5, v6
	v_cvt_u32_f32_e32 v6, v9
	s_delay_alu instid0(VALU_DEP_3)
	v_cvt_u32_f32_e32 v4, v4
.LBB23_9:                               ; =>This Inner Loop Header: Depth=1
	s_mul_hi_i32 s13, s14, s7
	s_mul_i32 s4, s14, s7
	s_cmp_lg_u64 s[12:13], 0
	s_mov_b32 s5, -1
                                        ; implicit-def: $sgpr0_sgpr1
	s_cbranch_scc0 .LBB23_11
; %bb.10:                               ;   in Loop: Header=BB23_9 Depth=1
	v_readfirstlane_b32 s0, v4
	v_readfirstlane_b32 s1, v5
	s_sub_u32 s5, 0, s20
	s_subb_u32 s15, 0, 0
	s_delay_alu instid0(VALU_DEP_2) | instskip(NEXT) | instid1(VALU_DEP_1)
	s_mul_hi_u32 s21, s5, s0
	s_mul_i32 s22, s5, s1
	s_mul_i32 s23, s15, s0
	s_add_i32 s21, s21, s22
	s_mul_i32 s22, s5, s0
	s_add_i32 s21, s21, s23
	s_mul_hi_u32 s23, s0, s22
	s_mul_i32 s24, s0, s21
	s_mul_hi_u32 s0, s0, s21
	s_add_u32 s23, s23, s24
	s_mul_i32 s25, s1, s22
	s_addc_u32 s0, 0, s0
	s_mul_hi_u32 s22, s1, s22
	s_mul_hi_u32 s24, s1, s21
	s_add_u32 s23, s23, s25
	s_addc_u32 s0, s0, s22
	s_mul_i32 s21, s1, s21
	s_addc_u32 s22, s24, 0
	s_add_u32 s0, s0, s21
	s_addc_u32 s21, 0, s22
	v_add_co_u32 v9, s0, v4, s0
	s_delay_alu instid0(VALU_DEP_1) | instskip(SKIP_1) | instid1(VALU_DEP_1)
	s_cmp_lg_u32 s0, 0
	s_addc_u32 s1, s1, s21
	v_readfirstlane_b32 s0, v9
	s_mul_i32 s21, s5, s1
	s_delay_alu instid0(VALU_DEP_1)
	s_mul_hi_u32 s22, s5, s0
	s_mul_i32 s15, s15, s0
	s_add_i32 s21, s22, s21
	s_mul_i32 s5, s5, s0
	s_add_i32 s21, s21, s15
	s_mul_hi_u32 s15, s1, s5
	s_mul_i32 s23, s1, s5
	s_mul_i32 s24, s0, s21
	s_mul_hi_u32 s5, s0, s5
	s_mul_hi_u32 s0, s0, s21
	s_add_u32 s5, s5, s24
	s_addc_u32 s0, 0, s0
	s_mul_hi_u32 s22, s1, s21
	s_add_u32 s5, s5, s23
	s_addc_u32 s0, s0, s15
	s_mul_i32 s5, s1, s21
	s_addc_u32 s15, s22, 0
	s_add_u32 s0, s0, s5
	s_addc_u32 s5, 0, s15
	v_add_co_u32 v9, s0, v9, s0
	s_delay_alu instid0(VALU_DEP_1) | instskip(SKIP_2) | instid1(SALU_CYCLE_1)
	s_cmp_lg_u32 s0, 0
	s_addc_u32 s5, s1, s5
	s_ashr_i32 s0, s13, 31
	s_add_u32 s22, s4, s0
	s_addc_u32 s23, s13, s0
	v_readfirstlane_b32 s13, v9
	s_mov_b32 s1, s0
	s_delay_alu instid0(SALU_CYCLE_1) | instskip(NEXT) | instid1(SALU_CYCLE_1)
	s_xor_b64 s[22:23], s[22:23], s[0:1]
	s_mul_i32 s15, s22, s5
	s_delay_alu instid0(VALU_DEP_1)
	s_mul_hi_u32 s21, s22, s13
	s_mul_hi_u32 s24, s22, s5
	s_add_u32 s15, s21, s15
	s_mul_i32 s25, s23, s13
	s_addc_u32 s21, 0, s24
	s_mul_hi_u32 s13, s23, s13
	s_mul_hi_u32 s24, s23, s5
	s_add_u32 s15, s15, s25
	s_addc_u32 s13, s21, s13
	s_mul_i32 s5, s23, s5
	s_addc_u32 s15, s24, 0
	s_add_u32 s5, s13, s5
	s_addc_u32 s13, 0, s15
	s_mul_i32 s21, s20, s5
	s_add_u32 s15, s5, 1
	v_sub_co_u32 v9, s21, s22, s21
	s_addc_u32 s22, s13, 0
	s_mul_i32 s25, s20, s13
	s_mul_hi_u32 s27, s20, s5
	s_delay_alu instid0(VALU_DEP_1)
	v_sub_co_u32 v10, s26, v9, s20
	s_add_u32 s24, s5, 2
	s_addc_u32 s28, s13, 0
	s_add_i32 s27, s27, s25
	s_cmp_lg_u32 s21, 0
	v_readfirstlane_b32 s21, v10
	s_subb_u32 s23, s23, s27
	s_cmp_lg_u32 s26, 0
	s_subb_u32 s25, s23, 0
	s_delay_alu instid0(VALU_DEP_1) | instskip(SKIP_4) | instid1(SALU_CYCLE_1)
	s_cmp_ge_u32 s21, s20
	s_cselect_b32 s21, -1, 0
	s_cmp_eq_u32 s25, 0
	v_readfirstlane_b32 s25, v9
	s_cselect_b32 s21, s21, -1
	s_cmp_lg_u32 s21, 0
	s_cselect_b32 s15, s24, s15
	s_cselect_b32 s21, s28, s22
	s_cmp_ge_u32 s25, s20
	s_cselect_b32 s22, -1, 0
	s_cmp_eq_u32 s23, 0
	s_cselect_b32 s22, s22, -1
	s_delay_alu instid0(SALU_CYCLE_1) | instskip(SKIP_4) | instid1(SALU_CYCLE_1)
	s_cmp_lg_u32 s22, 0
	s_cselect_b32 s23, s21, s13
	s_cselect_b32 s22, s15, s5
	s_mov_b32 s5, 0
	s_xor_b64 s[22:23], s[22:23], s[0:1]
	s_sub_u32 s0, s22, s0
.LBB23_11:                              ;   in Loop: Header=BB23_9 Depth=1
	s_and_not1_b32 vcc_lo, exec_lo, s5
	s_cbranch_vccnz .LBB23_13
; %bb.12:                               ;   in Loop: Header=BB23_9 Depth=1
	v_readfirstlane_b32 s0, v6
	s_delay_alu instid0(VALU_DEP_1) | instskip(NEXT) | instid1(SALU_CYCLE_1)
	s_mul_i32 s1, s6, s0
	s_mul_hi_u32 s1, s0, s1
	s_delay_alu instid0(SALU_CYCLE_1) | instskip(NEXT) | instid1(SALU_CYCLE_1)
	s_add_i32 s0, s0, s1
	s_mul_hi_u32 s0, s4, s0
	s_delay_alu instid0(SALU_CYCLE_1) | instskip(NEXT) | instid1(SALU_CYCLE_1)
	s_mul_i32 s1, s0, s20
	s_sub_i32 s1, s4, s1
	s_add_i32 s4, s0, 1
	s_sub_i32 s5, s1, s20
	s_cmp_ge_u32 s1, s20
	s_cselect_b32 s0, s4, s0
	s_cselect_b32 s1, s5, s1
	s_add_i32 s4, s0, 1
	s_cmp_ge_u32 s1, s20
	s_cselect_b32 s0, s4, s0
.LBB23_13:                              ;   in Loop: Header=BB23_9 Depth=1
	s_delay_alu instid0(SALU_CYCLE_1)
	s_cmp_lg_u32 s16, s0
	s_cbranch_scc0 .LBB23_17
; %bb.14:                               ;   in Loop: Header=BB23_9 Depth=1
	s_add_i32 s1, s14, s20
	s_mov_b32 s5, s12
	s_lshl_b32 s1, s1, 5
	s_mov_b32 s15, s16
	s_add_i32 s4, s1, s17
	s_mul_hi_u32 s1, s0, s8
	s_lshl_b64 s[4:5], s[4:5], 3
	s_delay_alu instid0(SALU_CYCLE_1) | instskip(SKIP_2) | instid1(SALU_CYCLE_1)
	s_add_u32 s4, s2, s4
	s_addc_u32 s5, s3, s5
	s_add_i32 s1, s1, s0
	s_lshr_b32 s1, s1, s9
	s_delay_alu instid0(SALU_CYCLE_1) | instskip(NEXT) | instid1(SALU_CYCLE_1)
	s_mul_i32 s13, s1, s10
	s_cmp_eq_u32 s13, s0
	s_cselect_b32 s13, -1, 0
	s_cmp_lt_u32 s1, s11
	s_cselect_b32 s1, -1, 0
	s_delay_alu instid0(SALU_CYCLE_1)
	s_or_b32 s1, s1, s13
	s_mov_b32 s13, -1
	s_and_b32 vcc_lo, exec_lo, s1
	s_mov_b32 s1, s14
	s_cbranch_vccnz .LBB23_16
; %bb.15:                               ;   in Loop: Header=BB23_9 Depth=1
	s_add_i32 s1, s14, -1
	s_mov_b32 s13, 0
	s_mov_b32 s15, s0
.LBB23_16:                              ;   in Loop: Header=BB23_9 Depth=1
	v_lshl_add_u32 v9, s14, 11, v0
	s_load_b64 s[4:5], s[4:5], 0x0
	s_delay_alu instid0(VALU_DEP_1) | instskip(NEXT) | instid1(VALU_DEP_1)
	v_ashrrev_i32_e32 v10, 31, v9
	v_lshlrev_b64 v[9:10], 2, v[9:10]
	s_delay_alu instid0(VALU_DEP_1) | instskip(NEXT) | instid1(VALU_DEP_2)
	v_add_co_u32 v9, vcc_lo, s18, v9
	v_add_co_ci_u32_e32 v10, vcc_lo, s19, v10, vcc_lo
	s_waitcnt lgkmcnt(0)
	v_max_f32_e64 v11, s4, s4
	global_load_b32 v10, v[9:10], off
	v_max_f32_e32 v9, v8, v8
	s_delay_alu instid0(VALU_DEP_1) | instskip(NEXT) | instid1(VALU_DEP_1)
	v_max_f32_e32 v9, v9, v11
	v_sub_f32_e32 v12, v8, v9
	s_delay_alu instid0(VALU_DEP_1) | instskip(NEXT) | instid1(VALU_DEP_1)
	v_dual_mul_f32 v14, 0x3fb8aa3b, v12 :: v_dual_sub_f32 v11, s4, v9
	v_rndne_f32_e32 v18, v14
	s_delay_alu instid0(VALU_DEP_2) | instskip(SKIP_2) | instid1(VALU_DEP_4)
	v_mul_f32_e32 v13, 0x3fb8aa3b, v11
	v_fma_f32 v17, 0x3fb8aa3b, v12, -v14
	v_cmp_ngt_f32_e32 vcc_lo, 0xc2ce8ed0, v11
	v_sub_f32_e32 v14, v14, v18
	s_delay_alu instid0(VALU_DEP_4) | instskip(SKIP_2) | instid1(VALU_DEP_3)
	v_fma_f32 v15, 0x3fb8aa3b, v11, -v13
	v_rndne_f32_e32 v16, v13
	v_fmac_f32_e32 v17, 0x32a5705f, v12
	v_fmac_f32_e32 v15, 0x32a5705f, v11
	s_delay_alu instid0(VALU_DEP_2) | instskip(NEXT) | instid1(VALU_DEP_1)
	v_dual_sub_f32 v13, v13, v16 :: v_dual_add_f32 v14, v14, v17
	v_add_f32_e32 v13, v13, v15
	s_delay_alu instid0(VALU_DEP_2) | instskip(SKIP_2) | instid1(VALU_DEP_3)
	v_exp_f32_e32 v14, v14
	v_cvt_i32_f32_e32 v15, v16
	v_cvt_i32_f32_e32 v16, v18
	v_exp_f32_e32 v13, v13
	s_waitcnt_depctr 0xfff
	v_ldexp_f32 v14, v14, v16
	v_ldexp_f32 v13, v13, v15
	s_delay_alu instid0(VALU_DEP_1) | instskip(SKIP_1) | instid1(VALU_DEP_4)
	v_cndmask_b32_e32 v13, 0, v13, vcc_lo
	v_cmp_ngt_f32_e32 vcc_lo, 0xc2ce8ed0, v12
	v_cndmask_b32_e32 v14, 0, v14, vcc_lo
	v_cmp_nlt_f32_e32 vcc_lo, 0x42b17218, v11
	s_delay_alu instid0(VALU_DEP_4) | instskip(SKIP_1) | instid1(VALU_DEP_4)
	v_cndmask_b32_e32 v13, 0x7f800000, v13, vcc_lo
	v_cmp_nlt_f32_e32 vcc_lo, 0x42b17218, v12
	v_cndmask_b32_e32 v14, 0x7f800000, v14, vcc_lo
	v_cmp_le_f32_e32 vcc_lo, 0xc1a00000, v11
	s_delay_alu instid0(VALU_DEP_4) | instskip(SKIP_1) | instid1(VALU_DEP_4)
	v_cndmask_b32_e32 v11, 0, v13, vcc_lo
	v_cmp_le_f32_e32 vcc_lo, 0xc1a00000, v12
	v_cndmask_b32_e32 v12, 0, v14, vcc_lo
	s_waitcnt vmcnt(0)
	s_delay_alu instid0(VALU_DEP_3) | instskip(NEXT) | instid1(VALU_DEP_1)
	v_mul_f32_e32 v10, v10, v11
	v_dual_mul_f32 v11, s5, v11 :: v_dual_fmac_f32 v10, v3, v12
	s_delay_alu instid0(VALU_DEP_1)
	v_fmac_f32_e32 v11, v7, v12
	s_cbranch_execz .LBB23_18
	s_branch .LBB23_19
.LBB23_17:                              ;   in Loop: Header=BB23_9 Depth=1
                                        ; implicit-def: $sgpr13
                                        ; implicit-def: $vgpr10
                                        ; implicit-def: $vgpr9
                                        ; implicit-def: $vgpr11
                                        ; implicit-def: $sgpr1
                                        ; implicit-def: $sgpr15
.LBB23_18:                              ;   in Loop: Header=BB23_9 Depth=1
	v_mov_b32_e32 v11, v7
	s_waitcnt vmcnt(0)
	v_dual_mov_b32 v9, v8 :: v_dual_mov_b32 v10, v3
	s_add_i32 s1, s14, -1
	s_mov_b32 s13, 0
	s_mov_b32 s15, s16
.LBB23_19:                              ;   in Loop: Header=BB23_9 Depth=1
	s_and_not1_b32 vcc_lo, exec_lo, s13
	s_cbranch_vccz .LBB23_23
; %bb.20:                               ;   in Loop: Header=BB23_9 Depth=1
	v_dual_mov_b32 v7, v11 :: v_dual_mov_b32 v8, v9
	s_waitcnt vmcnt(0)
	v_mov_b32_e32 v3, v10
	s_mov_b32 s16, s15
	s_mov_b32 s14, s1
	s_branch .LBB23_9
.LBB23_21:
                                        ; implicit-def: $sgpr16_sgpr17
	s_load_b128 s[8:11], s[0:1], 0x44
	s_branch .LBB23_2
.LBB23_22:
                                        ; implicit-def: $sgpr18_sgpr19
	s_branch .LBB23_5
.LBB23_23:
	v_div_scale_f32 v0, null, v11, v11, v10
	s_waitcnt vmcnt(0)
	s_delay_alu instid0(VALU_DEP_1) | instskip(SKIP_2) | instid1(VALU_DEP_1)
	v_rcp_f32_e32 v3, v0
	s_waitcnt_depctr 0xfff
	v_fma_f32 v4, -v0, v3, 1.0
	v_fmac_f32_e32 v3, v4, v3
	v_div_scale_f32 v4, vcc_lo, v10, v11, v10
	s_delay_alu instid0(VALU_DEP_1) | instskip(NEXT) | instid1(VALU_DEP_1)
	v_mul_f32_e32 v5, v4, v3
	v_fma_f32 v6, -v0, v5, v4
	s_delay_alu instid0(VALU_DEP_1) | instskip(NEXT) | instid1(VALU_DEP_1)
	v_fmac_f32_e32 v5, v6, v3
	v_fma_f32 v0, -v0, v5, v4
	s_delay_alu instid0(VALU_DEP_1) | instskip(NEXT) | instid1(VALU_DEP_1)
	v_div_fmas_f32 v0, v0, v3, v5
	v_div_fixup_f32 v0, v0, v11, v10
	global_store_b32 v[1:2], v0, off
.LBB23_24:
	s_nop 0
	s_sendmsg sendmsg(MSG_DEALLOC_VGPRS)
	s_endpgm
	.section	.rodata,"a",@progbits
	.p2align	6, 0x0
	.amdhsa_kernel _ZL33flash_attn_stream_k_fixup_generalILi64ELi8ELi4EEvPfPK15HIP_vector_typeIfLj2EEiiiiS1_IjLj3EES5_S5_S5_
		.amdhsa_group_segment_fixed_size 0
		.amdhsa_private_segment_fixed_size 0
		.amdhsa_kernarg_size 336
		.amdhsa_user_sgpr_count 13
		.amdhsa_user_sgpr_dispatch_ptr 0
		.amdhsa_user_sgpr_queue_ptr 0
		.amdhsa_user_sgpr_kernarg_segment_ptr 1
		.amdhsa_user_sgpr_dispatch_id 0
		.amdhsa_user_sgpr_private_segment_size 0
		.amdhsa_wavefront_size32 1
		.amdhsa_uses_dynamic_stack 0
		.amdhsa_enable_private_segment 0
		.amdhsa_system_sgpr_workgroup_id_x 1
		.amdhsa_system_sgpr_workgroup_id_y 1
		.amdhsa_system_sgpr_workgroup_id_z 1
		.amdhsa_system_sgpr_workgroup_info 0
		.amdhsa_system_vgpr_workitem_id 0
		.amdhsa_next_free_vgpr 19
		.amdhsa_next_free_sgpr 32
		.amdhsa_reserve_vcc 1
		.amdhsa_float_round_mode_32 0
		.amdhsa_float_round_mode_16_64 0
		.amdhsa_float_denorm_mode_32 3
		.amdhsa_float_denorm_mode_16_64 3
		.amdhsa_dx10_clamp 1
		.amdhsa_ieee_mode 1
		.amdhsa_fp16_overflow 0
		.amdhsa_workgroup_processor_mode 1
		.amdhsa_memory_ordered 1
		.amdhsa_forward_progress 0
		.amdhsa_shared_vgpr_count 0
		.amdhsa_exception_fp_ieee_invalid_op 0
		.amdhsa_exception_fp_denorm_src 0
		.amdhsa_exception_fp_ieee_div_zero 0
		.amdhsa_exception_fp_ieee_overflow 0
		.amdhsa_exception_fp_ieee_underflow 0
		.amdhsa_exception_fp_ieee_inexact 0
		.amdhsa_exception_int_div_zero 0
	.end_amdhsa_kernel
	.section	.text._ZL33flash_attn_stream_k_fixup_generalILi64ELi8ELi4EEvPfPK15HIP_vector_typeIfLj2EEiiiiS1_IjLj3EES5_S5_S5_,"axG",@progbits,_ZL33flash_attn_stream_k_fixup_generalILi64ELi8ELi4EEvPfPK15HIP_vector_typeIfLj2EEiiiiS1_IjLj3EES5_S5_S5_,comdat
.Lfunc_end23:
	.size	_ZL33flash_attn_stream_k_fixup_generalILi64ELi8ELi4EEvPfPK15HIP_vector_typeIfLj2EEiiiiS1_IjLj3EES5_S5_S5_, .Lfunc_end23-_ZL33flash_attn_stream_k_fixup_generalILi64ELi8ELi4EEvPfPK15HIP_vector_typeIfLj2EEiiiiS1_IjLj3EES5_S5_S5_
                                        ; -- End function
	.section	.AMDGPU.csdata,"",@progbits
; Kernel info:
; codeLenInByte = 3224
; NumSgprs: 34
; NumVgprs: 19
; ScratchSize: 0
; MemoryBound: 0
; FloatMode: 240
; IeeeMode: 1
; LDSByteSize: 0 bytes/workgroup (compile time only)
; SGPRBlocks: 4
; VGPRBlocks: 2
; NumSGPRsForWavesPerEU: 34
; NumVGPRsForWavesPerEU: 19
; Occupancy: 16
; WaveLimiterHint : 0
; COMPUTE_PGM_RSRC2:SCRATCH_EN: 0
; COMPUTE_PGM_RSRC2:USER_SGPR: 13
; COMPUTE_PGM_RSRC2:TRAP_HANDLER: 0
; COMPUTE_PGM_RSRC2:TGID_X_EN: 1
; COMPUTE_PGM_RSRC2:TGID_Y_EN: 1
; COMPUTE_PGM_RSRC2:TGID_Z_EN: 1
; COMPUTE_PGM_RSRC2:TIDIG_COMP_CNT: 0
	.section	.text._ZL15flash_attn_tileILi64ELi64ELi4ELi4ELb0EEvPKcS1_S1_S1_S1_PKiPfP15HIP_vector_typeIfLj2EEffffjfiS5_IjLj3EEiiiiiiiiiiiliiliiiiil,"axG",@progbits,_ZL15flash_attn_tileILi64ELi64ELi4ELi4ELb0EEvPKcS1_S1_S1_S1_PKiPfP15HIP_vector_typeIfLj2EEffffjfiS5_IjLj3EEiiiiiiiiiiiliiliiiiil,comdat
	.globl	_ZL15flash_attn_tileILi64ELi64ELi4ELi4ELb0EEvPKcS1_S1_S1_S1_PKiPfP15HIP_vector_typeIfLj2EEffffjfiS5_IjLj3EEiiiiiiiiiiiliiliiiiil ; -- Begin function _ZL15flash_attn_tileILi64ELi64ELi4ELi4ELb0EEvPKcS1_S1_S1_S1_PKiPfP15HIP_vector_typeIfLj2EEffffjfiS5_IjLj3EEiiiiiiiiiiiliiliiiiil
	.p2align	8
	.type	_ZL15flash_attn_tileILi64ELi64ELi4ELi4ELb0EEvPKcS1_S1_S1_S1_PKiPfP15HIP_vector_typeIfLj2EEffffjfiS5_IjLj3EEiiiiiiiiiiiliiliiiiil,@function
_ZL15flash_attn_tileILi64ELi64ELi4ELi4ELb0EEvPKcS1_S1_S1_S1_PKiPfP15HIP_vector_typeIfLj2EEffffjfiS5_IjLj3EEiiiiiiiiiiiliiliiiiil: ; @_ZL15flash_attn_tileILi64ELi64ELi4ELi4ELb0EEvPKcS1_S1_S1_S1_PKiPfP15HIP_vector_typeIfLj2EEffffjfiS5_IjLj3EEiiiiiiiiiiiliiliiiiil
; %bb.0:
	s_clause 0x1
	s_load_b128 s[36:39], s[0:1], 0x5c
	s_load_b64 s[40:41], s[0:1], 0x80
	s_mov_b64 s[42:43], 0
	s_waitcnt lgkmcnt(0)
	s_ashr_i32 s2, s39, 31
	s_delay_alu instid0(SALU_CYCLE_1) | instskip(NEXT) | instid1(SALU_CYCLE_1)
	s_lshr_b32 s2, s2, 30
	s_add_i32 s2, s39, s2
	s_delay_alu instid0(SALU_CYCLE_1) | instskip(NEXT) | instid1(SALU_CYCLE_1)
	s_ashr_i32 s2, s2, 2
	v_cvt_f32_u32_e32 v1, s2
	s_sub_i32 s4, 0, s2
	s_delay_alu instid0(VALU_DEP_1) | instskip(SKIP_2) | instid1(VALU_DEP_1)
	v_rcp_iflag_f32_e32 v1, v1
	s_waitcnt_depctr 0xfff
	v_mul_f32_e32 v1, 0x4f7ffffe, v1
	v_cvt_u32_f32_e32 v1, v1
	s_delay_alu instid0(VALU_DEP_1) | instskip(NEXT) | instid1(VALU_DEP_1)
	v_readfirstlane_b32 s3, v1
	s_mul_i32 s4, s4, s3
	s_delay_alu instid0(SALU_CYCLE_1) | instskip(NEXT) | instid1(SALU_CYCLE_1)
	s_mul_hi_u32 s4, s3, s4
	s_add_i32 s3, s3, s4
	s_delay_alu instid0(SALU_CYCLE_1) | instskip(NEXT) | instid1(SALU_CYCLE_1)
	s_mul_hi_u32 s3, s15, s3
	s_mul_i32 s4, s3, s2
	s_add_i32 s5, s3, 1
	s_sub_i32 s4, s15, s4
	s_delay_alu instid0(SALU_CYCLE_1)
	s_sub_i32 s6, s4, s2
	s_cmp_ge_u32 s4, s2
	s_cselect_b32 s3, s5, s3
	s_cselect_b32 s4, s6, s4
	s_add_i32 s5, s3, 1
	s_cmp_ge_u32 s4, s2
	s_cselect_b32 s33, s5, s3
	s_abs_i32 s2, s41
	s_abs_i32 s7, s39
	v_cvt_f32_u32_e32 v1, s2
	s_sub_i32 s4, 0, s2
	s_lshl_b32 s5, s15, 2
	s_mul_i32 s6, s33, s39
	s_delay_alu instid0(VALU_DEP_1) | instskip(SKIP_3) | instid1(VALU_DEP_1)
	v_rcp_iflag_f32_e32 v1, v1
	s_sub_i32 s34, s5, s6
	s_waitcnt_depctr 0xfff
	v_mul_f32_e32 v1, 0x4f7ffffe, v1
	v_cvt_u32_f32_e32 v1, v1
	s_delay_alu instid0(VALU_DEP_1) | instskip(NEXT) | instid1(VALU_DEP_1)
	v_readfirstlane_b32 s3, v1
	s_mul_i32 s4, s4, s3
	s_delay_alu instid0(SALU_CYCLE_1) | instskip(NEXT) | instid1(SALU_CYCLE_1)
	s_mul_hi_u32 s4, s3, s4
	s_add_i32 s3, s3, s4
	s_xor_b32 s4, s39, s41
	s_mul_hi_u32 s3, s7, s3
	s_ashr_i32 s4, s4, 31
	s_mul_i32 s5, s3, s2
	s_add_i32 s6, s3, 1
	s_sub_i32 s5, s7, s5
	s_delay_alu instid0(SALU_CYCLE_1)
	s_sub_i32 s7, s5, s2
	s_cmp_ge_u32 s5, s2
	s_cselect_b32 s3, s6, s3
	s_cselect_b32 s5, s7, s5
	s_add_i32 s6, s3, 1
	s_cmp_ge_u32 s5, s2
	s_cselect_b32 s2, s6, s3
	s_delay_alu instid0(SALU_CYCLE_1) | instskip(NEXT) | instid1(SALU_CYCLE_1)
	s_xor_b32 s2, s2, s4
	s_sub_i32 s9, s2, s4
	s_clause 0x1
	s_load_b512 s[16:31], s[0:1], 0x0
	s_load_b64 s[2:3], s[0:1], 0xb8
	s_abs_i32 s8, s9
	s_delay_alu instid0(SALU_CYCLE_1) | instskip(NEXT) | instid1(VALU_DEP_1)
	v_cvt_f32_u32_e32 v1, s8
	v_rcp_iflag_f32_e32 v1, v1
	s_waitcnt_depctr 0xfff
	v_mul_f32_e32 v1, 0x4f7ffffe, v1
	s_waitcnt lgkmcnt(0)
	s_cmp_eq_u64 s[22:23], 0
	s_delay_alu instid0(VALU_DEP_1) | instskip(NEXT) | instid1(VALU_DEP_1)
	v_cvt_u32_f32_e32 v1, v1
	v_readfirstlane_b32 s10, v1
	s_cbranch_scc1 .LBB24_2
; %bb.1:
	s_abs_i32 s2, s2
	s_abs_i32 s6, s33
	v_cvt_f32_u32_e32 v1, s2
	s_sub_i32 s5, 0, s2
	s_delay_alu instid0(VALU_DEP_1) | instskip(SKIP_2) | instid1(VALU_DEP_1)
	v_rcp_iflag_f32_e32 v1, v1
	s_waitcnt_depctr 0xfff
	v_mul_f32_e32 v1, 0x4f7ffffe, v1
	v_cvt_u32_f32_e32 v1, v1
	s_delay_alu instid0(VALU_DEP_1) | instskip(NEXT) | instid1(VALU_DEP_1)
	v_readfirstlane_b32 s4, v1
	s_mul_i32 s5, s5, s4
	s_delay_alu instid0(SALU_CYCLE_1) | instskip(NEXT) | instid1(SALU_CYCLE_1)
	s_mul_hi_u32 s5, s4, s5
	s_add_i32 s7, s4, s5
	s_load_b64 s[4:5], s[0:1], 0xc8
	s_mul_hi_u32 s7, s6, s7
	s_delay_alu instid0(SALU_CYCLE_1) | instskip(NEXT) | instid1(SALU_CYCLE_1)
	s_mul_i32 s7, s7, s2
	s_sub_i32 s6, s6, s7
	s_ashr_i32 s7, s33, 31
	s_sub_i32 s11, s6, s2
	s_cmp_ge_u32 s6, s2
	s_cselect_b32 s6, s11, s6
	s_delay_alu instid0(SALU_CYCLE_1) | instskip(SKIP_2) | instid1(SALU_CYCLE_1)
	s_sub_i32 s11, s6, s2
	s_cmp_ge_u32 s6, s2
	s_cselect_b32 s2, s11, s6
	s_xor_b32 s2, s2, s7
	s_delay_alu instid0(SALU_CYCLE_1)
	s_sub_i32 s2, s2, s7
	s_waitcnt lgkmcnt(0)
	s_mul_i32 s5, s2, s5
	s_mul_hi_u32 s6, s2, s4
	s_ashr_i32 s7, s2, 31
	s_add_i32 s5, s6, s5
	s_mul_i32 s7, s7, s4
	s_mul_i32 s2, s2, s4
	s_add_i32 s5, s5, s7
	s_add_u32 s42, s22, s2
	s_addc_u32 s43, s23, s5
.LBB24_2:
	v_bfe_u32 v6, v0, 10, 10
	s_load_b128 s[4:7], s[0:1], 0x70
	v_and_b32_e32 v12, 0x3ff, v0
	s_delay_alu instid0(VALU_DEP_2) | instskip(NEXT) | instid1(VALU_DEP_2)
	v_lshl_add_u32 v13, s13, 2, v6
	v_lshlrev_b32_e32 v24, 3, v12
	s_delay_alu instid0(VALU_DEP_2) | instskip(NEXT) | instid1(VALU_DEP_1)
	v_mul_hi_u32 v1, s36, v13
	v_add_nc_u32_e32 v1, v13, v1
	s_waitcnt lgkmcnt(0)
	s_mul_i32 s2, s33, s6
	s_mul_i32 s6, s34, s5
	s_delay_alu instid0(VALU_DEP_1)
	v_lshrrev_b32_e32 v1, s37, v1
	s_ashr_i32 s7, s2, 31
	s_add_u32 s2, s16, s2
	s_addc_u32 s7, s17, s7
	s_ashr_i32 s11, s6, 31
	v_mul_lo_u32 v1, v1, s38
	s_add_u32 s2, s2, s6
	s_addc_u32 s6, s7, s11
	s_ashr_i32 s7, s4, 31
	s_delay_alu instid0(SALU_CYCLE_1) | instskip(SKIP_2) | instid1(VALU_DEP_2)
	v_alignbit_b32 v3, s7, s4, 2
	s_lshr_b32 s4, s7, 2
	s_ashr_i32 s7, s5, 31
	v_sub_nc_u32_e32 v7, v13, v1
	s_delay_alu instid0(VALU_DEP_1) | instskip(NEXT) | instid1(VALU_DEP_1)
	v_mad_u64_u32 v[1:2], null, v3, v7, 0
	v_mad_u64_u32 v[3:4], null, s4, v7, v[2:3]
	v_alignbit_b32 v4, s7, s5, 2
	s_delay_alu instid0(VALU_DEP_2) | instskip(NEXT) | instid1(VALU_DEP_1)
	v_mov_b32_e32 v2, v3
	v_lshlrev_b64 v[0:1], 2, v[1:2]
	s_delay_alu instid0(VALU_DEP_1) | instskip(NEXT) | instid1(VALU_DEP_2)
	v_add_co_u32 v0, vcc_lo, s2, v0
	v_add_co_ci_u32_e32 v1, vcc_lo, s6, v1, vcc_lo
	s_mov_b32 s6, s5
	s_delay_alu instid0(VALU_DEP_2) | instskip(NEXT) | instid1(VALU_DEP_2)
	v_add_co_u32 v0, vcc_lo, v0, v24
	v_add_co_ci_u32_e32 v1, vcc_lo, 0, v1, vcc_lo
	s_and_b32 s2, s5, -4
	s_lshr_b64 s[4:5], s[6:7], 2
	s_lshr_b32 s6, s7, 2
	s_delay_alu instid0(VALU_DEP_1) | instskip(SKIP_4) | instid1(VALU_DEP_4)
	v_mad_u64_u32 v[2:3], null, v4, 12, v[0:1]
	v_add_co_u32 v8, vcc_lo, v0, s2
	s_lshl_b64 s[4:5], s[4:5], 3
	v_add_co_ci_u32_e32 v9, vcc_lo, s7, v1, vcc_lo
	v_add_co_u32 v10, vcc_lo, v0, s4
	v_mad_u64_u32 v[4:5], null, s6, 12, v[3:4]
	v_add_co_ci_u32_e32 v11, vcc_lo, s5, v1, vcc_lo
	s_load_b32 s2, s[0:1], 0x40
	s_cmp_eq_u64 s[26:27], 0
	s_delay_alu instid0(VALU_DEP_2)
	v_mov_b32_e32 v3, v4
	s_clause 0x3
	global_load_b64 v[0:1], v[0:1], off
	global_load_b64 v[4:5], v[8:9], off
	;; [unrolled: 1-line block ×4, first 2 shown]
	v_lshlrev_b32_e32 v11, 2, v12
	s_delay_alu instid0(VALU_DEP_1) | instskip(NEXT) | instid1(VALU_DEP_1)
	v_lshl_or_b32 v10, v6, 9, v11
	v_add_nc_u32_e32 v10, 0x5800, v10
	s_waitcnt vmcnt(3) lgkmcnt(0)
	v_fma_mixlo_f16 v0, v0, s2, 0
	s_waitcnt vmcnt(2)
	v_fma_mixlo_f16 v4, v4, s2, 0
	s_waitcnt vmcnt(1)
	;; [unrolled: 2-line block ×3, first 2 shown]
	v_fma_mixlo_f16 v2, v2, s2, 0
	v_fma_mixhi_f16 v0, v1, s2, 0
	v_fma_mixhi_f16 v4, v5, s2, 0
	;; [unrolled: 1-line block ×3, first 2 shown]
	s_delay_alu instid0(VALU_DEP_4)
	v_fma_mixhi_f16 v2, v3, s2, 0
	ds_store_2addr_b32 v10, v0, v4 offset1:32
	ds_store_2addr_b32 v10, v8, v2 offset0:64 offset1:96
	s_waitcnt lgkmcnt(0)
	s_barrier
	buffer_gl0_inv
	s_cbranch_scc1 .LBB24_4
; %bb.3:
	s_load_b32 s2, s[0:1], 0xd0
	s_mov_b32 s5, 0
	s_waitcnt lgkmcnt(0)
	s_mul_i32 s2, s2, s33
	s_delay_alu instid0(SALU_CYCLE_1) | instskip(NEXT) | instid1(SALU_CYCLE_1)
	s_add_i32 s4, s2, s13
	s_lshl_b64 s[4:5], s[4:5], 2
	s_delay_alu instid0(SALU_CYCLE_1)
	s_add_u32 s4, s26, s4
	s_addc_u32 s5, s27, s5
	s_load_b32 s40, s[4:5], 0x0
.LBB24_4:
	v_mbcnt_lo_u32_b32 v54, -1, 0
	s_lshl_b32 s26, s14, 7
	s_waitcnt lgkmcnt(0)
	s_cmp_lt_i32 s26, s40
	s_cbranch_scc1 .LBB24_6
; %bb.5:
	v_mbcnt_lo_u32_b32 v4, -1, 0
	v_mov_b32_e32 v55, 32
	s_mov_b32 s2, 0
	s_mov_b32 s4, 0xfeffffff
	s_delay_alu instid0(VALU_DEP_2)
	v_xor_b32_e32 v60, 16, v4
	v_xor_b32_e32 v59, 8, v4
	;; [unrolled: 1-line block ×5, first 2 shown]
	s_branch .LBB24_7
.LBB24_6:
	s_mov_b32 s2, -1
                                        ; implicit-def: $sgpr4
                                        ; implicit-def: $vgpr4
                                        ; implicit-def: $vgpr55
                                        ; implicit-def: $vgpr60
                                        ; implicit-def: $vgpr59
                                        ; implicit-def: $vgpr58
                                        ; implicit-def: $vgpr57
                                        ; implicit-def: $vgpr56
.LBB24_7:
	s_delay_alu instid0(SALU_CYCLE_1) | instskip(SKIP_2) | instid1(VALU_DEP_3)
	v_cndmask_b32_e64 v0, 0, 1, s2
	v_dual_mov_b32 v3, s4 :: v_dual_mov_b32 v40, s2
	v_dual_mov_b32 v103, s2 :: v_dual_mov_b32 v2, s4
	v_cmp_ne_u32_e32 vcc_lo, 1, v0
	v_dual_mov_b32 v1, s4 :: v_dual_mov_b32 v0, s4
	v_dual_mov_b32 v43, s2 :: v_dual_mov_b32 v42, s2
	v_dual_mov_b32 v41, s2 :: v_dual_mov_b32 v102, s2
	v_dual_mov_b32 v101, s2 :: v_dual_mov_b32 v100, s2
	s_cbranch_vccnz .LBB24_11
; %bb.8:
	s_clause 0x1
	s_load_b128 s[4:7], s[0:1], 0x98
	s_load_b64 s[12:13], s[0:1], 0x8c
	s_sub_i32 s2, 0, s8
	s_abs_i32 s11, s34
	s_mul_i32 s2, s2, s10
	s_ashr_i32 s15, s34, 31
	s_mul_hi_u32 s2, s10, s2
	s_ashr_i32 s9, s9, 31
	s_add_i32 s10, s10, s2
	s_ashr_i32 s2, s3, 1
	s_mul_hi_u32 s3, s11, s10
	s_ashr_i32 s10, s33, 31
	s_load_b64 s[16:17], s[0:1], 0xa8
	s_mul_i32 s22, s3, s8
	v_lshrrev_b32_e32 v0, 3, v12
	v_dual_mov_b32 v100, 0 :: v_dual_and_b32 v3, 28, v11
	v_mov_b32_e32 v101, 0
	v_mad_u64_u32 v[4:5], null, v7, s2, v[12:13]
	s_waitcnt lgkmcnt(0)
	s_ashr_i32 s27, s6, 2
	s_mul_i32 s5, s33, s5
	s_mul_hi_u32 s6, s33, s4
	s_ashr_i32 s35, s12, 2
	s_mul_i32 s12, s10, s4
	s_add_i32 s5, s6, s5
	s_mul_i32 s4, s33, s4
	s_add_i32 s5, s5, s12
	s_add_u32 s4, s18, s4
	s_addc_u32 s5, s19, s5
	s_xor_b32 s6, s15, s9
	s_sub_i32 s9, s11, s22
	s_add_i32 s11, s3, 1
	s_sub_i32 s12, s9, s8
	s_cmp_ge_u32 s9, s8
	v_lshl_add_u32 v0, v6, 2, v0
	s_cselect_b32 s3, s11, s3
	s_cselect_b32 s9, s12, s9
	s_add_i32 s11, s3, 1
	s_cmp_ge_u32 s9, s8
	s_mul_i32 s8, s33, s17
	s_cselect_b32 s3, s11, s3
	s_mul_hi_u32 s9, s33, s16
	s_xor_b32 s3, s3, s6
	s_mul_i32 s10, s10, s16
	s_sub_i32 s3, s3, s6
	v_mul_lo_u32 v1, s35, v0
	s_mul_i32 s6, s3, s13
	v_mul_lo_u32 v25, s27, v0
	s_ashr_i32 s12, s6, 31
	s_add_u32 s36, s4, s6
	s_addc_u32 s37, s5, s12
	s_add_i32 s4, s9, s8
	s_mul_i32 s11, s33, s16
	s_mul_i32 s3, s3, s7
	s_add_i32 s4, s4, s10
	s_add_u32 s5, s20, s11
	s_addc_u32 s4, s21, s4
	s_ashr_i32 s6, s3, 31
	s_add_u32 s41, s5, s3
	s_addc_u32 s44, s4, s6
	s_lshl_b32 s3, s35, 4
	s_lshl_b32 s4, s27, 4
	v_dual_mov_b32 v55, 32 :: v_dual_add_nc_u32 v8, s3, v1
	v_lshlrev_b32_e32 v2, 2, v3
	v_add_nc_u32_e32 v27, s4, v25
	v_lshl_add_u32 v63, v6, 9, 0x5800
	s_delay_alu instid0(VALU_DEP_4) | instskip(NEXT) | instid1(VALU_DEP_4)
	v_dual_mov_b32 v103, 0 :: v_dual_add_nc_u32 v14, s3, v8
	v_mad_u32_u24 v62, 0x90, v0, v2
	v_lshl_or_b32 v64, v0, 7, v2
	v_ashrrev_i32_e32 v2, 31, v1
	v_dual_mov_b32 v0, 0xfeffffff :: v_dual_add_nc_u32 v29, s4, v27
	v_add_nc_u32_e32 v16, s3, v14
	v_lshl_add_u32 v72, v6, 10, 0x4800
	s_delay_alu instid0(VALU_DEP_4)
	v_lshlrev_b64 v[5:6], 2, v[1:2]
	v_dual_mov_b32 v1, 0xfeffffff :: v_dual_mov_b32 v2, 0xfeffffff
	v_add_nc_u32_e32 v31, s4, v29
	v_add_nc_u32_e32 v18, s3, v16
	v_dual_mov_b32 v3, 0xfeffffff :: v_dual_lshlrev_b32 v80, 2, v3
	v_ashrrev_i32_e32 v9, 31, v8
	s_delay_alu instid0(VALU_DEP_4) | instskip(NEXT) | instid1(VALU_DEP_4)
	v_add_nc_u32_e32 v35, s4, v31
	v_add_nc_u32_e32 v20, s3, v18
	v_ashrrev_i32_e32 v15, 31, v14
	v_ashrrev_i32_e32 v17, 31, v16
	v_ashrrev_i32_e32 v19, 31, v18
	v_add_nc_u32_e32 v37, s4, v35
	v_add_nc_u32_e32 v22, s3, v20
	v_ashrrev_i32_e32 v21, 31, v20
	v_ashrrev_i32_e32 v26, 31, v25
	v_ashrrev_i32_e32 v28, 31, v27
	;; [unrolled: 5-line block ×3, first 2 shown]
	v_add_nc_u32_e32 v41, s4, v39
	v_ashrrev_i32_e32 v34, 31, v33
	v_ashrrev_i32_e32 v36, 31, v35
	;; [unrolled: 1-line block ×5, first 2 shown]
	v_lshlrev_b64 v[7:8], 2, v[8:9]
	v_lshlrev_b64 v[9:10], 2, v[14:15]
	;; [unrolled: 1-line block ×7, first 2 shown]
	v_add_nc_u32_e32 v81, v72, v24
	v_lshlrev_b64 v[24:25], 2, v[25:26]
	v_lshlrev_b64 v[26:27], 2, v[27:28]
	;; [unrolled: 1-line block ×8, first 2 shown]
	v_mul_u32_u24_e32 v61, 0x90, v12
	v_dual_mov_b32 v102, 0 :: v_dual_add_nc_u32 v65, 0x900, v62
	v_dual_mov_b32 v41, 0 :: v_dual_add_nc_u32 v66, 0x1200, v62
	;; [unrolled: 1-line block ×5, first 2 shown]
	v_add_nc_u32_e32 v70, 0x3600, v62
	v_add_nc_u32_e32 v71, 0x3f00, v62
	;; [unrolled: 1-line block ×9, first 2 shown]
	v_xor_b32_e32 v60, 16, v54
	v_xor_b32_e32 v59, 8, v54
	;; [unrolled: 1-line block ×5, first 2 shown]
	v_add_nc_u32_e32 v82, 0x400, v11
	v_add_nc_u32_e32 v83, 0x800, v11
	;; [unrolled: 1-line block ×15, first 2 shown]
	s_add_u32 s22, s0, 0xd0
	s_addc_u32 s23, s1, 0
.LBB24_9:                               ; =>This Inner Loop Header: Depth=1
	v_cmp_gt_i32_e32 vcc_lo, 32, v60
	v_dual_mov_b32 v105, v2 :: v_dual_mov_b32 v106, v1
	v_dual_mov_b32 v99, v41 :: v_dual_mov_b32 v104, v3
	v_dual_cndmask_b32 v1, v54, v60 :: v_dual_mov_b32 v124, v40
	v_cmp_gt_i32_e32 vcc_lo, 32, v59
	s_mul_hi_i32 s3, s26, s35
	s_mul_i32 s2, s26, s35
	s_delay_alu instid0(VALU_DEP_2)
	v_lshlrev_b32_e32 v129, 2, v1
	v_dual_mov_b32 v97, v43 :: v_dual_mov_b32 v98, v42
	v_cndmask_b32_e32 v2, v54, v59, vcc_lo
	v_cmp_gt_i32_e32 vcc_lo, 32, v58
	s_lshl_b64 s[2:3], s[2:3], 2
	v_dual_mov_b32 v107, v0 :: v_dual_mov_b32 v108, 0
	v_dual_mov_b32 v123, 0 :: v_dual_add_nc_u32 v0, s26, v4
	v_cndmask_b32_e32 v3, v54, v58, vcc_lo
	v_cmp_gt_i32_e32 vcc_lo, 32, v57
	v_lshlrev_b32_e32 v128, 2, v2
	s_mul_hi_i32 s5, s26, s27
	s_mul_i32 s4, s26, s27
	s_add_u32 s8, s36, s2
	v_cndmask_b32_e32 v41, v54, v57, vcc_lo
	v_cmp_gt_i32_e32 vcc_lo, 32, v56
	s_addc_u32 s9, s37, s3
	s_lshl_b64 s[10:11], s[4:5], 2
	v_add_co_u32 v40, s3, s8, v14
	v_lshlrev_b32_e32 v126, 2, v41
	v_dual_cndmask_b32 v42, v54, v56 :: v_dual_lshlrev_b32 v127, 2, v3
	v_add_co_u32 v2, vcc_lo, s8, v7
	v_add_co_u32 v3, s2, s8, v9
	s_delay_alu instid0(VALU_DEP_3)
	v_lshlrev_b32_e32 v125, 2, v42
	v_add_co_u32 v41, s4, s8, v16
	v_add_co_u32 v42, s5, s8, v18
	;; [unrolled: 1-line block ×5, first 2 shown]
	s_delay_alu instid0(VALU_DEP_1)
	v_add_co_ci_u32_e64 v48, s8, s9, v6, s8
	v_ashrrev_i32_e32 v1, 31, v0
	s_add_u32 s8, s41, s10
	v_add_co_ci_u32_e32 v50, vcc_lo, s9, v8, vcc_lo
	v_add_co_ci_u32_e64 v51, vcc_lo, s9, v10, s2
	v_add_co_ci_u32_e64 v133, vcc_lo, s9, v15, s3
	v_add_co_ci_u32_e64 v134, vcc_lo, s9, v17, s4
	v_add_co_ci_u32_e64 v137, vcc_lo, s9, v19, s5
	v_add_co_ci_u32_e64 v138, vcc_lo, s9, v21, s6
	v_add_co_ci_u32_e64 v141, vcc_lo, s9, v23, s7
	s_addc_u32 s9, s44, s11
	v_add_co_u32 v142, vcc_lo, s8, v26
	v_add_co_u32 v145, s2, s8, v28
	v_add_co_u32 v146, s3, s8, v30
	;; [unrolled: 1-line block ×7, first 2 shown]
	s_delay_alu instid0(VALU_DEP_1)
	v_add_co_ci_u32_e64 v158, s8, s9, v25, s8
	v_lshlrev_b64 v[52:53], 1, v[0:1]
	v_add_co_ci_u32_e32 v161, vcc_lo, s9, v27, vcc_lo
	v_add_co_ci_u32_e64 v162, vcc_lo, s9, v29, s2
	v_add_co_ci_u32_e64 v1, vcc_lo, s9, v31, s3
	;; [unrolled: 1-line block ×6, first 2 shown]
	v_add_co_u32 v131, s8, v46, v80
	v_add_co_u32 v135, vcc_lo, v2, v80
	v_add_co_u32 v139, s2, v3, v80
	v_add_co_ci_u32_e64 v132, s8, 0, v48, s8
	v_add_co_u32 v143, s3, v40, v80
	v_add_co_u32 v155, s6, v43, v80
	;; [unrolled: 1-line block ×3, first 2 shown]
	v_add_co_ci_u32_e32 v136, vcc_lo, 0, v50, vcc_lo
	v_add_co_u32 v147, s4, v41, v80
	v_add_co_u32 v151, s5, v42, v80
	v_add_co_ci_u32_e64 v140, vcc_lo, 0, v51, s2
	v_add_co_ci_u32_e64 v144, vcc_lo, 0, v133, s3
	;; [unrolled: 1-line block ×4, first 2 shown]
	v_add_co_u32 v2, s6, v142, v80
	v_add_co_u32 v40, s7, v145, v80
	;; [unrolled: 1-line block ×3, first 2 shown]
	v_add_co_ci_u32_e64 v148, vcc_lo, 0, v134, s4
	v_add_co_ci_u32_e64 v152, vcc_lo, 0, v137, s5
	v_add_co_u32 v42, vcc_lo, v146, v80
	v_add_co_u32 v44, s2, v149, v80
	v_add_co_u32 v46, s3, v150, v80
	;; [unrolled: 1-line block ×4, first 2 shown]
	v_add_co_ci_u32_e64 v51, s8, 0, v158, s8
	v_add_co_ci_u32_e64 v3, s6, 0, v161, s6
	;; [unrolled: 1-line block ×3, first 2 shown]
	s_clause 0x7
	global_load_b128 v[131:134], v[131:132], off
	global_load_b128 v[135:138], v[135:136], off
	;; [unrolled: 1-line block ×8, first 2 shown]
	v_dual_mov_b32 v109, 0 :: v_dual_mov_b32 v110, 0
	v_dual_mov_b32 v111, 0 :: v_dual_mov_b32 v112, 0
	v_dual_mov_b32 v113, 0 :: v_dual_mov_b32 v114, 0
	v_dual_mov_b32 v115, 0 :: v_dual_mov_b32 v116, 0
	v_dual_mov_b32 v117, 0 :: v_dual_mov_b32 v118, 0
	v_dual_mov_b32 v119, 0 :: v_dual_mov_b32 v120, 0
	v_dual_mov_b32 v121, 0 :: v_dual_mov_b32 v122, 0
	v_add_co_u32 v52, s6, s42, v52
	s_delay_alu instid0(VALU_DEP_1)
	v_add_co_ci_u32_e64 v53, s6, s43, v53, s6
	v_add_co_ci_u32_e32 v43, vcc_lo, 0, v1, vcc_lo
	v_add_co_ci_u32_e64 v45, vcc_lo, 0, v45, s2
	v_add_co_ci_u32_e64 v1, vcc_lo, 0, v130, s5
	v_add_co_ci_u32_e64 v47, vcc_lo, 0, v47, s3
	v_add_co_ci_u32_e64 v49, vcc_lo, 0, v49, s4
	s_waitcnt vmcnt(7)
	ds_store_b128 v62, v[131:134]
	s_waitcnt vmcnt(6)
	ds_store_b128 v65, v[135:138]
	;; [unrolled: 2-line block ×8, first 2 shown]
	s_waitcnt lgkmcnt(0)
	s_barrier
	buffer_gl0_inv
	ds_load_b128 v[131:134], v61
	ds_load_b128 v[135:138], v63
	ds_load_b128 v[139:142], v63 offset:128
	ds_load_b128 v[143:146], v63 offset:256
	;; [unrolled: 1-line block ×6, first 2 shown]
	s_waitcnt lgkmcnt(6)
	;;#ASMSTART
	v_dot2_f32_f16 v108, v131, v135, v108
	;;#ASMEND
	;;#ASMSTART
	v_dot2_f32_f16 v108, v132, v136, v108
	;;#ASMEND
	;;#ASMSTART
	v_dot2_f32_f16 v108, v133, v137, v108
	;;#ASMEND
	;;#ASMSTART
	v_dot2_f32_f16 v108, v134, v138, v108
	;;#ASMEND
	s_waitcnt lgkmcnt(5)
	;;#ASMSTART
	v_dot2_f32_f16 v109, v131, v139, v109
	;;#ASMEND
	;;#ASMSTART
	v_dot2_f32_f16 v109, v132, v140, v109
	;;#ASMEND
	;;#ASMSTART
	v_dot2_f32_f16 v109, v133, v141, v109
	;;#ASMEND
	;;#ASMSTART
	v_dot2_f32_f16 v109, v134, v142, v109
	;;#ASMEND
	;; [unrolled: 13-line block ×5, first 2 shown]
	;;#ASMSTART
	v_dot2_f32_f16 v113, v151, v139, v113
	;;#ASMEND
	;;#ASMSTART
	v_dot2_f32_f16 v113, v152, v140, v113
	;;#ASMEND
	;; [unrolled: 3-line block ×12, first 2 shown]
	s_waitcnt lgkmcnt(1)
	;;#ASMSTART
	v_dot2_f32_f16 v116, v155, v135, v116
	;;#ASMEND
	;;#ASMSTART
	v_dot2_f32_f16 v116, v156, v136, v116
	;;#ASMEND
	;; [unrolled: 3-line block ×16, first 2 shown]
	s_waitcnt lgkmcnt(0)
	;;#ASMSTART
	v_dot2_f32_f16 v120, v159, v135, v120
	;;#ASMEND
	;;#ASMSTART
	v_dot2_f32_f16 v120, v160, v136, v120
	;;#ASMEND
	;;#ASMSTART
	v_dot2_f32_f16 v120, v161, v137, v120
	;;#ASMEND
	;;#ASMSTART
	v_dot2_f32_f16 v120, v162, v138, v120
	;;#ASMEND
	;;#ASMSTART
	v_dot2_f32_f16 v121, v159, v139, v121
	;;#ASMEND
	;;#ASMSTART
	v_dot2_f32_f16 v121, v160, v140, v121
	;;#ASMEND
	;;#ASMSTART
	v_dot2_f32_f16 v121, v161, v141, v121
	;;#ASMEND
	;;#ASMSTART
	v_dot2_f32_f16 v121, v162, v142, v121
	;;#ASMEND
	;;#ASMSTART
	v_dot2_f32_f16 v122, v159, v143, v122
	;;#ASMEND
	;;#ASMSTART
	v_dot2_f32_f16 v122, v160, v144, v122
	;;#ASMEND
	;;#ASMSTART
	v_dot2_f32_f16 v122, v161, v145, v122
	;;#ASMEND
	;;#ASMSTART
	v_dot2_f32_f16 v122, v162, v146, v122
	;;#ASMEND
	;;#ASMSTART
	v_dot2_f32_f16 v123, v159, v147, v123
	;;#ASMEND
	;;#ASMSTART
	v_dot2_f32_f16 v123, v160, v148, v123
	;;#ASMEND
	;;#ASMSTART
	v_dot2_f32_f16 v123, v161, v149, v123
	;;#ASMEND
	;;#ASMSTART
	v_dot2_f32_f16 v123, v162, v150, v123
	;;#ASMEND
	ds_load_b128 v[131:134], v61 offset:16
	ds_load_b128 v[135:138], v63 offset:16
	;; [unrolled: 1-line block ×8, first 2 shown]
	s_waitcnt lgkmcnt(6)
	;;#ASMSTART
	v_dot2_f32_f16 v108, v131, v135, v108
	;;#ASMEND
	;;#ASMSTART
	v_dot2_f32_f16 v108, v132, v136, v108
	;;#ASMEND
	;;#ASMSTART
	v_dot2_f32_f16 v108, v133, v137, v108
	;;#ASMEND
	;;#ASMSTART
	v_dot2_f32_f16 v108, v134, v138, v108
	;;#ASMEND
	s_waitcnt lgkmcnt(5)
	;;#ASMSTART
	v_dot2_f32_f16 v109, v131, v139, v109
	;;#ASMEND
	;;#ASMSTART
	v_dot2_f32_f16 v109, v132, v140, v109
	;;#ASMEND
	;;#ASMSTART
	v_dot2_f32_f16 v109, v133, v141, v109
	;;#ASMEND
	;;#ASMSTART
	v_dot2_f32_f16 v109, v134, v142, v109
	;;#ASMEND
	;; [unrolled: 13-line block ×5, first 2 shown]
	;;#ASMSTART
	v_dot2_f32_f16 v113, v151, v139, v113
	;;#ASMEND
	;;#ASMSTART
	v_dot2_f32_f16 v113, v152, v140, v113
	;;#ASMEND
	;; [unrolled: 3-line block ×12, first 2 shown]
	s_waitcnt lgkmcnt(1)
	;;#ASMSTART
	v_dot2_f32_f16 v116, v155, v135, v116
	;;#ASMEND
	;;#ASMSTART
	v_dot2_f32_f16 v116, v156, v136, v116
	;;#ASMEND
	;; [unrolled: 3-line block ×16, first 2 shown]
	s_waitcnt lgkmcnt(0)
	;;#ASMSTART
	v_dot2_f32_f16 v120, v159, v135, v120
	;;#ASMEND
	;;#ASMSTART
	v_dot2_f32_f16 v120, v160, v136, v120
	;;#ASMEND
	;; [unrolled: 3-line block ×16, first 2 shown]
	ds_load_b128 v[131:134], v61 offset:32
	ds_load_b128 v[135:138], v63 offset:32
	;; [unrolled: 1-line block ×8, first 2 shown]
	s_waitcnt lgkmcnt(6)
	;;#ASMSTART
	v_dot2_f32_f16 v108, v131, v135, v108
	;;#ASMEND
	;;#ASMSTART
	v_dot2_f32_f16 v108, v132, v136, v108
	;;#ASMEND
	;;#ASMSTART
	v_dot2_f32_f16 v108, v133, v137, v108
	;;#ASMEND
	;;#ASMSTART
	v_dot2_f32_f16 v108, v134, v138, v108
	;;#ASMEND
	s_waitcnt lgkmcnt(5)
	;;#ASMSTART
	v_dot2_f32_f16 v109, v131, v139, v109
	;;#ASMEND
	;;#ASMSTART
	v_dot2_f32_f16 v109, v132, v140, v109
	;;#ASMEND
	;;#ASMSTART
	v_dot2_f32_f16 v109, v133, v141, v109
	;;#ASMEND
	;;#ASMSTART
	v_dot2_f32_f16 v109, v134, v142, v109
	;;#ASMEND
	;; [unrolled: 13-line block ×5, first 2 shown]
	;;#ASMSTART
	v_dot2_f32_f16 v113, v151, v139, v113
	;;#ASMEND
	;;#ASMSTART
	v_dot2_f32_f16 v113, v152, v140, v113
	;;#ASMEND
	;;#ASMSTART
	v_dot2_f32_f16 v113, v153, v141, v113
	;;#ASMEND
	;;#ASMSTART
	v_dot2_f32_f16 v113, v154, v142, v113
	;;#ASMEND
	;;#ASMSTART
	v_dot2_f32_f16 v114, v151, v143, v114
	;;#ASMEND
	;;#ASMSTART
	v_dot2_f32_f16 v114, v152, v144, v114
	;;#ASMEND
	;;#ASMSTART
	v_dot2_f32_f16 v114, v153, v145, v114
	;;#ASMEND
	;;#ASMSTART
	v_dot2_f32_f16 v114, v154, v146, v114
	;;#ASMEND
	;;#ASMSTART
	v_dot2_f32_f16 v115, v151, v147, v115
	;;#ASMEND
	;;#ASMSTART
	v_dot2_f32_f16 v115, v152, v148, v115
	;;#ASMEND
	;;#ASMSTART
	v_dot2_f32_f16 v115, v153, v149, v115
	;;#ASMEND
	;;#ASMSTART
	v_dot2_f32_f16 v115, v154, v150, v115
	;;#ASMEND
	s_waitcnt lgkmcnt(1)
	;;#ASMSTART
	v_dot2_f32_f16 v116, v155, v135, v116
	;;#ASMEND
	;;#ASMSTART
	v_dot2_f32_f16 v116, v156, v136, v116
	;;#ASMEND
	;; [unrolled: 3-line block ×16, first 2 shown]
	s_waitcnt lgkmcnt(0)
	;;#ASMSTART
	v_dot2_f32_f16 v120, v159, v135, v120
	;;#ASMEND
	;;#ASMSTART
	v_dot2_f32_f16 v120, v160, v136, v120
	;;#ASMEND
	;; [unrolled: 3-line block ×16, first 2 shown]
	ds_load_b128 v[131:134], v61 offset:48
	ds_load_b128 v[135:138], v63 offset:48
	;; [unrolled: 1-line block ×8, first 2 shown]
	s_waitcnt lgkmcnt(6)
	;;#ASMSTART
	v_dot2_f32_f16 v108, v131, v135, v108
	;;#ASMEND
	;;#ASMSTART
	v_dot2_f32_f16 v108, v132, v136, v108
	;;#ASMEND
	;;#ASMSTART
	v_dot2_f32_f16 v108, v133, v137, v108
	;;#ASMEND
	;;#ASMSTART
	v_dot2_f32_f16 v108, v134, v138, v108
	;;#ASMEND
	s_waitcnt lgkmcnt(5)
	;;#ASMSTART
	v_dot2_f32_f16 v109, v131, v139, v109
	;;#ASMEND
	;;#ASMSTART
	v_dot2_f32_f16 v109, v132, v140, v109
	;;#ASMEND
	;;#ASMSTART
	v_dot2_f32_f16 v109, v133, v141, v109
	;;#ASMEND
	;;#ASMSTART
	v_dot2_f32_f16 v109, v134, v142, v109
	;;#ASMEND
	;; [unrolled: 13-line block ×5, first 2 shown]
	;;#ASMSTART
	v_dot2_f32_f16 v113, v151, v139, v113
	;;#ASMEND
	;;#ASMSTART
	v_dot2_f32_f16 v113, v152, v140, v113
	;;#ASMEND
	;; [unrolled: 3-line block ×12, first 2 shown]
	s_waitcnt lgkmcnt(1)
	;;#ASMSTART
	v_dot2_f32_f16 v116, v155, v135, v116
	;;#ASMEND
	;;#ASMSTART
	v_dot2_f32_f16 v116, v156, v136, v116
	;;#ASMEND
	;; [unrolled: 3-line block ×16, first 2 shown]
	s_waitcnt lgkmcnt(0)
	;;#ASMSTART
	v_dot2_f32_f16 v120, v159, v135, v120
	;;#ASMEND
	;;#ASMSTART
	v_dot2_f32_f16 v120, v160, v136, v120
	;;#ASMEND
	;; [unrolled: 3-line block ×16, first 2 shown]
	ds_load_b128 v[131:134], v61 offset:64
	ds_load_b128 v[135:138], v63 offset:64
	;; [unrolled: 1-line block ×8, first 2 shown]
	s_waitcnt lgkmcnt(6)
	;;#ASMSTART
	v_dot2_f32_f16 v108, v131, v135, v108
	;;#ASMEND
	;;#ASMSTART
	v_dot2_f32_f16 v108, v132, v136, v108
	;;#ASMEND
	;;#ASMSTART
	v_dot2_f32_f16 v108, v133, v137, v108
	;;#ASMEND
	;;#ASMSTART
	v_dot2_f32_f16 v108, v134, v138, v108
	;;#ASMEND
	s_waitcnt lgkmcnt(5)
	;;#ASMSTART
	v_dot2_f32_f16 v109, v131, v139, v109
	;;#ASMEND
	;;#ASMSTART
	v_dot2_f32_f16 v109, v132, v140, v109
	;;#ASMEND
	;;#ASMSTART
	v_dot2_f32_f16 v109, v133, v141, v109
	;;#ASMEND
	;;#ASMSTART
	v_dot2_f32_f16 v109, v134, v142, v109
	;;#ASMEND
	;; [unrolled: 13-line block ×5, first 2 shown]
	;;#ASMSTART
	v_dot2_f32_f16 v113, v151, v139, v113
	;;#ASMEND
	;;#ASMSTART
	v_dot2_f32_f16 v113, v152, v140, v113
	;;#ASMEND
	;;#ASMSTART
	v_dot2_f32_f16 v113, v153, v141, v113
	;;#ASMEND
	;;#ASMSTART
	v_dot2_f32_f16 v113, v154, v142, v113
	;;#ASMEND
	;;#ASMSTART
	v_dot2_f32_f16 v114, v151, v143, v114
	;;#ASMEND
	;;#ASMSTART
	v_dot2_f32_f16 v114, v152, v144, v114
	;;#ASMEND
	;;#ASMSTART
	v_dot2_f32_f16 v114, v153, v145, v114
	;;#ASMEND
	;;#ASMSTART
	v_dot2_f32_f16 v114, v154, v146, v114
	;;#ASMEND
	;;#ASMSTART
	v_dot2_f32_f16 v115, v151, v147, v115
	;;#ASMEND
	;;#ASMSTART
	v_dot2_f32_f16 v115, v152, v148, v115
	;;#ASMEND
	;;#ASMSTART
	v_dot2_f32_f16 v115, v153, v149, v115
	;;#ASMEND
	;;#ASMSTART
	v_dot2_f32_f16 v115, v154, v150, v115
	;;#ASMEND
	s_waitcnt lgkmcnt(1)
	;;#ASMSTART
	v_dot2_f32_f16 v116, v155, v135, v116
	;;#ASMEND
	;;#ASMSTART
	v_dot2_f32_f16 v116, v156, v136, v116
	;;#ASMEND
	;; [unrolled: 3-line block ×16, first 2 shown]
	s_waitcnt lgkmcnt(0)
	;;#ASMSTART
	v_dot2_f32_f16 v120, v159, v135, v120
	;;#ASMEND
	;;#ASMSTART
	v_dot2_f32_f16 v120, v160, v136, v120
	;;#ASMEND
	;;#ASMSTART
	v_dot2_f32_f16 v120, v161, v137, v120
	;;#ASMEND
	;;#ASMSTART
	v_dot2_f32_f16 v120, v162, v138, v120
	;;#ASMEND
	;;#ASMSTART
	v_dot2_f32_f16 v121, v159, v139, v121
	;;#ASMEND
	;;#ASMSTART
	v_dot2_f32_f16 v121, v160, v140, v121
	;;#ASMEND
	;;#ASMSTART
	v_dot2_f32_f16 v121, v161, v141, v121
	;;#ASMEND
	;;#ASMSTART
	v_dot2_f32_f16 v121, v162, v142, v121
	;;#ASMEND
	;;#ASMSTART
	v_dot2_f32_f16 v122, v159, v143, v122
	;;#ASMEND
	;;#ASMSTART
	v_dot2_f32_f16 v122, v160, v144, v122
	;;#ASMEND
	;;#ASMSTART
	v_dot2_f32_f16 v122, v161, v145, v122
	;;#ASMEND
	;;#ASMSTART
	v_dot2_f32_f16 v122, v162, v146, v122
	;;#ASMEND
	;;#ASMSTART
	v_dot2_f32_f16 v123, v159, v147, v123
	;;#ASMEND
	;;#ASMSTART
	v_dot2_f32_f16 v123, v160, v148, v123
	;;#ASMEND
	;;#ASMSTART
	v_dot2_f32_f16 v123, v161, v149, v123
	;;#ASMEND
	;;#ASMSTART
	v_dot2_f32_f16 v123, v162, v150, v123
	;;#ASMEND
	ds_load_b128 v[131:134], v61 offset:80
	ds_load_b128 v[135:138], v63 offset:80
	;; [unrolled: 1-line block ×8, first 2 shown]
	s_waitcnt lgkmcnt(6)
	;;#ASMSTART
	v_dot2_f32_f16 v108, v131, v135, v108
	;;#ASMEND
	;;#ASMSTART
	v_dot2_f32_f16 v108, v132, v136, v108
	;;#ASMEND
	;;#ASMSTART
	v_dot2_f32_f16 v108, v133, v137, v108
	;;#ASMEND
	;;#ASMSTART
	v_dot2_f32_f16 v108, v134, v138, v108
	;;#ASMEND
	s_waitcnt lgkmcnt(5)
	;;#ASMSTART
	v_dot2_f32_f16 v109, v131, v139, v109
	;;#ASMEND
	;;#ASMSTART
	v_dot2_f32_f16 v109, v132, v140, v109
	;;#ASMEND
	;;#ASMSTART
	v_dot2_f32_f16 v109, v133, v141, v109
	;;#ASMEND
	;;#ASMSTART
	v_dot2_f32_f16 v109, v134, v142, v109
	;;#ASMEND
	s_waitcnt lgkmcnt(4)
	;;#ASMSTART
	v_dot2_f32_f16 v110, v131, v143, v110
	;;#ASMEND
	;;#ASMSTART
	v_dot2_f32_f16 v110, v132, v144, v110
	;;#ASMEND
	;;#ASMSTART
	v_dot2_f32_f16 v110, v133, v145, v110
	;;#ASMEND
	;;#ASMSTART
	v_dot2_f32_f16 v110, v134, v146, v110
	;;#ASMEND
	s_waitcnt lgkmcnt(3)
	;;#ASMSTART
	v_dot2_f32_f16 v111, v131, v147, v111
	;;#ASMEND
	;;#ASMSTART
	v_dot2_f32_f16 v111, v132, v148, v111
	;;#ASMEND
	;;#ASMSTART
	v_dot2_f32_f16 v111, v133, v149, v111
	;;#ASMEND
	;;#ASMSTART
	v_dot2_f32_f16 v111, v134, v150, v111
	;;#ASMEND
	s_waitcnt lgkmcnt(2)
	;;#ASMSTART
	v_dot2_f32_f16 v112, v151, v135, v112
	;;#ASMEND
	;;#ASMSTART
	v_dot2_f32_f16 v112, v152, v136, v112
	;;#ASMEND
	;;#ASMSTART
	v_dot2_f32_f16 v112, v153, v137, v112
	;;#ASMEND
	;;#ASMSTART
	v_dot2_f32_f16 v112, v154, v138, v112
	;;#ASMEND
	;;#ASMSTART
	v_dot2_f32_f16 v113, v151, v139, v113
	;;#ASMEND
	;;#ASMSTART
	v_dot2_f32_f16 v113, v152, v140, v113
	;;#ASMEND
	;;#ASMSTART
	v_dot2_f32_f16 v113, v153, v141, v113
	;;#ASMEND
	;;#ASMSTART
	v_dot2_f32_f16 v113, v154, v142, v113
	;;#ASMEND
	;;#ASMSTART
	v_dot2_f32_f16 v114, v151, v143, v114
	;;#ASMEND
	;;#ASMSTART
	v_dot2_f32_f16 v114, v152, v144, v114
	;;#ASMEND
	;;#ASMSTART
	v_dot2_f32_f16 v114, v153, v145, v114
	;;#ASMEND
	;;#ASMSTART
	v_dot2_f32_f16 v114, v154, v146, v114
	;;#ASMEND
	;;#ASMSTART
	v_dot2_f32_f16 v115, v151, v147, v115
	;;#ASMEND
	;;#ASMSTART
	v_dot2_f32_f16 v115, v152, v148, v115
	;;#ASMEND
	;;#ASMSTART
	v_dot2_f32_f16 v115, v153, v149, v115
	;;#ASMEND
	;;#ASMSTART
	v_dot2_f32_f16 v115, v154, v150, v115
	;;#ASMEND
	s_waitcnt lgkmcnt(1)
	;;#ASMSTART
	v_dot2_f32_f16 v116, v155, v135, v116
	;;#ASMEND
	;;#ASMSTART
	v_dot2_f32_f16 v116, v156, v136, v116
	;;#ASMEND
	;; [unrolled: 3-line block ×16, first 2 shown]
	s_waitcnt lgkmcnt(0)
	;;#ASMSTART
	v_dot2_f32_f16 v120, v159, v135, v120
	;;#ASMEND
	;;#ASMSTART
	v_dot2_f32_f16 v120, v160, v136, v120
	;;#ASMEND
	;; [unrolled: 3-line block ×16, first 2 shown]
	ds_load_b128 v[131:134], v61 offset:96
	ds_load_b128 v[135:138], v63 offset:96
	;; [unrolled: 1-line block ×8, first 2 shown]
	s_waitcnt lgkmcnt(6)
	;;#ASMSTART
	v_dot2_f32_f16 v108, v131, v135, v108
	;;#ASMEND
	;;#ASMSTART
	v_dot2_f32_f16 v108, v132, v136, v108
	;;#ASMEND
	;;#ASMSTART
	v_dot2_f32_f16 v108, v133, v137, v108
	;;#ASMEND
	;;#ASMSTART
	v_dot2_f32_f16 v108, v134, v138, v108
	;;#ASMEND
	s_waitcnt lgkmcnt(5)
	;;#ASMSTART
	v_dot2_f32_f16 v109, v131, v139, v109
	;;#ASMEND
	;;#ASMSTART
	v_dot2_f32_f16 v109, v132, v140, v109
	;;#ASMEND
	;;#ASMSTART
	v_dot2_f32_f16 v109, v133, v141, v109
	;;#ASMEND
	;;#ASMSTART
	v_dot2_f32_f16 v109, v134, v142, v109
	;;#ASMEND
	;; [unrolled: 13-line block ×5, first 2 shown]
	;;#ASMSTART
	v_dot2_f32_f16 v113, v151, v139, v113
	;;#ASMEND
	;;#ASMSTART
	v_dot2_f32_f16 v113, v152, v140, v113
	;;#ASMEND
	;; [unrolled: 3-line block ×12, first 2 shown]
	s_waitcnt lgkmcnt(1)
	;;#ASMSTART
	v_dot2_f32_f16 v116, v155, v135, v116
	;;#ASMEND
	;;#ASMSTART
	v_dot2_f32_f16 v116, v156, v136, v116
	;;#ASMEND
	;; [unrolled: 3-line block ×16, first 2 shown]
	s_waitcnt lgkmcnt(0)
	;;#ASMSTART
	v_dot2_f32_f16 v120, v159, v135, v120
	;;#ASMEND
	;;#ASMSTART
	v_dot2_f32_f16 v120, v160, v136, v120
	;;#ASMEND
	;; [unrolled: 3-line block ×16, first 2 shown]
	ds_load_b128 v[131:134], v61 offset:112
	ds_load_b128 v[135:138], v63 offset:112
	;; [unrolled: 1-line block ×8, first 2 shown]
	s_waitcnt lgkmcnt(6)
	;;#ASMSTART
	v_dot2_f32_f16 v108, v131, v135, v108
	;;#ASMEND
	;;#ASMSTART
	v_dot2_f32_f16 v108, v132, v136, v108
	;;#ASMEND
	;;#ASMSTART
	v_dot2_f32_f16 v108, v133, v137, v108
	;;#ASMEND
	;;#ASMSTART
	v_dot2_f32_f16 v108, v134, v138, v108
	;;#ASMEND
	s_waitcnt lgkmcnt(5)
	;;#ASMSTART
	v_dot2_f32_f16 v109, v131, v139, v109
	;;#ASMEND
	;;#ASMSTART
	v_dot2_f32_f16 v109, v132, v140, v109
	;;#ASMEND
	;;#ASMSTART
	v_dot2_f32_f16 v109, v133, v141, v109
	;;#ASMEND
	;;#ASMSTART
	v_dot2_f32_f16 v109, v134, v142, v109
	;;#ASMEND
	;; [unrolled: 13-line block ×5, first 2 shown]
	;;#ASMSTART
	v_dot2_f32_f16 v113, v151, v139, v113
	;;#ASMEND
	;;#ASMSTART
	v_dot2_f32_f16 v113, v152, v140, v113
	;;#ASMEND
	;; [unrolled: 3-line block ×12, first 2 shown]
	s_waitcnt lgkmcnt(1)
	;;#ASMSTART
	v_dot2_f32_f16 v116, v155, v135, v116
	;;#ASMEND
	;;#ASMSTART
	v_dot2_f32_f16 v116, v156, v136, v116
	;;#ASMEND
	;; [unrolled: 3-line block ×16, first 2 shown]
	s_waitcnt lgkmcnt(0)
	;;#ASMSTART
	v_dot2_f32_f16 v120, v159, v135, v120
	;;#ASMEND
	;;#ASMSTART
	v_dot2_f32_f16 v120, v160, v136, v120
	;;#ASMEND
	;; [unrolled: 3-line block ×16, first 2 shown]
	s_clause 0x3
	flat_load_u16 v158, v[52:53] offset:64
	flat_load_u16 v159, v[52:53] offset:128
	flat_load_u16 v160, v[52:53]
	flat_load_u16 v161, v[52:53] offset:192
	s_waitcnt vmcnt(0) lgkmcnt(0)
	s_barrier
	buffer_gl0_inv
	s_clause 0x7
	global_load_b128 v[50:53], v[50:51], off
	global_load_b128 v[130:133], v[2:3], off
	;; [unrolled: 1-line block ×8, first 2 shown]
	v_cvt_f32_f16_e64 v0, v158
	v_cvt_f32_f16_e64 v1, v159
	;; [unrolled: 1-line block ×4, first 2 shown]
	s_delay_alu instid0(VALU_DEP_3) | instskip(NEXT) | instid1(VALU_DEP_3)
	v_dual_add_f32 v40, v112, v0 :: v_dual_add_f32 v45, v118, v1
	v_dual_add_f32 v46, v115, v0 :: v_dual_add_f32 v49, v108, v2
	s_delay_alu instid0(VALU_DEP_3)
	v_dual_add_f32 v108, v121, v3 :: v_dual_add_f32 v41, v116, v1
	v_add_f32_e32 v42, v113, v0
	v_dual_add_f32 v43, v117, v1 :: v_dual_add_f32 v44, v114, v0
	v_dual_add_f32 v47, v119, v1 :: v_dual_add_f32 v48, v109, v2
	;; [unrolled: 1-line block ×9, first 2 shown]
	s_delay_alu instid0(VALU_DEP_3) | instskip(SKIP_2) | instid1(VALU_DEP_3)
	v_max3_f32 v0, v107, v114, v0
	v_dual_add_f32 v119, 0x40051340, v108 :: v_dual_add_f32 v120, 0x40051340, v110
	v_dual_add_f32 v121, 0x40051340, v111 :: v_dual_add_f32 v122, 0x40051340, v45
	v_max3_f32 v0, v0, v116, v118
	v_dual_add_f32 v123, 0x40051340, v47 :: v_dual_add_f32 v158, 0x40051340, v113
	v_max3_f32 v1, v106, v115, v1
	v_max3_f32 v2, v105, v120, v2
	ds_bpermute_b32 v114, v129, v0
	v_add_f32_e32 v159, 0x40051340, v112
	v_max3_f32 v3, v104, v121, v3
	v_max3_f32 v1, v1, v117, v119
	;; [unrolled: 1-line block ×3, first 2 shown]
	ds_bpermute_b32 v115, v129, v1
	ds_bpermute_b32 v117, v129, v2
	s_waitcnt lgkmcnt(2)
	v_max_f32_e32 v114, v114, v114
	v_max3_f32 v3, v3, v123, v159
	s_delay_alu instid0(VALU_DEP_2)
	v_max_f32_e32 v0, v0, v114
	ds_bpermute_b32 v116, v129, v3
	s_waitcnt lgkmcnt(2)
	v_max_f32_e32 v115, v115, v115
	s_waitcnt lgkmcnt(1)
	v_max_f32_e32 v117, v117, v117
	ds_bpermute_b32 v114, v128, v0
	v_max_f32_e32 v2, v2, v117
	ds_bpermute_b32 v117, v128, v2
	s_waitcnt lgkmcnt(2)
	v_dual_max_f32 v116, v116, v116 :: v_dual_max_f32 v1, v1, v115
	s_waitcnt lgkmcnt(1)
	s_delay_alu instid0(VALU_DEP_1)
	v_dual_max_f32 v114, v114, v114 :: v_dual_max_f32 v3, v3, v116
	ds_bpermute_b32 v115, v128, v1
	v_max_f32_e32 v0, v0, v114
	ds_bpermute_b32 v116, v128, v3
	s_waitcnt lgkmcnt(2)
	v_max_f32_e32 v117, v117, v117
	ds_bpermute_b32 v114, v127, v0
	v_max_f32_e32 v2, v2, v117
	ds_bpermute_b32 v117, v127, v2
	s_waitcnt lgkmcnt(2)
	v_dual_max_f32 v115, v115, v115 :: v_dual_max_f32 v116, v116, v116
	s_waitcnt lgkmcnt(1)
	s_delay_alu instid0(VALU_DEP_1) | instskip(NEXT) | instid1(VALU_DEP_2)
	v_dual_max_f32 v1, v1, v115 :: v_dual_max_f32 v114, v114, v114
	v_max_f32_e32 v3, v3, v116
	ds_bpermute_b32 v115, v127, v1
	v_max_f32_e32 v0, v0, v114
	ds_bpermute_b32 v116, v127, v3
	s_waitcnt lgkmcnt(2)
	v_max_f32_e32 v117, v117, v117
	ds_bpermute_b32 v114, v126, v0
	v_max_f32_e32 v2, v2, v117
	ds_bpermute_b32 v117, v126, v2
	s_waitcnt lgkmcnt(2)
	v_dual_max_f32 v115, v115, v115 :: v_dual_max_f32 v116, v116, v116
	s_waitcnt lgkmcnt(1)
	s_delay_alu instid0(VALU_DEP_1) | instskip(NEXT) | instid1(VALU_DEP_2)
	v_dual_max_f32 v1, v1, v115 :: v_dual_max_f32 v114, v114, v114
	v_max_f32_e32 v3, v3, v116
	;; [unrolled: 14-line block ×3, first 2 shown]
	ds_bpermute_b32 v115, v125, v1
	v_max_f32_e32 v0, v0, v114
	ds_bpermute_b32 v116, v125, v3
	s_waitcnt lgkmcnt(2)
	v_max_f32_e32 v117, v117, v117
	s_delay_alu instid0(VALU_DEP_1) | instskip(NEXT) | instid1(VALU_DEP_1)
	v_dual_max_f32 v2, v2, v117 :: v_dual_sub_f32 v109, v109, v0
	v_sub_f32_e32 v44, v44, v2
	s_delay_alu instid0(VALU_DEP_2) | instskip(SKIP_2) | instid1(VALU_DEP_3)
	v_cmp_ngt_f32_e64 s4, 0xc2ce8ed0, v109
	s_waitcnt lgkmcnt(1)
	v_max_f32_e32 v115, v115, v115
	v_cmp_ngt_f32_e64 s10, 0xc2ce8ed0, v44
	s_waitcnt lgkmcnt(0)
	s_delay_alu instid0(VALU_DEP_2) | instskip(SKIP_3) | instid1(VALU_DEP_4)
	v_dual_max_f32 v116, v116, v116 :: v_dual_max_f32 v1, v1, v115
	v_sub_f32_e32 v49, v49, v0
	v_sub_f32_e32 v107, v107, v0
	;; [unrolled: 1-line block ×3, first 2 shown]
	v_dual_max_f32 v3, v3, v116 :: v_dual_sub_f32 v48, v48, v1
	v_dual_sub_f32 v41, v41, v0 :: v_dual_sub_f32 v108, v108, v1
	v_sub_f32_e32 v42, v42, v1
	v_sub_f32_e32 v43, v43, v1
	s_delay_alu instid0(VALU_DEP_4)
	v_dual_sub_f32 v45, v45, v2 :: v_dual_sub_f32 v46, v46, v3
	v_dual_mul_f32 v115, 0x3fb8aa3b, v48 :: v_dual_mul_f32 v116, 0x3fb8aa3b, v49
	v_dual_sub_f32 v106, v106, v1 :: v_dual_sub_f32 v105, v105, v2
	v_sub_f32_e32 v104, v104, v3
	v_dual_sub_f32 v110, v110, v2 :: v_dual_sub_f32 v111, v111, v3
	v_dual_sub_f32 v113, v113, v2 :: v_dual_sub_f32 v112, v112, v3
	v_dual_sub_f32 v47, v47, v3 :: v_dual_mul_f32 v114, 0x3fb8aa3b, v40
	v_dual_mul_f32 v117, 0x3fb8aa3b, v41 :: v_dual_mul_f32 v120, 0x3fb8aa3b, v42
	v_dual_mul_f32 v118, 0x3fb8aa3b, v109 :: v_dual_mul_f32 v119, 0x3fb8aa3b, v107
	;; [unrolled: 1-line block ×4, first 2 shown]
	v_fma_f32 v167, 0x3fb8aa3b, v49, -v116
	v_rndne_f32_e32 v168, v116
	v_dual_mul_f32 v123, 0x3fb8aa3b, v106 :: v_dual_mul_f32 v126, 0x3fb8aa3b, v111
	v_dual_mul_f32 v127, 0x3fb8aa3b, v110 :: v_dual_mul_f32 v158, 0x3fb8aa3b, v105
	;; [unrolled: 1-line block ×4, first 2 shown]
	v_fma_f32 v163, 0x3fb8aa3b, v40, -v114
	v_rndne_f32_e32 v164, v114
	v_fma_f32 v165, 0x3fb8aa3b, v48, -v115
	v_rndne_f32_e32 v166, v115
	;; [unrolled: 2-line block ×8, first 2 shown]
	v_rndne_f32_e32 v190, v128
	v_dual_fmac_f32 v167, 0x32a5705f, v49 :: v_dual_sub_f32 v116, v116, v168
	v_fma_f32 v181, 0x3fb8aa3b, v106, -v123
	v_fma_f32 v189, 0x3fb8aa3b, v45, -v128
	v_rndne_f32_e32 v194, v158
	v_rndne_f32_e32 v198, v160
	;; [unrolled: 1-line block ×3, first 2 shown]
	v_dual_fmac_f32 v163, 0x32a5705f, v40 :: v_dual_sub_f32 v128, v128, v190
	v_dual_sub_f32 v114, v114, v164 :: v_dual_sub_f32 v115, v115, v166
	v_fmac_f32_e32 v165, 0x32a5705f, v48
	v_dual_fmac_f32 v169, 0x32a5705f, v41 :: v_dual_sub_f32 v118, v118, v172
	v_dual_sub_f32 v117, v117, v170 :: v_dual_sub_f32 v120, v120, v176
	v_dual_fmac_f32 v171, 0x32a5705f, v109 :: v_dual_sub_f32 v122, v122, v180
	v_fmac_f32_e32 v173, 0x32a5705f, v107
	v_dual_sub_f32 v119, v119, v174 :: v_dual_add_f32 v114, v114, v163
	v_dual_fmac_f32 v175, 0x32a5705f, v42 :: v_dual_add_f32 v116, v116, v167
	v_fmac_f32_e32 v177, 0x32a5705f, v43
	v_dual_sub_f32 v121, v121, v178 :: v_dual_add_f32 v118, v118, v171
	s_delay_alu instid0(VALU_DEP_3) | instskip(SKIP_3) | instid1(VALU_DEP_4)
	v_dual_fmac_f32 v179, 0x32a5705f, v108 :: v_dual_add_f32 v120, v120, v175
	v_fma_f32 v193, 0x3fb8aa3b, v105, -v158
	v_fma_f32 v197, 0x3fb8aa3b, v47, -v160
	;; [unrolled: 1-line block ×3, first 2 shown]
	v_dual_fmac_f32 v181, 0x32a5705f, v106 :: v_dual_add_f32 v122, v122, v179
	v_sub_f32_e32 v158, v158, v194
	v_sub_f32_e32 v160, v160, v198
	v_dual_sub_f32 v162, v162, v202 :: v_dual_add_f32 v115, v115, v165
	v_add_f32_e32 v117, v117, v169
	v_add_f32_e32 v119, v119, v173
	;; [unrolled: 1-line block ×3, first 2 shown]
	v_exp_f32_e32 v116, v116
	v_exp_f32_e32 v115, v115
	;; [unrolled: 1-line block ×8, first 2 shown]
	v_cvt_i32_f32_e32 v166, v166
	v_cvt_i32_f32_e32 v168, v168
	;; [unrolled: 1-line block ×8, first 2 shown]
	v_rndne_f32_e32 v186, v126
	v_mul_f32_e32 v161, 0x3fb8aa3b, v112
	v_ldexp_f32 v115, v115, v166
	v_cmp_ngt_f32_e32 vcc_lo, 0xc2ce8ed0, v48
	v_ldexp_f32 v116, v116, v168
	v_cmp_ngt_f32_e64 s2, 0xc2ce8ed0, v49
	v_ldexp_f32 v117, v117, v170
	v_cmp_ngt_f32_e64 s3, 0xc2ce8ed0, v41
	v_ldexp_f32 v118, v118, v172
	v_ldexp_f32 v119, v119, v174
	v_cmp_ngt_f32_e64 s5, 0xc2ce8ed0, v107
	v_ldexp_f32 v120, v120, v176
	v_cmp_ngt_f32_e64 s6, 0xc2ce8ed0, v42
	;; [unrolled: 2-line block ×4, first 2 shown]
	v_fma_f32 v185, 0x3fb8aa3b, v111, -v126
	v_sub_f32_e32 v126, v126, v186
	v_fma_f32 v199, 0x3fb8aa3b, v112, -v161
	v_rndne_f32_e32 v200, v161
	v_cndmask_b32_e32 v115, 0, v115, vcc_lo
	v_cmp_nlt_f32_e32 vcc_lo, 0x42b17218, v48
	v_cndmask_b32_e64 v48, 0, v116, s2
	v_cmp_nlt_f32_e64 s2, 0x42b17218, v49
	v_cndmask_b32_e64 v49, 0, v117, s3
	v_cmp_nlt_f32_e64 s3, 0x42b17218, v41
	;; [unrolled: 2-line block ×7, first 2 shown]
	v_fma_f32 v187, 0x3fb8aa3b, v110, -v127
	v_fmac_f32_e32 v197, 0x32a5705f, v47
	v_sub_f32_e32 v161, v161, v200
	v_fmac_f32_e32 v201, 0x32a5705f, v104
	v_cndmask_b32_e64 v43, 0x7f800000, v43, s8
	v_fmac_f32_e32 v199, 0x32a5705f, v112
	v_dual_fmac_f32 v185, 0x32a5705f, v111 :: v_dual_add_f32 v160, v160, v197
	s_delay_alu instid0(VALU_DEP_4) | instskip(NEXT) | instid1(VALU_DEP_3)
	v_dual_fmac_f32 v187, 0x32a5705f, v110 :: v_dual_add_f32 v162, v162, v201
	v_add_f32_e32 v161, v161, v199
	v_exp_f32_e32 v114, v114
	v_cvt_i32_f32_e32 v164, v164
	v_exp_f32_e32 v160, v160
	v_exp_f32_e32 v162, v162
	;; [unrolled: 1-line block ×3, first 2 shown]
	v_cvt_i32_f32_e32 v198, v198
	v_cvt_i32_f32_e32 v200, v200
	;; [unrolled: 1-line block ×3, first 2 shown]
	v_cmp_ngt_f32_e64 s21, 0xc2ce8ed0, v40
	v_rndne_f32_e32 v182, v123
	v_ldexp_f32 v114, v114, v164
	v_fma_f32 v183, 0x3fb8aa3b, v44, -v125
	v_rndne_f32_e32 v184, v125
	v_ldexp_f32 v160, v160, v198
	v_cmp_ngt_f32_e64 s18, 0xc2ce8ed0, v47
	v_ldexp_f32 v161, v161, v200
	v_cmp_ngt_f32_e64 s19, 0xc2ce8ed0, v112
	;; [unrolled: 2-line block ×3, first 2 shown]
	v_cndmask_b32_e64 v114, 0, v114, s21
	v_cmp_nlt_f32_e64 s21, 0x42b17218, v40
	v_rndne_f32_e32 v188, v127
	v_dual_sub_f32 v123, v123, v182 :: v_dual_add_f32 v126, v126, v185
	v_fmac_f32_e32 v193, 0x32a5705f, v105
	v_sub_f32_e32 v125, v125, v184
	v_cndmask_b32_e64 v117, 0, v160, s18
	v_cmp_nlt_f32_e64 s18, 0x42b17218, v47
	v_cndmask_b32_e64 v47, 0, v161, s19
	v_add_f32_e32 v158, v158, v193
	v_cmp_nlt_f32_e64 s19, 0x42b17218, v112
	v_cndmask_b32_e64 v112, 0, v162, s20
	v_cmp_nlt_f32_e64 s20, 0x42b17218, v104
	v_cndmask_b32_e64 v104, 0x7f800000, v114, s21
	v_cndmask_b32_e64 v48, 0x7f800000, v48, s2
	v_fmac_f32_e32 v189, 0x32a5705f, v45
	v_fmac_f32_e32 v183, 0x32a5705f, v44
	v_dual_sub_f32 v127, v127, v188 :: v_dual_cndmask_b32 v114, 0x7f800000, v115
	v_add_f32_e32 v123, v123, v181
	s_delay_alu instid0(VALU_DEP_3) | instskip(NEXT) | instid1(VALU_DEP_3)
	v_dual_add_f32 v128, v128, v189 :: v_dual_add_f32 v125, v125, v183
	v_add_f32_e32 v127, v127, v187
	v_exp_f32_e32 v126, v126
	s_delay_alu instid0(VALU_DEP_3)
	v_exp_f32_e32 v123, v123
	v_cvt_i32_f32_e32 v182, v182
	v_exp_f32_e32 v125, v125
	v_cvt_i32_f32_e32 v184, v184
	v_cvt_i32_f32_e32 v186, v186
	v_exp_f32_e32 v127, v127
	v_exp_f32_e32 v128, v128
	v_cvt_i32_f32_e32 v188, v188
	v_cvt_i32_f32_e32 v190, v190
	v_cmp_ngt_f32_e64 s9, 0xc2ce8ed0, v106
	v_ldexp_f32 v123, v123, v182
	v_ldexp_f32 v126, v126, v186
	;; [unrolled: 1-line block ×3, first 2 shown]
	v_cmp_ngt_f32_e64 s11, 0xc2ce8ed0, v111
	v_fma_f32 v191, 0x3fb8aa3b, v113, -v129
	v_rndne_f32_e32 v192, v129
	v_fma_f32 v195, 0x3fb8aa3b, v46, -v159
	v_rndne_f32_e32 v196, v159
	v_ldexp_f32 v127, v127, v188
	v_cmp_ngt_f32_e64 s12, 0xc2ce8ed0, v110
	v_ldexp_f32 v128, v128, v190
	v_cmp_ngt_f32_e64 s13, 0xc2ce8ed0, v45
	v_cndmask_b32_e64 v108, 0, v123, s9
	v_cmp_nlt_f32_e64 s9, 0x42b17218, v106
	v_cndmask_b32_e64 v106, 0, v125, s10
	v_cmp_nlt_f32_e64 s10, 0x42b17218, v44
	;; [unrolled: 2-line block ×3, first 2 shown]
	v_sub_f32_e32 v159, v159, v196
	v_cndmask_b32_e64 v111, 0, v127, s12
	v_cmp_nlt_f32_e64 s12, 0x42b17218, v110
	v_cndmask_b32_e64 v110, 0, v128, s13
	v_cmp_nlt_f32_e64 s13, 0x42b17218, v45
	v_cndmask_b32_e64 v49, 0x7f800000, v49, s3
	v_cndmask_b32_e64 v115, 0x7f800000, v41, s4
	;; [unrolled: 1-line block ×4, first 2 shown]
	v_sub_f32_e32 v129, v129, v192
	v_cndmask_b32_e64 v109, 0x7f800000, v42, s7
	v_cndmask_b32_e64 v42, 0x7f800000, v106, s10
	;; [unrolled: 1-line block ×3, first 2 shown]
	v_fmac_f32_e32 v195, 0x32a5705f, v46
	v_cndmask_b32_e64 v44, 0x7f800000, v112, s20
	v_dual_add_f32 v112, v48, v104 :: v_dual_fmac_f32 v191, 0x32a5705f, v113
	v_cndmask_b32_e64 v107, 0x7f800000, v111, s12
	s_delay_alu instid0(VALU_DEP_4) | instskip(SKIP_1) | instid1(VALU_DEP_4)
	v_add_f32_e32 v159, v159, v195
	v_cndmask_b32_e64 v111, 0x7f800000, v117, s18
	v_add_f32_e32 v112, v49, v112
	v_cvt_f16_f32_e32 v117, v114
	v_dual_add_f32 v114, v114, v41 :: v_dual_add_f32 v129, v129, v191
	v_exp_f32_e32 v158, v158
	v_exp_f32_e32 v159, v159
	v_cvt_i32_f32_e32 v192, v192
	v_cvt_i32_f32_e32 v194, v194
	v_exp_f32_e32 v129, v129
	v_cvt_i32_f32_e32 v196, v196
	v_cmp_ngt_f32_e64 s15, 0xc2ce8ed0, v113
	v_cmp_ngt_f32_e64 s16, 0xc2ce8ed0, v105
	v_cmp_ngt_f32_e64 s17, 0xc2ce8ed0, v46
	v_cndmask_b32_e64 v40, 0x7f800000, v108, s9
	v_ldexp_f32 v158, v158, v194
	v_ldexp_f32 v159, v159, v196
	v_cndmask_b32_e64 v108, 0x7f800000, v110, s13
	v_cvt_f16_f32_e32 v48, v48
	v_ldexp_f32 v129, v129, v192
	v_cvt_f16_f32_e32 v118, v41
	v_add_f32_e32 v121, v107, v42
	v_cvt_f16_f32_e32 v122, v42
	v_cvt_f16_f32_e32 v41, v106
	v_cndmask_b32_e64 v116, 0, v129, s15
	v_cmp_nlt_f32_e64 s15, 0x42b17218, v113
	v_cndmask_b32_e64 v113, 0, v158, s16
	v_cmp_nlt_f32_e64 s16, 0x42b17218, v105
	;; [unrolled: 2-line block ×3, first 2 shown]
	v_cndmask_b32_e64 v110, 0x7f800000, v116, s15
	v_cvt_f16_f32_e32 v42, v107
	v_cndmask_b32_e64 v46, 0x7f800000, v113, s16
	v_cndmask_b32_e64 v113, 0x7f800000, v47, s19
	;; [unrolled: 1-line block ×3, first 2 shown]
	v_cvt_f16_f32_e32 v47, v104
	v_cvt_f16_f32_e32 v104, v49
	;; [unrolled: 1-line block ×4, first 2 shown]
	v_add_f32_e32 v126, v106, v105
	v_cvt_f16_f32_e32 v105, v105
	v_cvt_f16_f32_e32 v120, v43
	;; [unrolled: 1-line block ×6, first 2 shown]
	v_pack_b32_f16 v42, v42, v41
	v_pack_b32_f16 v41, v48, v117
	;; [unrolled: 1-line block ×8, first 2 shown]
	ds_store_2addr_b64 v81, v[41:42], v[47:48] offset1:32
	ds_store_2addr_b64 v81, v[104:105], v[106:107] offset0:64 offset1:96
	s_waitcnt vmcnt(7)
	ds_store_b128 v64, v[50:53]
	s_waitcnt vmcnt(6)
	ds_store_b128 v73, v[130:133]
	;; [unrolled: 2-line block ×8, first 2 shown]
	s_waitcnt lgkmcnt(0)
	s_barrier
	buffer_gl0_inv
	ds_load_2addr_b32 v[52:53], v11 offset1:32
	ds_load_b128 v[48:51], v72
	v_cvt_f16_f32_e32 v127, v44
	v_dual_add_f32 v42, v109, v114 :: v_dual_add_f32 v47, v108, v121
	v_add_f32_e32 v104, v111, v126
	v_cvt_f16_f32_e64 v158, v45
	v_cvt_f16_f32_e64 v159, v40
	;; [unrolled: 1-line block ×3, first 2 shown]
	v_pk_mul_f16 v100, v127, v100 op_sel_hi:[0,1]
	v_add_f32_e32 v41, v115, v112
	v_dual_add_f32 v42, v43, v42 :: v_dual_add_f32 v43, v110, v47
	v_add_f32_e32 v47, v113, v104
	ds_load_b128 v[104:107], v72 offset:16
	ds_load_b128 v[108:111], v72 offset:32
	;; [unrolled: 1-line block ×3, first 2 shown]
	ds_load_2addr_b32 v[125:126], v11 offset0:64 offset1:96
	ds_load_2addr_b32 v[127:128], v11 offset0:128 offset1:160
	;; [unrolled: 1-line block ×3, first 2 shown]
	ds_load_2addr_b32 v[131:132], v82 offset1:32
	ds_load_2addr_b32 v[133:134], v82 offset0:64 offset1:96
	ds_load_b128 v[116:119], v72 offset:64
	ds_load_b128 v[120:123], v72 offset:80
	v_dual_fmac_f32 v41, v99, v45 :: v_dual_fmac_f32 v42, v98, v40
	v_fmac_f32_e32 v43, v97, v46
	s_waitcnt lgkmcnt(10)
	v_pk_mul_f16 v135, v52, v48 op_sel_hi:[1,0]
	v_pk_mul_f16 v48, v52, v48 op_sel:[0,1]
	v_pk_mul_f16 v136, v52, v49 op_sel_hi:[1,0]
	v_pk_fma_f16 v49, v52, v49, v100 op_sel:[0,1,0]
	s_delay_alu instid0(VALU_DEP_4) | instskip(NEXT) | instid1(VALU_DEP_4)
	v_pk_fma_f16 v52, v158, v103, v135 op_sel_hi:[0,1,1]
	v_pk_fma_f16 v48, v159, v102, v48 op_sel_hi:[0,1,1]
	s_delay_alu instid0(VALU_DEP_4) | instskip(NEXT) | instid1(VALU_DEP_4)
	v_pk_fma_f16 v100, v160, v101, v136 op_sel_hi:[0,1,1]
	v_pk_fma_f16 v49, v53, v51, v49 op_sel:[0,1,0]
	ds_load_2addr_b32 v[135:136], v82 offset0:128 offset1:160
	v_pk_fma_f16 v101, v53, v50, v52 op_sel_hi:[1,0,1]
	v_pk_fma_f16 v48, v53, v50, v48 op_sel:[0,1,0]
	v_pk_fma_f16 v50, v53, v51, v100 op_sel_hi:[1,0,1]
	s_waitcnt lgkmcnt(7)
	v_pk_fma_f16 v100, v125, v105, v49 op_sel:[0,1,0]
	ds_load_2addr_b32 v[52:53], v82 offset0:192 offset1:224
	v_pk_fma_f16 v101, v125, v104, v101 op_sel_hi:[1,0,1]
	v_pk_fma_f16 v102, v125, v104, v48 op_sel:[0,1,0]
	v_pk_fma_f16 v103, v125, v105, v50 op_sel_hi:[1,0,1]
	ds_load_b128 v[48:51], v72 offset:96
	v_pk_fma_f16 v104, v126, v107, v100 op_sel:[0,1,0]
	v_pk_fma_f16 v105, v126, v106, v101 op_sel_hi:[1,0,1]
	v_pk_fma_f16 v106, v126, v106, v102 op_sel:[0,1,0]
	v_pk_fma_f16 v107, v126, v107, v103 op_sel_hi:[1,0,1]
	ds_load_b128 v[100:103], v72 offset:112
	s_waitcnt lgkmcnt(9)
	v_pk_fma_f16 v104, v127, v109, v104 op_sel:[0,1,0]
	v_pk_fma_f16 v105, v127, v108, v105 op_sel_hi:[1,0,1]
	v_pk_fma_f16 v106, v127, v108, v106 op_sel:[0,1,0]
	v_pk_fma_f16 v107, v127, v109, v107 op_sel_hi:[1,0,1]
	ds_load_2addr_b32 v[125:126], v83 offset1:32
	v_pk_fma_f16 v104, v128, v111, v104 op_sel:[0,1,0]
	v_pk_fma_f16 v105, v128, v110, v105 op_sel_hi:[1,0,1]
	v_pk_fma_f16 v106, v128, v110, v106 op_sel:[0,1,0]
	v_pk_fma_f16 v107, v128, v111, v107 op_sel_hi:[1,0,1]
	ds_load_2addr_b32 v[127:128], v83 offset0:64 offset1:96
	s_waitcnt lgkmcnt(10)
	v_pk_fma_f16 v108, v129, v113, v104 op_sel:[0,1,0]
	v_pk_fma_f16 v109, v129, v112, v105 op_sel_hi:[1,0,1]
	v_pk_fma_f16 v110, v129, v112, v106 op_sel:[0,1,0]
	v_pk_fma_f16 v111, v129, v113, v107 op_sel_hi:[1,0,1]
	ds_load_b128 v[104:107], v72 offset:128
	v_pk_fma_f16 v112, v130, v115, v108 op_sel:[0,1,0]
	v_pk_fma_f16 v113, v130, v114, v109 op_sel_hi:[1,0,1]
	v_pk_fma_f16 v114, v130, v114, v110 op_sel:[0,1,0]
	v_pk_fma_f16 v115, v130, v115, v111 op_sel_hi:[1,0,1]
	ds_load_b128 v[108:111], v72 offset:144
	s_waitcnt lgkmcnt(9)
	v_pk_fma_f16 v112, v131, v117, v112 op_sel:[0,1,0]
	v_pk_fma_f16 v113, v131, v116, v113 op_sel_hi:[1,0,1]
	v_pk_fma_f16 v114, v131, v116, v114 op_sel:[0,1,0]
	v_pk_fma_f16 v115, v131, v117, v115 op_sel_hi:[1,0,1]
	ds_load_2addr_b32 v[129:130], v83 offset0:128 offset1:160
	v_pk_fma_f16 v112, v132, v119, v112 op_sel:[0,1,0]
	v_pk_fma_f16 v113, v132, v118, v113 op_sel_hi:[1,0,1]
	v_pk_fma_f16 v114, v132, v118, v114 op_sel:[0,1,0]
	v_pk_fma_f16 v115, v132, v119, v115 op_sel_hi:[1,0,1]
	ds_load_2addr_b32 v[131:132], v83 offset0:192 offset1:224
	s_waitcnt lgkmcnt(10)
	v_pk_fma_f16 v116, v133, v121, v112 op_sel:[0,1,0]
	v_pk_fma_f16 v117, v133, v120, v113 op_sel_hi:[1,0,1]
	v_pk_fma_f16 v118, v133, v120, v114 op_sel:[0,1,0]
	v_pk_fma_f16 v119, v133, v121, v115 op_sel_hi:[1,0,1]
	ds_load_b128 v[112:115], v72 offset:160
	v_pk_fma_f16 v120, v134, v123, v116 op_sel:[0,1,0]
	v_pk_fma_f16 v121, v134, v122, v117 op_sel_hi:[1,0,1]
	v_pk_fma_f16 v122, v134, v122, v118 op_sel:[0,1,0]
	v_pk_fma_f16 v123, v134, v123, v119 op_sel_hi:[1,0,1]
	ds_load_b128 v[116:119], v72 offset:176
	s_waitcnt lgkmcnt(9)
	v_pk_fma_f16 v133, v135, v49, v120 op_sel:[0,1,0]
	v_pk_fma_f16 v134, v135, v48, v121 op_sel_hi:[1,0,1]
	v_pk_fma_f16 v48, v135, v48, v122 op_sel:[0,1,0]
	v_pk_fma_f16 v49, v135, v49, v123 op_sel_hi:[1,0,1]
	ds_load_2addr_b32 v[120:121], v84 offset1:32
	v_pk_fma_f16 v133, v136, v51, v133 op_sel:[0,1,0]
	v_pk_fma_f16 v134, v136, v50, v134 op_sel_hi:[1,0,1]
	v_pk_fma_f16 v48, v136, v50, v48 op_sel:[0,1,0]
	v_pk_fma_f16 v49, v136, v51, v49 op_sel_hi:[1,0,1]
	ds_load_2addr_b32 v[122:123], v84 offset0:64 offset1:96
	s_waitcnt lgkmcnt(10)
	v_pk_fma_f16 v133, v52, v101, v133 op_sel:[0,1,0]
	v_pk_fma_f16 v134, v52, v100, v134 op_sel_hi:[1,0,1]
	v_pk_fma_f16 v100, v52, v100, v48 op_sel:[0,1,0]
	v_pk_fma_f16 v52, v52, v101, v49 op_sel_hi:[1,0,1]
	ds_load_b128 v[48:51], v72 offset:192
	v_pk_fma_f16 v133, v53, v103, v133 op_sel:[0,1,0]
	v_pk_fma_f16 v134, v53, v102, v134 op_sel_hi:[1,0,1]
	v_pk_fma_f16 v135, v53, v102, v100 op_sel:[0,1,0]
	v_pk_fma_f16 v52, v53, v103, v52 op_sel_hi:[1,0,1]
	ds_load_b128 v[100:103], v72 offset:208
	s_waitcnt lgkmcnt(9)
	v_pk_fma_f16 v133, v125, v105, v133 op_sel:[0,1,0]
	v_pk_fma_f16 v134, v125, v104, v134 op_sel_hi:[1,0,1]
	v_pk_fma_f16 v104, v125, v104, v135 op_sel:[0,1,0]
	v_pk_fma_f16 v105, v125, v105, v52 op_sel_hi:[1,0,1]
	ds_load_2addr_b32 v[52:53], v84 offset0:128 offset1:160
	v_pk_fma_f16 v133, v126, v107, v133 op_sel:[0,1,0]
	v_pk_fma_f16 v134, v126, v106, v134 op_sel_hi:[1,0,1]
	v_pk_fma_f16 v104, v126, v106, v104 op_sel:[0,1,0]
	v_pk_fma_f16 v105, v126, v107, v105 op_sel_hi:[1,0,1]
	ds_load_2addr_b32 v[125:126], v84 offset0:192 offset1:224
	s_waitcnt lgkmcnt(10)
	v_pk_fma_f16 v133, v127, v109, v133 op_sel:[0,1,0]
	v_pk_fma_f16 v134, v127, v108, v134 op_sel_hi:[1,0,1]
	v_pk_fma_f16 v108, v127, v108, v104 op_sel:[0,1,0]
	v_pk_fma_f16 v109, v127, v109, v105 op_sel_hi:[1,0,1]
	ds_load_b128 v[104:107], v72 offset:224
	v_pk_fma_f16 v127, v128, v111, v133 op_sel:[0,1,0]
	v_pk_fma_f16 v133, v128, v110, v134 op_sel_hi:[1,0,1]
	v_pk_fma_f16 v134, v128, v110, v108 op_sel:[0,1,0]
	v_pk_fma_f16 v128, v128, v111, v109 op_sel_hi:[1,0,1]
	ds_load_b128 v[108:111], v72 offset:240
	s_waitcnt lgkmcnt(9)
	v_pk_fma_f16 v135, v129, v113, v127 op_sel:[0,1,0]
	v_pk_fma_f16 v133, v129, v112, v133 op_sel_hi:[1,0,1]
	v_pk_fma_f16 v112, v129, v112, v134 op_sel:[0,1,0]
	v_pk_fma_f16 v113, v129, v113, v128 op_sel_hi:[1,0,1]
	ds_load_2addr_b32 v[127:128], v85 offset1:32
	v_pk_fma_f16 v134, v130, v115, v135 op_sel:[0,1,0]
	v_pk_fma_f16 v133, v130, v114, v133 op_sel_hi:[1,0,1]
	v_pk_fma_f16 v112, v130, v114, v112 op_sel:[0,1,0]
	v_pk_fma_f16 v113, v130, v115, v113 op_sel_hi:[1,0,1]
	ds_load_2addr_b32 v[129:130], v85 offset0:64 offset1:96
	s_waitcnt lgkmcnt(10)
	v_pk_fma_f16 v134, v131, v117, v134 op_sel:[0,1,0]
	v_pk_fma_f16 v133, v131, v116, v133 op_sel_hi:[1,0,1]
	v_pk_fma_f16 v116, v131, v116, v112 op_sel:[0,1,0]
	v_pk_fma_f16 v117, v131, v117, v113 op_sel_hi:[1,0,1]
	ds_load_b128 v[112:115], v72 offset:256
	v_pk_fma_f16 v131, v132, v119, v134 op_sel:[0,1,0]
	v_pk_fma_f16 v133, v132, v118, v133 op_sel_hi:[1,0,1]
	v_pk_fma_f16 v134, v132, v118, v116 op_sel:[0,1,0]
	v_pk_fma_f16 v132, v132, v119, v117 op_sel_hi:[1,0,1]
	ds_load_b128 v[116:119], v72 offset:272
	s_waitcnt lgkmcnt(9)
	v_pk_fma_f16 v135, v120, v49, v131 op_sel:[0,1,0]
	v_pk_fma_f16 v133, v120, v48, v133 op_sel_hi:[1,0,1]
	v_pk_fma_f16 v48, v120, v48, v134 op_sel:[0,1,0]
	v_pk_fma_f16 v49, v120, v49, v132 op_sel_hi:[1,0,1]
	ds_load_2addr_b32 v[131:132], v85 offset0:128 offset1:160
	v_pk_fma_f16 v134, v121, v51, v135 op_sel:[0,1,0]
	v_pk_fma_f16 v133, v121, v50, v133 op_sel_hi:[1,0,1]
	v_pk_fma_f16 v48, v121, v50, v48 op_sel:[0,1,0]
	v_pk_fma_f16 v49, v121, v51, v49 op_sel_hi:[1,0,1]
	ds_load_2addr_b32 v[120:121], v85 offset0:192 offset1:224
	s_waitcnt lgkmcnt(10)
	v_pk_fma_f16 v134, v122, v101, v134 op_sel:[0,1,0]
	v_pk_fma_f16 v133, v122, v100, v133 op_sel_hi:[1,0,1]
	v_pk_fma_f16 v100, v122, v100, v48 op_sel:[0,1,0]
	v_pk_fma_f16 v101, v122, v101, v49 op_sel_hi:[1,0,1]
	ds_load_b128 v[48:51], v72 offset:288
	v_pk_fma_f16 v122, v123, v103, v134 op_sel:[0,1,0]
	v_pk_fma_f16 v133, v123, v102, v133 op_sel_hi:[1,0,1]
	v_pk_fma_f16 v134, v123, v102, v100 op_sel:[0,1,0]
	v_pk_fma_f16 v123, v123, v103, v101 op_sel_hi:[1,0,1]
	ds_load_b128 v[100:103], v72 offset:304
	s_waitcnt lgkmcnt(9)
	v_pk_fma_f16 v135, v52, v105, v122 op_sel:[0,1,0]
	v_pk_fma_f16 v133, v52, v104, v133 op_sel_hi:[1,0,1]
	v_pk_fma_f16 v104, v52, v104, v134 op_sel:[0,1,0]
	v_pk_fma_f16 v52, v52, v105, v123 op_sel_hi:[1,0,1]
	ds_load_2addr_b32 v[122:123], v86 offset1:32
	v_pk_fma_f16 v105, v53, v107, v135 op_sel:[0,1,0]
	v_pk_fma_f16 v133, v53, v106, v133 op_sel_hi:[1,0,1]
	v_pk_fma_f16 v104, v53, v106, v104 op_sel:[0,1,0]
	v_pk_fma_f16 v106, v53, v107, v52 op_sel_hi:[1,0,1]
	ds_load_2addr_b32 v[52:53], v86 offset0:64 offset1:96
	s_waitcnt lgkmcnt(10)
	v_pk_fma_f16 v134, v125, v109, v105 op_sel:[0,1,0]
	v_pk_fma_f16 v133, v125, v108, v133 op_sel_hi:[1,0,1]
	v_pk_fma_f16 v108, v125, v108, v104 op_sel:[0,1,0]
	v_pk_fma_f16 v109, v125, v109, v106 op_sel_hi:[1,0,1]
	ds_load_b128 v[104:107], v72 offset:320
	v_pk_fma_f16 v125, v126, v111, v134 op_sel:[0,1,0]
	v_pk_fma_f16 v133, v126, v110, v133 op_sel_hi:[1,0,1]
	v_pk_fma_f16 v134, v126, v110, v108 op_sel:[0,1,0]
	v_pk_fma_f16 v126, v126, v111, v109 op_sel_hi:[1,0,1]
	ds_load_b128 v[108:111], v72 offset:336
	s_waitcnt lgkmcnt(9)
	v_pk_fma_f16 v135, v127, v113, v125 op_sel:[0,1,0]
	v_pk_fma_f16 v133, v127, v112, v133 op_sel_hi:[1,0,1]
	v_pk_fma_f16 v112, v127, v112, v134 op_sel:[0,1,0]
	v_pk_fma_f16 v113, v127, v113, v126 op_sel_hi:[1,0,1]
	ds_load_2addr_b32 v[125:126], v86 offset0:128 offset1:160
	v_pk_fma_f16 v134, v128, v115, v135 op_sel:[0,1,0]
	v_pk_fma_f16 v133, v128, v114, v133 op_sel_hi:[1,0,1]
	v_pk_fma_f16 v112, v128, v114, v112 op_sel:[0,1,0]
	v_pk_fma_f16 v113, v128, v115, v113 op_sel_hi:[1,0,1]
	ds_load_2addr_b32 v[127:128], v86 offset0:192 offset1:224
	s_waitcnt lgkmcnt(10)
	v_pk_fma_f16 v134, v129, v117, v134 op_sel:[0,1,0]
	v_pk_fma_f16 v133, v129, v116, v133 op_sel_hi:[1,0,1]
	v_pk_fma_f16 v116, v129, v116, v112 op_sel:[0,1,0]
	v_pk_fma_f16 v117, v129, v117, v113 op_sel_hi:[1,0,1]
	ds_load_b128 v[112:115], v72 offset:352
	v_pk_fma_f16 v129, v130, v119, v134 op_sel:[0,1,0]
	v_pk_fma_f16 v133, v130, v118, v133 op_sel_hi:[1,0,1]
	v_pk_fma_f16 v134, v130, v118, v116 op_sel:[0,1,0]
	v_pk_fma_f16 v130, v130, v119, v117 op_sel_hi:[1,0,1]
	ds_load_b128 v[116:119], v72 offset:368
	s_waitcnt lgkmcnt(9)
	v_pk_fma_f16 v135, v131, v49, v129 op_sel:[0,1,0]
	v_pk_fma_f16 v133, v131, v48, v133 op_sel_hi:[1,0,1]
	v_pk_fma_f16 v48, v131, v48, v134 op_sel:[0,1,0]
	v_pk_fma_f16 v49, v131, v49, v130 op_sel_hi:[1,0,1]
	ds_load_2addr_b32 v[129:130], v87 offset1:32
	v_pk_fma_f16 v134, v132, v51, v135 op_sel:[0,1,0]
	v_pk_fma_f16 v133, v132, v50, v133 op_sel_hi:[1,0,1]
	v_pk_fma_f16 v48, v132, v50, v48 op_sel:[0,1,0]
	v_pk_fma_f16 v49, v132, v51, v49 op_sel_hi:[1,0,1]
	ds_load_2addr_b32 v[131:132], v87 offset0:64 offset1:96
	s_waitcnt lgkmcnt(10)
	v_pk_fma_f16 v134, v120, v101, v134 op_sel:[0,1,0]
	v_pk_fma_f16 v133, v120, v100, v133 op_sel_hi:[1,0,1]
	v_pk_fma_f16 v100, v120, v100, v48 op_sel:[0,1,0]
	v_pk_fma_f16 v101, v120, v101, v49 op_sel_hi:[1,0,1]
	ds_load_b128 v[48:51], v72 offset:384
	v_pk_fma_f16 v120, v121, v103, v134 op_sel:[0,1,0]
	v_pk_fma_f16 v133, v121, v102, v133 op_sel_hi:[1,0,1]
	v_pk_fma_f16 v134, v121, v102, v100 op_sel:[0,1,0]
	v_pk_fma_f16 v121, v121, v103, v101 op_sel_hi:[1,0,1]
	ds_load_b128 v[100:103], v72 offset:400
	s_waitcnt lgkmcnt(9)
	v_pk_fma_f16 v135, v122, v105, v120 op_sel:[0,1,0]
	v_pk_fma_f16 v133, v122, v104, v133 op_sel_hi:[1,0,1]
	v_pk_fma_f16 v104, v122, v104, v134 op_sel:[0,1,0]
	v_pk_fma_f16 v105, v122, v105, v121 op_sel_hi:[1,0,1]
	ds_load_2addr_b32 v[120:121], v87 offset0:128 offset1:160
	v_pk_fma_f16 v134, v123, v107, v135 op_sel:[0,1,0]
	v_pk_fma_f16 v133, v123, v106, v133 op_sel_hi:[1,0,1]
	v_pk_fma_f16 v104, v123, v106, v104 op_sel:[0,1,0]
	v_pk_fma_f16 v105, v123, v107, v105 op_sel_hi:[1,0,1]
	ds_load_2addr_b32 v[122:123], v87 offset0:192 offset1:224
	s_waitcnt lgkmcnt(10)
	v_pk_fma_f16 v134, v52, v109, v134 op_sel:[0,1,0]
	v_pk_fma_f16 v133, v52, v108, v133 op_sel_hi:[1,0,1]
	v_pk_fma_f16 v108, v52, v108, v104 op_sel:[0,1,0]
	v_pk_fma_f16 v52, v52, v109, v105 op_sel_hi:[1,0,1]
	ds_load_b128 v[104:107], v72 offset:416
	v_pk_fma_f16 v134, v53, v111, v134 op_sel:[0,1,0]
	v_pk_fma_f16 v133, v53, v110, v133 op_sel_hi:[1,0,1]
	v_pk_fma_f16 v135, v53, v110, v108 op_sel:[0,1,0]
	v_pk_fma_f16 v52, v53, v111, v52 op_sel_hi:[1,0,1]
	ds_load_b128 v[108:111], v72 offset:432
	s_waitcnt lgkmcnt(9)
	v_pk_fma_f16 v134, v125, v113, v134 op_sel:[0,1,0]
	v_pk_fma_f16 v133, v125, v112, v133 op_sel_hi:[1,0,1]
	v_pk_fma_f16 v112, v125, v112, v135 op_sel:[0,1,0]
	v_pk_fma_f16 v113, v125, v113, v52 op_sel_hi:[1,0,1]
	ds_load_2addr_b32 v[52:53], v88 offset1:32
	v_pk_fma_f16 v134, v126, v115, v134 op_sel:[0,1,0]
	v_pk_fma_f16 v133, v126, v114, v133 op_sel_hi:[1,0,1]
	v_pk_fma_f16 v112, v126, v114, v112 op_sel:[0,1,0]
	v_pk_fma_f16 v113, v126, v115, v113 op_sel_hi:[1,0,1]
	ds_load_2addr_b32 v[125:126], v88 offset0:64 offset1:96
	s_waitcnt lgkmcnt(10)
	v_pk_fma_f16 v134, v127, v117, v134 op_sel:[0,1,0]
	v_pk_fma_f16 v133, v127, v116, v133 op_sel_hi:[1,0,1]
	v_pk_fma_f16 v116, v127, v116, v112 op_sel:[0,1,0]
	v_pk_fma_f16 v117, v127, v117, v113 op_sel_hi:[1,0,1]
	ds_load_b128 v[112:115], v72 offset:448
	v_pk_fma_f16 v127, v128, v119, v134 op_sel:[0,1,0]
	v_pk_fma_f16 v133, v128, v118, v133 op_sel_hi:[1,0,1]
	v_pk_fma_f16 v134, v128, v118, v116 op_sel:[0,1,0]
	v_pk_fma_f16 v128, v128, v119, v117 op_sel_hi:[1,0,1]
	ds_load_b128 v[116:119], v72 offset:464
	s_waitcnt lgkmcnt(9)
	v_pk_fma_f16 v135, v129, v49, v127 op_sel:[0,1,0]
	v_pk_fma_f16 v133, v129, v48, v133 op_sel_hi:[1,0,1]
	v_pk_fma_f16 v48, v129, v48, v134 op_sel:[0,1,0]
	v_pk_fma_f16 v49, v129, v49, v128 op_sel_hi:[1,0,1]
	ds_load_2addr_b32 v[127:128], v88 offset0:128 offset1:160
	v_pk_fma_f16 v134, v130, v51, v135 op_sel:[0,1,0]
	v_pk_fma_f16 v133, v130, v50, v133 op_sel_hi:[1,0,1]
	v_pk_fma_f16 v48, v130, v50, v48 op_sel:[0,1,0]
	v_pk_fma_f16 v49, v130, v51, v49 op_sel_hi:[1,0,1]
	ds_load_2addr_b32 v[129:130], v88 offset0:192 offset1:224
	s_waitcnt lgkmcnt(10)
	v_pk_fma_f16 v134, v131, v101, v134 op_sel:[0,1,0]
	v_pk_fma_f16 v133, v131, v100, v133 op_sel_hi:[1,0,1]
	v_pk_fma_f16 v100, v131, v100, v48 op_sel:[0,1,0]
	v_pk_fma_f16 v101, v131, v101, v49 op_sel_hi:[1,0,1]
	ds_load_b128 v[48:51], v72 offset:480
	v_pk_fma_f16 v131, v132, v103, v134 op_sel:[0,1,0]
	v_pk_fma_f16 v133, v132, v102, v133 op_sel_hi:[1,0,1]
	v_pk_fma_f16 v134, v132, v102, v100 op_sel:[0,1,0]
	v_pk_fma_f16 v132, v132, v103, v101 op_sel_hi:[1,0,1]
	ds_load_b128 v[100:103], v72 offset:496
	s_waitcnt lgkmcnt(9)
	v_pk_fma_f16 v135, v120, v105, v131 op_sel:[0,1,0]
	v_pk_fma_f16 v133, v120, v104, v133 op_sel_hi:[1,0,1]
	v_pk_fma_f16 v104, v120, v104, v134 op_sel:[0,1,0]
	v_pk_fma_f16 v105, v120, v105, v132 op_sel_hi:[1,0,1]
	ds_load_2addr_b32 v[131:132], v89 offset1:32
	v_pk_fma_f16 v134, v121, v107, v135 op_sel:[0,1,0]
	v_pk_fma_f16 v133, v121, v106, v133 op_sel_hi:[1,0,1]
	v_pk_fma_f16 v104, v121, v106, v104 op_sel:[0,1,0]
	v_pk_fma_f16 v105, v121, v107, v105 op_sel_hi:[1,0,1]
	ds_load_2addr_b32 v[120:121], v89 offset0:64 offset1:96
	s_waitcnt lgkmcnt(10)
	v_pk_fma_f16 v134, v122, v109, v134 op_sel:[0,1,0]
	v_pk_fma_f16 v133, v122, v108, v133 op_sel_hi:[1,0,1]
	v_pk_fma_f16 v108, v122, v108, v104 op_sel:[0,1,0]
	v_pk_fma_f16 v109, v122, v109, v105 op_sel_hi:[1,0,1]
	ds_load_b128 v[104:107], v72 offset:512
	v_pk_fma_f16 v122, v123, v111, v134 op_sel:[0,1,0]
	v_pk_fma_f16 v133, v123, v110, v133 op_sel_hi:[1,0,1]
	v_pk_fma_f16 v134, v123, v110, v108 op_sel:[0,1,0]
	v_pk_fma_f16 v123, v123, v111, v109 op_sel_hi:[1,0,1]
	ds_load_b128 v[108:111], v72 offset:528
	s_waitcnt lgkmcnt(9)
	v_pk_fma_f16 v135, v52, v113, v122 op_sel:[0,1,0]
	v_pk_fma_f16 v133, v52, v112, v133 op_sel_hi:[1,0,1]
	v_pk_fma_f16 v112, v52, v112, v134 op_sel:[0,1,0]
	v_pk_fma_f16 v52, v52, v113, v123 op_sel_hi:[1,0,1]
	ds_load_2addr_b32 v[122:123], v89 offset0:128 offset1:160
	v_pk_fma_f16 v113, v53, v115, v135 op_sel:[0,1,0]
	v_pk_fma_f16 v133, v53, v114, v133 op_sel_hi:[1,0,1]
	v_pk_fma_f16 v112, v53, v114, v112 op_sel:[0,1,0]
	v_pk_fma_f16 v114, v53, v115, v52 op_sel_hi:[1,0,1]
	ds_load_2addr_b32 v[52:53], v89 offset0:192 offset1:224
	s_waitcnt lgkmcnt(10)
	v_pk_fma_f16 v134, v125, v117, v113 op_sel:[0,1,0]
	v_pk_fma_f16 v133, v125, v116, v133 op_sel_hi:[1,0,1]
	v_pk_fma_f16 v116, v125, v116, v112 op_sel:[0,1,0]
	v_pk_fma_f16 v117, v125, v117, v114 op_sel_hi:[1,0,1]
	ds_load_b128 v[112:115], v72 offset:544
	v_pk_fma_f16 v125, v126, v119, v134 op_sel:[0,1,0]
	v_pk_fma_f16 v133, v126, v118, v133 op_sel_hi:[1,0,1]
	v_pk_fma_f16 v134, v126, v118, v116 op_sel:[0,1,0]
	v_pk_fma_f16 v126, v126, v119, v117 op_sel_hi:[1,0,1]
	ds_load_b128 v[116:119], v72 offset:560
	s_waitcnt lgkmcnt(9)
	v_pk_fma_f16 v135, v127, v49, v125 op_sel:[0,1,0]
	v_pk_fma_f16 v133, v127, v48, v133 op_sel_hi:[1,0,1]
	v_pk_fma_f16 v48, v127, v48, v134 op_sel:[0,1,0]
	v_pk_fma_f16 v49, v127, v49, v126 op_sel_hi:[1,0,1]
	ds_load_2addr_b32 v[125:126], v90 offset1:32
	v_pk_fma_f16 v134, v128, v51, v135 op_sel:[0,1,0]
	v_pk_fma_f16 v133, v128, v50, v133 op_sel_hi:[1,0,1]
	v_pk_fma_f16 v48, v128, v50, v48 op_sel:[0,1,0]
	v_pk_fma_f16 v49, v128, v51, v49 op_sel_hi:[1,0,1]
	ds_load_2addr_b32 v[127:128], v90 offset0:64 offset1:96
	s_waitcnt lgkmcnt(10)
	v_pk_fma_f16 v134, v129, v101, v134 op_sel:[0,1,0]
	v_pk_fma_f16 v133, v129, v100, v133 op_sel_hi:[1,0,1]
	v_pk_fma_f16 v100, v129, v100, v48 op_sel:[0,1,0]
	v_pk_fma_f16 v101, v129, v101, v49 op_sel_hi:[1,0,1]
	ds_load_b128 v[48:51], v72 offset:576
	v_pk_fma_f16 v129, v130, v103, v134 op_sel:[0,1,0]
	v_pk_fma_f16 v133, v130, v102, v133 op_sel_hi:[1,0,1]
	v_pk_fma_f16 v134, v130, v102, v100 op_sel:[0,1,0]
	v_pk_fma_f16 v130, v130, v103, v101 op_sel_hi:[1,0,1]
	ds_load_b128 v[100:103], v72 offset:592
	s_waitcnt lgkmcnt(9)
	v_pk_fma_f16 v135, v131, v105, v129 op_sel:[0,1,0]
	v_pk_fma_f16 v133, v131, v104, v133 op_sel_hi:[1,0,1]
	v_pk_fma_f16 v104, v131, v104, v134 op_sel:[0,1,0]
	v_pk_fma_f16 v105, v131, v105, v130 op_sel_hi:[1,0,1]
	ds_load_2addr_b32 v[129:130], v90 offset0:128 offset1:160
	v_pk_fma_f16 v134, v132, v107, v135 op_sel:[0,1,0]
	v_pk_fma_f16 v133, v132, v106, v133 op_sel_hi:[1,0,1]
	v_pk_fma_f16 v104, v132, v106, v104 op_sel:[0,1,0]
	v_pk_fma_f16 v105, v132, v107, v105 op_sel_hi:[1,0,1]
	ds_load_2addr_b32 v[131:132], v90 offset0:192 offset1:224
	s_waitcnt lgkmcnt(10)
	v_pk_fma_f16 v134, v120, v109, v134 op_sel:[0,1,0]
	v_pk_fma_f16 v133, v120, v108, v133 op_sel_hi:[1,0,1]
	v_pk_fma_f16 v108, v120, v108, v104 op_sel:[0,1,0]
	v_pk_fma_f16 v109, v120, v109, v105 op_sel_hi:[1,0,1]
	ds_load_b128 v[104:107], v72 offset:608
	v_pk_fma_f16 v120, v121, v111, v134 op_sel:[0,1,0]
	v_pk_fma_f16 v133, v121, v110, v133 op_sel_hi:[1,0,1]
	v_pk_fma_f16 v134, v121, v110, v108 op_sel:[0,1,0]
	v_pk_fma_f16 v121, v121, v111, v109 op_sel_hi:[1,0,1]
	ds_load_b128 v[108:111], v72 offset:624
	s_waitcnt lgkmcnt(9)
	v_pk_fma_f16 v135, v122, v113, v120 op_sel:[0,1,0]
	v_pk_fma_f16 v133, v122, v112, v133 op_sel_hi:[1,0,1]
	v_pk_fma_f16 v112, v122, v112, v134 op_sel:[0,1,0]
	v_pk_fma_f16 v113, v122, v113, v121 op_sel_hi:[1,0,1]
	ds_load_2addr_b32 v[120:121], v91 offset1:32
	v_pk_fma_f16 v134, v123, v115, v135 op_sel:[0,1,0]
	v_pk_fma_f16 v133, v123, v114, v133 op_sel_hi:[1,0,1]
	v_pk_fma_f16 v112, v123, v114, v112 op_sel:[0,1,0]
	v_pk_fma_f16 v113, v123, v115, v113 op_sel_hi:[1,0,1]
	ds_load_2addr_b32 v[122:123], v91 offset0:64 offset1:96
	s_waitcnt lgkmcnt(10)
	v_pk_fma_f16 v134, v52, v117, v134 op_sel:[0,1,0]
	v_pk_fma_f16 v133, v52, v116, v133 op_sel_hi:[1,0,1]
	v_pk_fma_f16 v116, v52, v116, v112 op_sel:[0,1,0]
	v_pk_fma_f16 v52, v52, v117, v113 op_sel_hi:[1,0,1]
	ds_load_b128 v[112:115], v72 offset:640
	v_pk_fma_f16 v134, v53, v119, v134 op_sel:[0,1,0]
	v_pk_fma_f16 v133, v53, v118, v133 op_sel_hi:[1,0,1]
	v_pk_fma_f16 v135, v53, v118, v116 op_sel:[0,1,0]
	v_pk_fma_f16 v52, v53, v119, v52 op_sel_hi:[1,0,1]
	ds_load_b128 v[116:119], v72 offset:656
	s_waitcnt lgkmcnt(9)
	v_pk_fma_f16 v134, v125, v49, v134 op_sel:[0,1,0]
	v_pk_fma_f16 v133, v125, v48, v133 op_sel_hi:[1,0,1]
	v_pk_fma_f16 v48, v125, v48, v135 op_sel:[0,1,0]
	v_pk_fma_f16 v49, v125, v49, v52 op_sel_hi:[1,0,1]
	ds_load_2addr_b32 v[52:53], v91 offset0:128 offset1:160
	v_pk_fma_f16 v134, v126, v51, v134 op_sel:[0,1,0]
	v_pk_fma_f16 v133, v126, v50, v133 op_sel_hi:[1,0,1]
	v_pk_fma_f16 v48, v126, v50, v48 op_sel:[0,1,0]
	v_pk_fma_f16 v49, v126, v51, v49 op_sel_hi:[1,0,1]
	ds_load_2addr_b32 v[125:126], v91 offset0:192 offset1:224
	s_waitcnt lgkmcnt(10)
	v_pk_fma_f16 v134, v127, v101, v134 op_sel:[0,1,0]
	v_pk_fma_f16 v133, v127, v100, v133 op_sel_hi:[1,0,1]
	v_pk_fma_f16 v100, v127, v100, v48 op_sel:[0,1,0]
	v_pk_fma_f16 v101, v127, v101, v49 op_sel_hi:[1,0,1]
	ds_load_b128 v[48:51], v72 offset:672
	v_pk_fma_f16 v127, v128, v103, v134 op_sel:[0,1,0]
	v_pk_fma_f16 v133, v128, v102, v133 op_sel_hi:[1,0,1]
	v_pk_fma_f16 v134, v128, v102, v100 op_sel:[0,1,0]
	v_pk_fma_f16 v128, v128, v103, v101 op_sel_hi:[1,0,1]
	ds_load_b128 v[100:103], v72 offset:688
	s_waitcnt lgkmcnt(9)
	v_pk_fma_f16 v135, v129, v105, v127 op_sel:[0,1,0]
	v_pk_fma_f16 v133, v129, v104, v133 op_sel_hi:[1,0,1]
	v_pk_fma_f16 v104, v129, v104, v134 op_sel:[0,1,0]
	v_pk_fma_f16 v105, v129, v105, v128 op_sel_hi:[1,0,1]
	ds_load_2addr_b32 v[127:128], v92 offset1:32
	v_pk_fma_f16 v134, v130, v107, v135 op_sel:[0,1,0]
	v_pk_fma_f16 v133, v130, v106, v133 op_sel_hi:[1,0,1]
	v_pk_fma_f16 v104, v130, v106, v104 op_sel:[0,1,0]
	v_pk_fma_f16 v105, v130, v107, v105 op_sel_hi:[1,0,1]
	ds_load_2addr_b32 v[129:130], v92 offset0:64 offset1:96
	s_waitcnt lgkmcnt(10)
	v_pk_fma_f16 v134, v131, v109, v134 op_sel:[0,1,0]
	v_pk_fma_f16 v133, v131, v108, v133 op_sel_hi:[1,0,1]
	v_pk_fma_f16 v108, v131, v108, v104 op_sel:[0,1,0]
	v_pk_fma_f16 v109, v131, v109, v105 op_sel_hi:[1,0,1]
	ds_load_b128 v[104:107], v72 offset:704
	v_pk_fma_f16 v131, v132, v111, v134 op_sel:[0,1,0]
	v_pk_fma_f16 v133, v132, v110, v133 op_sel_hi:[1,0,1]
	v_pk_fma_f16 v134, v132, v110, v108 op_sel:[0,1,0]
	v_pk_fma_f16 v132, v132, v111, v109 op_sel_hi:[1,0,1]
	ds_load_b128 v[108:111], v72 offset:720
	s_waitcnt lgkmcnt(9)
	v_pk_fma_f16 v135, v120, v113, v131 op_sel:[0,1,0]
	v_pk_fma_f16 v133, v120, v112, v133 op_sel_hi:[1,0,1]
	v_pk_fma_f16 v112, v120, v112, v134 op_sel:[0,1,0]
	v_pk_fma_f16 v113, v120, v113, v132 op_sel_hi:[1,0,1]
	ds_load_2addr_b32 v[131:132], v92 offset0:128 offset1:160
	v_pk_fma_f16 v134, v121, v115, v135 op_sel:[0,1,0]
	v_pk_fma_f16 v133, v121, v114, v133 op_sel_hi:[1,0,1]
	v_pk_fma_f16 v112, v121, v114, v112 op_sel:[0,1,0]
	v_pk_fma_f16 v113, v121, v115, v113 op_sel_hi:[1,0,1]
	ds_load_2addr_b32 v[120:121], v92 offset0:192 offset1:224
	s_waitcnt lgkmcnt(10)
	v_pk_fma_f16 v134, v122, v117, v134 op_sel:[0,1,0]
	v_pk_fma_f16 v133, v122, v116, v133 op_sel_hi:[1,0,1]
	v_pk_fma_f16 v116, v122, v116, v112 op_sel:[0,1,0]
	v_pk_fma_f16 v117, v122, v117, v113 op_sel_hi:[1,0,1]
	ds_load_b128 v[112:115], v72 offset:736
	v_pk_fma_f16 v122, v123, v119, v134 op_sel:[0,1,0]
	v_pk_fma_f16 v133, v123, v118, v133 op_sel_hi:[1,0,1]
	v_pk_fma_f16 v134, v123, v118, v116 op_sel:[0,1,0]
	v_pk_fma_f16 v123, v123, v119, v117 op_sel_hi:[1,0,1]
	ds_load_b128 v[116:119], v72 offset:752
	s_waitcnt lgkmcnt(9)
	v_pk_fma_f16 v135, v52, v49, v122 op_sel:[0,1,0]
	v_pk_fma_f16 v133, v52, v48, v133 op_sel_hi:[1,0,1]
	v_pk_fma_f16 v48, v52, v48, v134 op_sel:[0,1,0]
	v_pk_fma_f16 v49, v52, v49, v123 op_sel_hi:[1,0,1]
	ds_load_2addr_b32 v[122:123], v93 offset1:32
	v_pk_fma_f16 v134, v53, v51, v135 op_sel:[0,1,0]
	v_pk_fma_f16 v133, v53, v50, v133 op_sel_hi:[1,0,1]
	v_pk_fma_f16 v48, v53, v50, v48 op_sel:[0,1,0]
	v_pk_fma_f16 v49, v53, v51, v49 op_sel_hi:[1,0,1]
	ds_load_2addr_b32 v[52:53], v93 offset0:64 offset1:96
	s_waitcnt lgkmcnt(10)
	v_pk_fma_f16 v134, v125, v101, v134 op_sel:[0,1,0]
	v_pk_fma_f16 v133, v125, v100, v133 op_sel_hi:[1,0,1]
	v_pk_fma_f16 v100, v125, v100, v48 op_sel:[0,1,0]
	v_pk_fma_f16 v101, v125, v101, v49 op_sel_hi:[1,0,1]
	ds_load_b128 v[48:51], v72 offset:768
	v_pk_fma_f16 v125, v126, v103, v134 op_sel:[0,1,0]
	v_pk_fma_f16 v133, v126, v102, v133 op_sel_hi:[1,0,1]
	v_pk_fma_f16 v134, v126, v102, v100 op_sel:[0,1,0]
	v_pk_fma_f16 v126, v126, v103, v101 op_sel_hi:[1,0,1]
	ds_load_b128 v[100:103], v72 offset:784
	s_waitcnt lgkmcnt(9)
	v_pk_fma_f16 v135, v127, v105, v125 op_sel:[0,1,0]
	v_pk_fma_f16 v133, v127, v104, v133 op_sel_hi:[1,0,1]
	v_pk_fma_f16 v104, v127, v104, v134 op_sel:[0,1,0]
	v_pk_fma_f16 v105, v127, v105, v126 op_sel_hi:[1,0,1]
	ds_load_2addr_b32 v[125:126], v93 offset0:128 offset1:160
	v_pk_fma_f16 v134, v128, v107, v135 op_sel:[0,1,0]
	v_pk_fma_f16 v133, v128, v106, v133 op_sel_hi:[1,0,1]
	v_pk_fma_f16 v104, v128, v106, v104 op_sel:[0,1,0]
	v_pk_fma_f16 v105, v128, v107, v105 op_sel_hi:[1,0,1]
	ds_load_2addr_b32 v[127:128], v93 offset0:192 offset1:224
	s_waitcnt lgkmcnt(10)
	v_pk_fma_f16 v134, v129, v109, v134 op_sel:[0,1,0]
	v_pk_fma_f16 v133, v129, v108, v133 op_sel_hi:[1,0,1]
	v_pk_fma_f16 v108, v129, v108, v104 op_sel:[0,1,0]
	v_pk_fma_f16 v109, v129, v109, v105 op_sel_hi:[1,0,1]
	ds_load_b128 v[104:107], v72 offset:800
	v_pk_fma_f16 v129, v130, v111, v134 op_sel:[0,1,0]
	v_pk_fma_f16 v133, v130, v110, v133 op_sel_hi:[1,0,1]
	v_pk_fma_f16 v134, v130, v110, v108 op_sel:[0,1,0]
	v_pk_fma_f16 v130, v130, v111, v109 op_sel_hi:[1,0,1]
	ds_load_b128 v[108:111], v72 offset:816
	s_waitcnt lgkmcnt(9)
	v_pk_fma_f16 v135, v131, v113, v129 op_sel:[0,1,0]
	v_pk_fma_f16 v133, v131, v112, v133 op_sel_hi:[1,0,1]
	v_pk_fma_f16 v112, v131, v112, v134 op_sel:[0,1,0]
	v_pk_fma_f16 v113, v131, v113, v130 op_sel_hi:[1,0,1]
	ds_load_2addr_b32 v[129:130], v94 offset1:32
	v_pk_fma_f16 v134, v132, v115, v135 op_sel:[0,1,0]
	v_pk_fma_f16 v133, v132, v114, v133 op_sel_hi:[1,0,1]
	v_pk_fma_f16 v112, v132, v114, v112 op_sel:[0,1,0]
	v_pk_fma_f16 v113, v132, v115, v113 op_sel_hi:[1,0,1]
	ds_load_2addr_b32 v[131:132], v94 offset0:64 offset1:96
	s_waitcnt lgkmcnt(10)
	v_pk_fma_f16 v134, v120, v117, v134 op_sel:[0,1,0]
	v_pk_fma_f16 v133, v120, v116, v133 op_sel_hi:[1,0,1]
	v_pk_fma_f16 v116, v120, v116, v112 op_sel:[0,1,0]
	v_pk_fma_f16 v117, v120, v117, v113 op_sel_hi:[1,0,1]
	ds_load_b128 v[112:115], v72 offset:832
	v_pk_fma_f16 v120, v121, v119, v134 op_sel:[0,1,0]
	v_pk_fma_f16 v133, v121, v118, v133 op_sel_hi:[1,0,1]
	v_pk_fma_f16 v134, v121, v118, v116 op_sel:[0,1,0]
	v_pk_fma_f16 v121, v121, v119, v117 op_sel_hi:[1,0,1]
	ds_load_b128 v[116:119], v72 offset:848
	s_waitcnt lgkmcnt(9)
	v_pk_fma_f16 v135, v122, v49, v120 op_sel:[0,1,0]
	v_pk_fma_f16 v133, v122, v48, v133 op_sel_hi:[1,0,1]
	v_pk_fma_f16 v48, v122, v48, v134 op_sel:[0,1,0]
	v_pk_fma_f16 v49, v122, v49, v121 op_sel_hi:[1,0,1]
	ds_load_2addr_b32 v[120:121], v94 offset0:128 offset1:160
	v_pk_fma_f16 v134, v123, v51, v135 op_sel:[0,1,0]
	v_pk_fma_f16 v133, v123, v50, v133 op_sel_hi:[1,0,1]
	v_pk_fma_f16 v48, v123, v50, v48 op_sel:[0,1,0]
	v_pk_fma_f16 v49, v123, v51, v49 op_sel_hi:[1,0,1]
	ds_load_2addr_b32 v[122:123], v94 offset0:192 offset1:224
	s_waitcnt lgkmcnt(10)
	v_pk_fma_f16 v134, v52, v101, v134 op_sel:[0,1,0]
	v_pk_fma_f16 v133, v52, v100, v133 op_sel_hi:[1,0,1]
	v_pk_fma_f16 v100, v52, v100, v48 op_sel:[0,1,0]
	v_pk_fma_f16 v52, v52, v101, v49 op_sel_hi:[1,0,1]
	ds_load_b128 v[48:51], v72 offset:864
	v_pk_fma_f16 v134, v53, v103, v134 op_sel:[0,1,0]
	v_pk_fma_f16 v133, v53, v102, v133 op_sel_hi:[1,0,1]
	v_pk_fma_f16 v135, v53, v102, v100 op_sel:[0,1,0]
	v_pk_fma_f16 v52, v53, v103, v52 op_sel_hi:[1,0,1]
	ds_load_b128 v[100:103], v72 offset:880
	s_waitcnt lgkmcnt(9)
	v_pk_fma_f16 v134, v125, v105, v134 op_sel:[0,1,0]
	v_pk_fma_f16 v133, v125, v104, v133 op_sel_hi:[1,0,1]
	v_pk_fma_f16 v104, v125, v104, v135 op_sel:[0,1,0]
	v_pk_fma_f16 v105, v125, v105, v52 op_sel_hi:[1,0,1]
	ds_load_2addr_b32 v[52:53], v95 offset1:32
	v_pk_fma_f16 v134, v126, v107, v134 op_sel:[0,1,0]
	v_pk_fma_f16 v133, v126, v106, v133 op_sel_hi:[1,0,1]
	v_pk_fma_f16 v104, v126, v106, v104 op_sel:[0,1,0]
	v_pk_fma_f16 v105, v126, v107, v105 op_sel_hi:[1,0,1]
	ds_load_2addr_b32 v[125:126], v95 offset0:64 offset1:96
	s_waitcnt lgkmcnt(10)
	v_pk_fma_f16 v134, v127, v109, v134 op_sel:[0,1,0]
	v_pk_fma_f16 v133, v127, v108, v133 op_sel_hi:[1,0,1]
	v_pk_fma_f16 v108, v127, v108, v104 op_sel:[0,1,0]
	v_pk_fma_f16 v109, v127, v109, v105 op_sel_hi:[1,0,1]
	ds_load_b128 v[104:107], v72 offset:896
	v_pk_fma_f16 v127, v128, v111, v134 op_sel:[0,1,0]
	v_pk_fma_f16 v133, v128, v110, v133 op_sel_hi:[1,0,1]
	v_pk_fma_f16 v134, v128, v110, v108 op_sel:[0,1,0]
	v_pk_fma_f16 v128, v128, v111, v109 op_sel_hi:[1,0,1]
	ds_load_b128 v[108:111], v72 offset:912
	s_waitcnt lgkmcnt(9)
	v_pk_fma_f16 v135, v129, v113, v127 op_sel:[0,1,0]
	v_pk_fma_f16 v133, v129, v112, v133 op_sel_hi:[1,0,1]
	v_pk_fma_f16 v112, v129, v112, v134 op_sel:[0,1,0]
	v_pk_fma_f16 v113, v129, v113, v128 op_sel_hi:[1,0,1]
	ds_load_2addr_b32 v[127:128], v95 offset0:128 offset1:160
	v_pk_fma_f16 v134, v130, v115, v135 op_sel:[0,1,0]
	v_pk_fma_f16 v133, v130, v114, v133 op_sel_hi:[1,0,1]
	v_pk_fma_f16 v112, v130, v114, v112 op_sel:[0,1,0]
	v_pk_fma_f16 v113, v130, v115, v113 op_sel_hi:[1,0,1]
	ds_load_2addr_b32 v[129:130], v95 offset0:192 offset1:224
	s_waitcnt lgkmcnt(10)
	v_pk_fma_f16 v134, v131, v117, v134 op_sel:[0,1,0]
	v_pk_fma_f16 v133, v131, v116, v133 op_sel_hi:[1,0,1]
	v_pk_fma_f16 v116, v131, v116, v112 op_sel:[0,1,0]
	v_pk_fma_f16 v117, v131, v117, v113 op_sel_hi:[1,0,1]
	ds_load_b128 v[112:115], v72 offset:928
	v_pk_fma_f16 v131, v132, v119, v134 op_sel:[0,1,0]
	v_pk_fma_f16 v133, v132, v118, v133 op_sel_hi:[1,0,1]
	v_pk_fma_f16 v134, v132, v118, v116 op_sel:[0,1,0]
	v_pk_fma_f16 v132, v132, v119, v117 op_sel_hi:[1,0,1]
	ds_load_b128 v[116:119], v72 offset:944
	s_waitcnt lgkmcnt(9)
	v_pk_fma_f16 v135, v120, v49, v131 op_sel:[0,1,0]
	v_pk_fma_f16 v133, v120, v48, v133 op_sel_hi:[1,0,1]
	v_pk_fma_f16 v48, v120, v48, v134 op_sel:[0,1,0]
	v_pk_fma_f16 v49, v120, v49, v132 op_sel_hi:[1,0,1]
	ds_load_2addr_b32 v[131:132], v96 offset1:32
	v_pk_fma_f16 v134, v121, v51, v135 op_sel:[0,1,0]
	v_pk_fma_f16 v133, v121, v50, v133 op_sel_hi:[1,0,1]
	v_pk_fma_f16 v48, v121, v50, v48 op_sel:[0,1,0]
	v_pk_fma_f16 v49, v121, v51, v49 op_sel_hi:[1,0,1]
	ds_load_2addr_b32 v[120:121], v96 offset0:64 offset1:96
	s_waitcnt lgkmcnt(10)
	v_pk_fma_f16 v134, v122, v101, v134 op_sel:[0,1,0]
	v_pk_fma_f16 v133, v122, v100, v133 op_sel_hi:[1,0,1]
	v_pk_fma_f16 v100, v122, v100, v48 op_sel:[0,1,0]
	v_pk_fma_f16 v101, v122, v101, v49 op_sel_hi:[1,0,1]
	ds_load_b128 v[48:51], v72 offset:960
	v_pk_fma_f16 v122, v123, v103, v134 op_sel:[0,1,0]
	v_pk_fma_f16 v133, v123, v102, v133 op_sel_hi:[1,0,1]
	v_pk_fma_f16 v134, v123, v102, v100 op_sel:[0,1,0]
	v_pk_fma_f16 v123, v123, v103, v101 op_sel_hi:[1,0,1]
	ds_load_b128 v[100:103], v72 offset:976
	s_waitcnt lgkmcnt(9)
	v_pk_fma_f16 v135, v52, v105, v122 op_sel:[0,1,0]
	v_pk_fma_f16 v133, v52, v104, v133 op_sel_hi:[1,0,1]
	v_pk_fma_f16 v104, v52, v104, v134 op_sel:[0,1,0]
	v_pk_fma_f16 v52, v52, v105, v123 op_sel_hi:[1,0,1]
	ds_load_2addr_b32 v[122:123], v96 offset0:128 offset1:160
	v_pk_fma_f16 v105, v53, v107, v135 op_sel:[0,1,0]
	v_pk_fma_f16 v133, v53, v106, v133 op_sel_hi:[1,0,1]
	v_pk_fma_f16 v104, v53, v106, v104 op_sel:[0,1,0]
	v_pk_fma_f16 v106, v53, v107, v52 op_sel_hi:[1,0,1]
	ds_load_2addr_b32 v[52:53], v96 offset0:192 offset1:224
	s_waitcnt lgkmcnt(10)
	v_pk_fma_f16 v134, v125, v109, v105 op_sel:[0,1,0]
	v_pk_fma_f16 v133, v125, v108, v133 op_sel_hi:[1,0,1]
	v_pk_fma_f16 v108, v125, v108, v104 op_sel:[0,1,0]
	v_pk_fma_f16 v109, v125, v109, v106 op_sel_hi:[1,0,1]
	ds_load_b128 v[104:107], v72 offset:992
	v_pk_fma_f16 v125, v126, v111, v134 op_sel:[0,1,0]
	v_pk_fma_f16 v133, v126, v110, v133 op_sel_hi:[1,0,1]
	v_pk_fma_f16 v134, v126, v110, v108 op_sel:[0,1,0]
	v_pk_fma_f16 v126, v126, v111, v109 op_sel_hi:[1,0,1]
	ds_load_b128 v[108:111], v72 offset:1008
	s_waitcnt lgkmcnt(9)
	v_pk_fma_f16 v125, v127, v113, v125 op_sel:[0,1,0]
	v_pk_fma_f16 v133, v127, v112, v133 op_sel_hi:[1,0,1]
	v_pk_fma_f16 v112, v127, v112, v134 op_sel:[0,1,0]
	v_pk_fma_f16 v113, v127, v113, v126 op_sel_hi:[1,0,1]
	s_waitcnt lgkmcnt(0)
	v_pk_fma_f16 v125, v128, v115, v125 op_sel:[0,1,0]
	v_pk_fma_f16 v126, v128, v114, v133 op_sel_hi:[1,0,1]
	v_pk_fma_f16 v112, v128, v114, v112 op_sel:[0,1,0]
	v_pk_fma_f16 v113, v128, v115, v113 op_sel_hi:[1,0,1]
	s_barrier
	v_pk_fma_f16 v114, v129, v117, v125 op_sel:[0,1,0]
	v_pk_fma_f16 v115, v129, v116, v126 op_sel_hi:[1,0,1]
	v_pk_fma_f16 v112, v129, v116, v112 op_sel:[0,1,0]
	v_pk_fma_f16 v113, v129, v117, v113 op_sel_hi:[1,0,1]
	buffer_gl0_inv
	v_pk_fma_f16 v114, v130, v119, v114 op_sel:[0,1,0]
	v_pk_fma_f16 v115, v130, v118, v115 op_sel_hi:[1,0,1]
	v_pk_fma_f16 v112, v130, v118, v112 op_sel:[0,1,0]
	v_pk_fma_f16 v113, v130, v119, v113 op_sel_hi:[1,0,1]
	s_load_b32 s2, s[22:23], 0x4
	v_pk_fma_f16 v114, v131, v49, v114 op_sel:[0,1,0]
	v_pk_fma_f16 v115, v131, v48, v115 op_sel_hi:[1,0,1]
	v_pk_fma_f16 v48, v131, v48, v112 op_sel:[0,1,0]
	v_pk_fma_f16 v49, v131, v49, v113 op_sel_hi:[1,0,1]
	s_delay_alu instid0(VALU_DEP_4) | instskip(NEXT) | instid1(VALU_DEP_4)
	v_pk_fma_f16 v45, v132, v51, v114 op_sel:[0,1,0]
	v_pk_fma_f16 v99, v132, v50, v115 op_sel_hi:[1,0,1]
	s_delay_alu instid0(VALU_DEP_4) | instskip(NEXT) | instid1(VALU_DEP_4)
	;; [unrolled: 3-line block ×6, first 2 shown]
	v_pk_fma_f16 v48, v121, v102, v48 op_sel:[0,1,0]
	v_pk_fma_f16 v49, v121, v103, v49 op_sel_hi:[1,0,1]
	v_mov_b32_e32 v40, v47
	v_pk_fma_f16 v46, v122, v105, v46 op_sel:[0,1,0]
	v_pk_fma_f16 v45, v122, v104, v45 op_sel_hi:[1,0,1]
	v_pk_fma_f16 v47, v122, v104, v48 op_sel:[0,1,0]
	v_pk_fma_f16 v48, v122, v105, v49 op_sel_hi:[1,0,1]
	v_fmac_f32_e32 v40, v124, v44
	v_pk_fma_f16 v44, v123, v107, v46 op_sel:[0,1,0]
	v_pk_fma_f16 v45, v123, v106, v45 op_sel_hi:[1,0,1]
	v_pk_fma_f16 v46, v123, v106, v47 op_sel:[0,1,0]
	v_pk_fma_f16 v47, v123, v107, v48 op_sel_hi:[1,0,1]
	s_waitcnt lgkmcnt(0)
	s_lshl_b32 s2, s2, 7
	v_pk_fma_f16 v44, v52, v109, v44 op_sel:[0,1,0]
	v_pk_fma_f16 v45, v52, v108, v45 op_sel_hi:[1,0,1]
	v_pk_fma_f16 v46, v52, v108, v46 op_sel:[0,1,0]
	v_pk_fma_f16 v47, v52, v109, v47 op_sel_hi:[1,0,1]
	s_add_i32 s26, s2, s26
	v_pk_fma_f16 v100, v53, v111, v44 op_sel:[0,1,0]
	v_pk_fma_f16 v103, v53, v110, v45 op_sel_hi:[1,0,1]
	v_pk_fma_f16 v102, v53, v110, v46 op_sel:[0,1,0]
	v_pk_fma_f16 v101, v53, v111, v47 op_sel_hi:[1,0,1]
	s_cmp_ge_i32 s26, s40
	s_cbranch_scc0 .LBB24_9
; %bb.10:
	v_mov_b32_e32 v4, v54
.LBB24_11:
	v_cmp_lt_i32_e32 vcc_lo, v60, v55
	s_cmp_lg_u64 s[24:25], 0
	s_cselect_b32 s2, -1, 0
	s_cmp_eq_u32 s14, 0
	v_cndmask_b32_e32 v5, v4, v60, vcc_lo
	v_cmp_lt_i32_e32 vcc_lo, v59, v55
	s_cselect_b32 s3, -1, 0
	s_delay_alu instid0(SALU_CYCLE_1) | instskip(NEXT) | instid1(VALU_DEP_2)
	s_and_b32 s2, s3, s2
	v_lshlrev_b32_e32 v5, 2, v5
	v_cndmask_b32_e32 v9, v4, v59, vcc_lo
	v_cmp_lt_i32_e32 vcc_lo, v58, v55
	ds_bpermute_b32 v8, v5, v43
	v_cndmask_b32_e32 v16, v4, v58, vcc_lo
	v_cmp_lt_i32_e32 vcc_lo, v57, v55
	s_delay_alu instid0(VALU_DEP_2)
	v_lshlrev_b32_e32 v16, 2, v16
	s_waitcnt lgkmcnt(0)
	v_add_f32_e32 v8, v43, v8
	ds_bpermute_b32 v7, v5, v42
	v_lshlrev_b32_e32 v9, 2, v9
	ds_bpermute_b32 v6, v5, v41
	ds_bpermute_b32 v5, v5, v40
	v_lshlrev_b32_e32 v15, 1, v12
	ds_bpermute_b32 v14, v9, v8
	s_waitcnt lgkmcnt(2)
	v_dual_add_f32 v7, v42, v7 :: v_dual_add_f32 v6, v41, v6
	s_waitcnt lgkmcnt(1)
	v_add_f32_e32 v5, v40, v5
	s_waitcnt lgkmcnt(0)
	v_add_f32_e32 v8, v8, v14
	ds_bpermute_b32 v11, v9, v7
	ds_bpermute_b32 v10, v9, v6
	;; [unrolled: 1-line block ×3, first 2 shown]
	s_waitcnt lgkmcnt(2)
	v_add_f32_e32 v7, v7, v11
	ds_bpermute_b32 v11, v16, v8
	s_waitcnt lgkmcnt(1)
	v_dual_add_f32 v6, v6, v10 :: v_dual_add_f32 v5, v5, v9
	ds_bpermute_b32 v10, v16, v7
	ds_bpermute_b32 v9, v16, v6
	s_waitcnt lgkmcnt(2)
	v_add_f32_e32 v8, v8, v11
	ds_bpermute_b32 v14, v16, v5
	v_cndmask_b32_e32 v16, v4, v57, vcc_lo
	v_cmp_lt_i32_e32 vcc_lo, v56, v55
	s_waitcnt lgkmcnt(1)
	v_dual_add_f32 v7, v7, v10 :: v_dual_add_f32 v6, v6, v9
	s_delay_alu instid0(VALU_DEP_3)
	v_lshlrev_b32_e32 v16, 2, v16
	v_cndmask_b32_e32 v4, v4, v56, vcc_lo
	s_and_b32 vcc_lo, exec_lo, s2
	ds_bpermute_b32 v10, v16, v7
	ds_bpermute_b32 v9, v16, v6
	;; [unrolled: 1-line block ×3, first 2 shown]
	s_waitcnt lgkmcnt(3)
	v_dual_add_f32 v5, v5, v14 :: v_dual_lshlrev_b32 v4, 2, v4
	ds_bpermute_b32 v14, v16, v5
	s_waitcnt lgkmcnt(2)
	v_dual_add_f32 v7, v7, v10 :: v_dual_add_f32 v6, v6, v9
	ds_bpermute_b32 v10, v4, v7
	s_waitcnt lgkmcnt(2)
	v_add_f32_e32 v8, v8, v11
	ds_bpermute_b32 v11, v4, v8
	s_waitcnt lgkmcnt(2)
	v_add_f32_e32 v9, v5, v14
	ds_bpermute_b32 v5, v4, v6
	ds_bpermute_b32 v14, v4, v9
	s_waitcnt lgkmcnt(1)
	v_dual_add_f32 v4, v6, v5 :: v_dual_add_f32 v5, v7, v10
	s_waitcnt lgkmcnt(0)
	v_dual_add_f32 v6, v8, v11 :: v_dual_add_f32 v7, v9, v14
	s_cbranch_vccz .LBB24_14
; %bb.12:
	s_ashr_i32 s35, s34, 31
	v_dual_mov_b32 v8, 0 :: v_dual_max_f32 v17, v1, v1
	s_lshl_b64 s[2:3], s[34:35], 2
	v_dual_max_f32 v14, v0, v0 :: v_dual_max_f32 v19, v3, v3
	s_add_u32 s2, s24, s2
	s_addc_u32 s3, s25, s3
	global_load_b128 v[8:11], v8, s[2:3]
	s_waitcnt vmcnt(0)
	v_dual_max_f32 v16, v8, v8 :: v_dual_max_f32 v21, v10, v10
	v_max_f32_e32 v22, v11, v11
	s_delay_alu instid0(VALU_DEP_1) | instskip(NEXT) | instid1(VALU_DEP_1)
	v_dual_max_f32 v20, v9, v9 :: v_dual_max_f32 v19, v19, v22
	v_dual_max_f32 v18, v2, v2 :: v_dual_max_f32 v17, v17, v20
	s_delay_alu instid0(VALU_DEP_2) | instskip(NEXT) | instid1(VALU_DEP_1)
	v_dual_max_f32 v16, v14, v16 :: v_dual_sub_f32 v11, v11, v19
	v_dual_sub_f32 v9, v9, v17 :: v_dual_sub_f32 v8, v8, v16
	s_delay_alu instid0(VALU_DEP_3) | instskip(SKIP_1) | instid1(VALU_DEP_2)
	v_max_f32_e32 v18, v18, v21
	v_sub_f32_e32 v14, v0, v16
	v_dual_sub_f32 v20, v1, v17 :: v_dual_sub_f32 v21, v2, v18
	v_sub_f32_e32 v22, v3, v19
	s_delay_alu instid0(VALU_DEP_3) | instskip(NEXT) | instid1(VALU_DEP_3)
	v_cmp_ngt_f32_e32 vcc_lo, 0xc2ce8ed0, v14
	v_dual_mul_f32 v23, 0x3fb8aa3b, v21 :: v_dual_mov_b32 v0, v16
	s_delay_alu instid0(VALU_DEP_3)
	v_mul_f32_e32 v25, 0x3fb8aa3b, v22
	v_dual_mov_b32 v1, v17 :: v_dual_mov_b32 v2, v18
	v_mov_b32_e32 v3, v19
	v_dual_mul_f32 v17, 0x3fb8aa3b, v8 :: v_dual_sub_f32 v10, v10, v18
	v_mul_f32_e32 v19, 0x3fb8aa3b, v9
	v_rndne_f32_e32 v36, v23
	v_mul_f32_e32 v16, 0x3fb8aa3b, v14
	v_fma_f32 v35, 0x3fb8aa3b, v21, -v23
	v_rndne_f32_e32 v40, v25
	s_delay_alu instid0(VALU_DEP_4) | instskip(NEXT) | instid1(VALU_DEP_4)
	v_dual_mul_f32 v24, 0x3fb8aa3b, v10 :: v_dual_sub_f32 v23, v23, v36
	v_fma_f32 v27, 0x3fb8aa3b, v14, -v16
	v_rndne_f32_e32 v28, v16
	v_fma_f32 v33, 0x3fb8aa3b, v9, -v19
	v_fma_f32 v39, 0x3fb8aa3b, v22, -v25
	v_sub_f32_e32 v25, v25, v40
	v_fma_f32 v37, 0x3fb8aa3b, v10, -v24
	v_dual_fmac_f32 v27, 0x32a5705f, v14 :: v_dual_sub_f32 v16, v16, v28
	v_fmac_f32_e32 v33, 0x32a5705f, v9
	v_fma_f32 v29, 0x3fb8aa3b, v8, -v17
	s_delay_alu instid0(VALU_DEP_4)
	v_fmac_f32_e32 v37, 0x32a5705f, v10
	v_rndne_f32_e32 v30, v17
	v_add_f32_e32 v16, v16, v27
	v_mul_f32_e32 v18, 0x3fb8aa3b, v20
	v_rndne_f32_e32 v34, v19
	v_mul_f32_e32 v26, 0x3fb8aa3b, v11
	v_rndne_f32_e32 v38, v24
	v_exp_f32_e32 v16, v16
	v_cvt_i32_f32_e32 v28, v28
	v_sub_f32_e32 v19, v19, v34
	v_fma_f32 v41, 0x3fb8aa3b, v11, -v26
	v_rndne_f32_e32 v42, v26
	v_dual_fmac_f32 v29, 0x32a5705f, v8 :: v_dual_sub_f32 v24, v24, v38
	v_sub_f32_e32 v17, v17, v30
	v_fma_f32 v31, 0x3fb8aa3b, v20, -v18
	v_rndne_f32_e32 v32, v18
	v_fmac_f32_e32 v35, 0x32a5705f, v21
	v_dual_fmac_f32 v41, 0x32a5705f, v11 :: v_dual_add_f32 v24, v24, v37
	s_delay_alu instid0(VALU_DEP_4) | instskip(NEXT) | instid1(VALU_DEP_4)
	v_dual_fmac_f32 v31, 0x32a5705f, v20 :: v_dual_sub_f32 v26, v26, v42
	v_sub_f32_e32 v18, v18, v32
	v_ldexp_f32 v16, v16, v28
	v_add_f32_e32 v17, v17, v29
	v_fmac_f32_e32 v39, 0x32a5705f, v22
	v_dual_add_f32 v23, v23, v35 :: v_dual_add_f32 v26, v26, v41
	v_add_f32_e32 v18, v18, v31
	v_cndmask_b32_e32 v16, 0, v16, vcc_lo
	v_exp_f32_e32 v17, v17
	v_cvt_i32_f32_e32 v30, v30
	v_exp_f32_e32 v26, v26
	v_exp_f32_e32 v18, v18
	v_cvt_i32_f32_e32 v32, v32
	v_cvt_i32_f32_e32 v29, v42
	v_cmp_ngt_f32_e32 vcc_lo, 0xc2ce8ed0, v8
	v_cvt_i32_f32_e32 v34, v34
	v_exp_f32_e32 v23, v23
	v_cvt_i32_f32_e32 v36, v36
	v_ldexp_f32 v17, v17, v30
	v_exp_f32_e32 v24, v24
	v_ldexp_f32 v26, v26, v29
	v_ldexp_f32 v18, v18, v32
	v_cvt_i32_f32_e32 v38, v38
	v_cndmask_b32_e32 v17, 0, v17, vcc_lo
	v_cmp_ngt_f32_e32 vcc_lo, 0xc2ce8ed0, v20
	v_add_f32_e32 v19, v19, v33
	v_ldexp_f32 v23, v23, v36
	v_cvt_i32_f32_e32 v27, v40
	v_cndmask_b32_e32 v18, 0, v18, vcc_lo
	s_delay_alu instid0(VALU_DEP_4) | instskip(SKIP_4) | instid1(VALU_DEP_1)
	v_exp_f32_e32 v19, v19
	v_cmp_ngt_f32_e32 vcc_lo, 0xc2ce8ed0, v9
	v_ldexp_f32 v24, v24, v38
	s_waitcnt_depctr 0xfff
	v_ldexp_f32 v19, v19, v34
	v_cndmask_b32_e32 v19, 0, v19, vcc_lo
	v_cmp_ngt_f32_e32 vcc_lo, 0xc2ce8ed0, v21
	v_cndmask_b32_e32 v23, 0, v23, vcc_lo
	v_cmp_ngt_f32_e32 vcc_lo, 0xc2ce8ed0, v10
	v_dual_add_f32 v25, v25, v39 :: v_dual_cndmask_b32 v24, 0, v24
	s_delay_alu instid0(VALU_DEP_1) | instskip(SKIP_3) | instid1(VALU_DEP_1)
	v_exp_f32_e32 v25, v25
	v_cmp_ngt_f32_e32 vcc_lo, 0xc2ce8ed0, v22
	s_waitcnt_depctr 0xfff
	v_ldexp_f32 v25, v25, v27
	v_cndmask_b32_e32 v25, 0, v25, vcc_lo
	v_cmp_ngt_f32_e32 vcc_lo, 0xc2ce8ed0, v11
	v_cndmask_b32_e32 v26, 0, v26, vcc_lo
	v_cmp_nlt_f32_e32 vcc_lo, 0x42b17218, v14
	v_cndmask_b32_e32 v14, 0x7f800000, v16, vcc_lo
	v_cmp_nlt_f32_e32 vcc_lo, 0x42b17218, v8
	;; [unrolled: 2-line block ×3, first 2 shown]
	s_delay_alu instid0(VALU_DEP_2)
	v_fmac_f32_e32 v8, v4, v14
	v_cndmask_b32_e32 v16, 0x7f800000, v18, vcc_lo
	v_cmp_nlt_f32_e32 vcc_lo, 0x42b17218, v9
	v_cvt_f16_f32_e32 v4, v14
	v_cndmask_b32_e32 v9, 0x7f800000, v19, vcc_lo
	v_cmp_nlt_f32_e32 vcc_lo, 0x42b17218, v21
	s_delay_alu instid0(VALU_DEP_3)
	v_pk_mul_f16 v103, v103, v4 op_sel_hi:[1,0]
	v_dual_mov_b32 v4, v8 :: v_dual_cndmask_b32 v17, 0x7f800000, v23
	v_cmp_nlt_f32_e32 vcc_lo, 0x42b17218, v10
	v_cndmask_b32_e32 v10, 0x7f800000, v24, vcc_lo
	v_cmp_nlt_f32_e32 vcc_lo, 0x42b17218, v22
	v_cndmask_b32_e32 v18, 0x7f800000, v25, vcc_lo
	v_cmp_nlt_f32_e32 vcc_lo, 0x42b17218, v11
	s_delay_alu instid0(VALU_DEP_2) | instskip(SKIP_1) | instid1(VALU_DEP_2)
	v_cvt_f16_f32_e32 v14, v18
	v_cndmask_b32_e32 v11, 0x7f800000, v26, vcc_lo
	v_pk_mul_f16 v100, v100, v14 op_sel_hi:[1,0]
	s_delay_alu instid0(VALU_DEP_2) | instskip(NEXT) | instid1(VALU_DEP_1)
	v_fmac_f32_e32 v11, v7, v18
	v_dual_mov_b32 v7, v11 :: v_dual_fmac_f32 v10, v6, v17
	v_cvt_f16_f32_e32 v6, v17
	s_delay_alu instid0(VALU_DEP_1) | instskip(NEXT) | instid1(VALU_DEP_3)
	v_pk_mul_f16 v101, v101, v6 op_sel_hi:[1,0]
	v_dual_mov_b32 v6, v10 :: v_dual_fmac_f32 v9, v5, v16
	v_cvt_f16_f32_e32 v5, v16
	s_delay_alu instid0(VALU_DEP_1) | instskip(NEXT) | instid1(VALU_DEP_3)
	v_pk_mul_f16 v102, v102, v5 op_sel_hi:[1,0]
	v_mov_b32_e32 v5, v9
	s_mov_b32 s2, exec_lo
	v_cmpx_gt_i32_e64 s38, v13
	s_cbranch_execnz .LBB24_15
.LBB24_13:
	s_nop 0
	s_sendmsg sendmsg(MSG_DEALLOC_VGPRS)
	s_endpgm
.LBB24_14:
	s_delay_alu instid0(VALU_DEP_1)
	v_dual_mov_b32 v11, v7 :: v_dual_mov_b32 v10, v6
	v_dual_mov_b32 v9, v5 :: v_dual_mov_b32 v8, v4
	s_mov_b32 s2, exec_lo
	v_cmpx_gt_i32_e64 s38, v13
	s_cbranch_execz .LBB24_13
.LBB24_15:
	s_load_b32 s1, s[0:1], 0xd4
	v_mov_b32_e32 v16, 1.0
	s_waitcnt lgkmcnt(0)
	s_cmp_lg_u32 s1, 1
	s_cselect_b32 s3, -1, 0
	s_cmp_eq_u32 s1, 1
	s_cselect_b32 s2, -1, 0
	s_and_b32 vcc_lo, exec_lo, s3
	s_cbranch_vccnz .LBB24_17
; %bb.16:
	v_div_scale_f32 v14, null, v4, v4, 1.0
	s_delay_alu instid0(VALU_DEP_1) | instskip(SKIP_2) | instid1(VALU_DEP_1)
	v_rcp_f32_e32 v16, v14
	s_waitcnt_depctr 0xfff
	v_fma_f32 v17, -v14, v16, 1.0
	v_fmac_f32_e32 v16, v17, v16
	v_div_scale_f32 v17, vcc_lo, 1.0, v4, 1.0
	s_delay_alu instid0(VALU_DEP_1) | instskip(NEXT) | instid1(VALU_DEP_1)
	v_mul_f32_e32 v18, v17, v16
	v_fma_f32 v19, -v14, v18, v17
	s_delay_alu instid0(VALU_DEP_1) | instskip(NEXT) | instid1(VALU_DEP_1)
	v_fmac_f32_e32 v18, v19, v16
	v_fma_f32 v14, -v14, v18, v17
	s_delay_alu instid0(VALU_DEP_1) | instskip(NEXT) | instid1(VALU_DEP_1)
	v_div_fmas_f32 v14, v14, v16, v18
	v_div_fixup_f32 v16, v14, v4, 1.0
.LBB24_17:
	v_mad_u64_u32 v[17:18], null, s33, s38, v[13:14]
	v_lshrrev_b32_e32 v4, 16, v103
	v_cmp_eq_u32_e32 vcc_lo, 0, v12
	s_delay_alu instid0(VALU_DEP_2) | instskip(NEXT) | instid1(VALU_DEP_4)
	v_cvt_f32_f16_e32 v4, v4
	v_mad_u64_u32 v[18:19], null, v17, s39, s[34:35]
	s_delay_alu instid0(VALU_DEP_2) | instskip(NEXT) | instid1(VALU_DEP_2)
	v_mul_f32_e32 v20, v16, v4
	v_mad_u64_u32 v[13:14], null, s1, v18, s[14:15]
	v_cvt_f32_f16_e32 v14, v103
	s_delay_alu instid0(VALU_DEP_1) | instskip(NEXT) | instid1(VALU_DEP_3)
	v_dual_mov_b32 v18, 0 :: v_dual_mul_f32 v19, v16, v14
	v_lshl_add_u32 v17, v13, 6, v15
	s_delay_alu instid0(VALU_DEP_1) | instskip(NEXT) | instid1(VALU_DEP_1)
	v_lshlrev_b64 v[17:18], 2, v[17:18]
	v_add_co_u32 v16, s0, s28, v17
	s_delay_alu instid0(VALU_DEP_1)
	v_add_co_ci_u32_e64 v17, s0, s29, v18, s0
	s_and_b32 s0, vcc_lo, s3
	global_store_b64 v[16:17], v[19:20], off
	s_and_saveexec_b32 s3, s0
	s_cbranch_execz .LBB24_19
; %bb.18:
	v_ashrrev_i32_e32 v14, 31, v13
	v_mov_b32_e32 v18, v0
	v_mov_b32_e32 v19, v8
	s_delay_alu instid0(VALU_DEP_3) | instskip(NEXT) | instid1(VALU_DEP_1)
	v_lshlrev_b64 v[16:17], 3, v[13:14]
	v_add_co_u32 v16, vcc_lo, s30, v16
	s_delay_alu instid0(VALU_DEP_2)
	v_add_co_ci_u32_e32 v17, vcc_lo, s31, v17, vcc_lo
	global_store_b64 v[16:17], v[18:19], off
.LBB24_19:
	s_or_b32 exec_lo, exec_lo, s3
	v_cndmask_b32_e64 v12, 0, 1, s2
	v_mov_b32_e32 v0, 1.0
	s_and_not1_b32 vcc_lo, exec_lo, s2
	s_cbranch_vccnz .LBB24_21
; %bb.20:
	v_div_scale_f32 v0, null, v5, v5, 1.0
	s_delay_alu instid0(VALU_DEP_1) | instskip(SKIP_2) | instid1(VALU_DEP_1)
	v_rcp_f32_e32 v4, v0
	s_waitcnt_depctr 0xfff
	v_fma_f32 v8, -v0, v4, 1.0
	v_fmac_f32_e32 v4, v8, v4
	v_div_scale_f32 v8, vcc_lo, 1.0, v5, 1.0
	s_delay_alu instid0(VALU_DEP_1) | instskip(NEXT) | instid1(VALU_DEP_1)
	v_mul_f32_e32 v14, v8, v4
	v_fma_f32 v16, -v0, v14, v8
	s_delay_alu instid0(VALU_DEP_1) | instskip(NEXT) | instid1(VALU_DEP_1)
	v_fmac_f32_e32 v14, v16, v4
	v_fma_f32 v0, -v0, v14, v8
	s_delay_alu instid0(VALU_DEP_1) | instskip(NEXT) | instid1(VALU_DEP_1)
	v_div_fmas_f32 v0, v0, v4, v14
	v_div_fixup_f32 v0, v0, v5, 1.0
.LBB24_21:
	v_add_nc_u32_e32 v4, s1, v13
	v_lshrrev_b32_e32 v5, 16, v102
	v_cvt_f32_f16_e32 v8, v102
	s_delay_alu instid0(VALU_DEP_3) | instskip(NEXT) | instid1(VALU_DEP_3)
	v_lshl_add_u32 v13, v4, 6, v15
	v_cvt_f32_f16_e32 v5, v5
	v_mov_b32_e32 v14, 0
	s_delay_alu instid0(VALU_DEP_4) | instskip(NEXT) | instid1(VALU_DEP_3)
	v_mul_f32_e32 v16, v0, v8
	v_mul_f32_e32 v17, v0, v5
	s_delay_alu instid0(VALU_DEP_3) | instskip(NEXT) | instid1(VALU_DEP_1)
	v_lshlrev_b64 v[13:14], 2, v[13:14]
	v_add_co_u32 v13, vcc_lo, s28, v13
	s_delay_alu instid0(VALU_DEP_2)
	v_add_co_ci_u32_e32 v14, vcc_lo, s29, v14, vcc_lo
	global_store_b64 v[13:14], v[16:17], off
	s_and_saveexec_b32 s2, s0
	s_cbranch_execz .LBB24_23
; %bb.22:
	v_ashrrev_i32_e32 v5, 31, v4
	v_mov_b32_e32 v8, v1
	s_delay_alu instid0(VALU_DEP_2) | instskip(NEXT) | instid1(VALU_DEP_1)
	v_lshlrev_b64 v[13:14], 3, v[4:5]
	v_add_co_u32 v13, vcc_lo, s30, v13
	s_delay_alu instid0(VALU_DEP_2)
	v_add_co_ci_u32_e32 v14, vcc_lo, s31, v14, vcc_lo
	global_store_b64 v[13:14], v[8:9], off
.LBB24_23:
	s_or_b32 exec_lo, exec_lo, s2
	v_cmp_ne_u32_e32 vcc_lo, 1, v12
	v_mov_b32_e32 v1, 1.0
	s_cbranch_vccnz .LBB24_25
; %bb.24:
	v_div_scale_f32 v0, null, v6, v6, 1.0
	s_delay_alu instid0(VALU_DEP_1) | instskip(SKIP_2) | instid1(VALU_DEP_1)
	v_rcp_f32_e32 v1, v0
	s_waitcnt_depctr 0xfff
	v_fma_f32 v5, -v0, v1, 1.0
	v_fmac_f32_e32 v1, v5, v1
	v_div_scale_f32 v5, vcc_lo, 1.0, v6, 1.0
	s_delay_alu instid0(VALU_DEP_1) | instskip(NEXT) | instid1(VALU_DEP_1)
	v_mul_f32_e32 v8, v5, v1
	v_fma_f32 v9, -v0, v8, v5
	s_delay_alu instid0(VALU_DEP_1) | instskip(NEXT) | instid1(VALU_DEP_1)
	v_fmac_f32_e32 v8, v9, v1
	v_fma_f32 v0, -v0, v8, v5
	s_delay_alu instid0(VALU_DEP_1) | instskip(NEXT) | instid1(VALU_DEP_1)
	v_div_fmas_f32 v0, v0, v1, v8
	v_div_fixup_f32 v1, v0, v6, 1.0
.LBB24_25:
	v_dual_mov_b32 v5, 0 :: v_dual_add_nc_u32 v0, s1, v4
	v_lshrrev_b32_e32 v6, 16, v101
	v_cvt_f32_f16_e32 v8, v101
	s_delay_alu instid0(VALU_DEP_3) | instskip(NEXT) | instid1(VALU_DEP_3)
	v_lshl_add_u32 v4, v0, 6, v15
	v_cvt_f32_f16_e32 v6, v6
	s_delay_alu instid0(VALU_DEP_3) | instskip(NEXT) | instid1(VALU_DEP_3)
	v_mul_f32_e32 v8, v1, v8
	v_lshlrev_b64 v[4:5], 2, v[4:5]
	s_delay_alu instid0(VALU_DEP_3) | instskip(NEXT) | instid1(VALU_DEP_2)
	v_mul_f32_e32 v9, v1, v6
	v_add_co_u32 v4, vcc_lo, s28, v4
	s_delay_alu instid0(VALU_DEP_3)
	v_add_co_ci_u32_e32 v5, vcc_lo, s29, v5, vcc_lo
	global_store_b64 v[4:5], v[8:9], off
	s_and_saveexec_b32 s2, s0
	s_cbranch_execz .LBB24_27
; %bb.26:
	v_ashrrev_i32_e32 v1, 31, v0
	v_mov_b32_e32 v9, v2
	s_delay_alu instid0(VALU_DEP_2) | instskip(NEXT) | instid1(VALU_DEP_1)
	v_lshlrev_b64 v[4:5], 3, v[0:1]
	v_add_co_u32 v4, vcc_lo, s30, v4
	s_delay_alu instid0(VALU_DEP_2)
	v_add_co_ci_u32_e32 v5, vcc_lo, s31, v5, vcc_lo
	global_store_b64 v[4:5], v[9:10], off
.LBB24_27:
	s_or_b32 exec_lo, exec_lo, s2
	v_cmp_ne_u32_e32 vcc_lo, 1, v12
	v_mov_b32_e32 v1, 1.0
	s_cbranch_vccnz .LBB24_29
; %bb.28:
	v_div_scale_f32 v1, null, v7, v7, 1.0
	s_delay_alu instid0(VALU_DEP_1) | instskip(SKIP_2) | instid1(VALU_DEP_1)
	v_rcp_f32_e32 v2, v1
	s_waitcnt_depctr 0xfff
	v_fma_f32 v4, -v1, v2, 1.0
	v_fmac_f32_e32 v2, v4, v2
	v_div_scale_f32 v4, vcc_lo, 1.0, v7, 1.0
	s_delay_alu instid0(VALU_DEP_1) | instskip(NEXT) | instid1(VALU_DEP_1)
	v_mul_f32_e32 v5, v4, v2
	v_fma_f32 v6, -v1, v5, v4
	s_delay_alu instid0(VALU_DEP_1) | instskip(NEXT) | instid1(VALU_DEP_1)
	v_fmac_f32_e32 v5, v6, v2
	v_fma_f32 v1, -v1, v5, v4
	s_delay_alu instid0(VALU_DEP_1) | instskip(NEXT) | instid1(VALU_DEP_1)
	v_div_fmas_f32 v1, v1, v2, v5
	v_div_fixup_f32 v1, v1, v7, 1.0
.LBB24_29:
	v_dual_mov_b32 v5, 0 :: v_dual_add_nc_u32 v0, s1, v0
	v_lshrrev_b32_e32 v2, 16, v100
	v_cvt_f32_f16_e32 v6, v100
	s_delay_alu instid0(VALU_DEP_3) | instskip(NEXT) | instid1(VALU_DEP_3)
	v_lshl_add_u32 v4, v0, 6, v15
	v_cvt_f32_f16_e32 v2, v2
	s_delay_alu instid0(VALU_DEP_3) | instskip(NEXT) | instid1(VALU_DEP_3)
	v_mul_f32_e32 v6, v1, v6
	v_lshlrev_b64 v[4:5], 2, v[4:5]
	s_delay_alu instid0(VALU_DEP_3) | instskip(NEXT) | instid1(VALU_DEP_2)
	v_mul_f32_e32 v7, v1, v2
	v_add_co_u32 v1, vcc_lo, s28, v4
	s_delay_alu instid0(VALU_DEP_3)
	v_add_co_ci_u32_e32 v2, vcc_lo, s29, v5, vcc_lo
	global_store_b64 v[1:2], v[6:7], off
	s_and_b32 exec_lo, exec_lo, s0
	s_cbranch_execz .LBB24_13
; %bb.30:
	v_ashrrev_i32_e32 v1, 31, v0
	v_mov_b32_e32 v10, v3
	s_delay_alu instid0(VALU_DEP_2) | instskip(NEXT) | instid1(VALU_DEP_1)
	v_lshlrev_b64 v[0:1], 3, v[0:1]
	v_add_co_u32 v0, vcc_lo, s30, v0
	s_delay_alu instid0(VALU_DEP_2)
	v_add_co_ci_u32_e32 v1, vcc_lo, s31, v1, vcc_lo
	global_store_b64 v[0:1], v[10:11], off
	s_nop 0
	s_sendmsg sendmsg(MSG_DEALLOC_VGPRS)
	s_endpgm
	.section	.rodata,"a",@progbits
	.p2align	6, 0x0
	.amdhsa_kernel _ZL15flash_attn_tileILi64ELi64ELi4ELi4ELb0EEvPKcS1_S1_S1_S1_PKiPfP15HIP_vector_typeIfLj2EEffffjfiS5_IjLj3EEiiiiiiiiiiiliiliiiiil
		.amdhsa_group_segment_fixed_size 24576
		.amdhsa_private_segment_fixed_size 0
		.amdhsa_kernarg_size 464
		.amdhsa_user_sgpr_count 13
		.amdhsa_user_sgpr_dispatch_ptr 0
		.amdhsa_user_sgpr_queue_ptr 0
		.amdhsa_user_sgpr_kernarg_segment_ptr 1
		.amdhsa_user_sgpr_dispatch_id 0
		.amdhsa_user_sgpr_private_segment_size 0
		.amdhsa_wavefront_size32 1
		.amdhsa_uses_dynamic_stack 0
		.amdhsa_enable_private_segment 0
		.amdhsa_system_sgpr_workgroup_id_x 1
		.amdhsa_system_sgpr_workgroup_id_y 1
		.amdhsa_system_sgpr_workgroup_id_z 1
		.amdhsa_system_sgpr_workgroup_info 0
		.amdhsa_system_vgpr_workitem_id 1
		.amdhsa_next_free_vgpr 203
		.amdhsa_next_free_sgpr 45
		.amdhsa_reserve_vcc 1
		.amdhsa_float_round_mode_32 0
		.amdhsa_float_round_mode_16_64 0
		.amdhsa_float_denorm_mode_32 3
		.amdhsa_float_denorm_mode_16_64 3
		.amdhsa_dx10_clamp 1
		.amdhsa_ieee_mode 1
		.amdhsa_fp16_overflow 0
		.amdhsa_workgroup_processor_mode 1
		.amdhsa_memory_ordered 1
		.amdhsa_forward_progress 0
		.amdhsa_shared_vgpr_count 0
		.amdhsa_exception_fp_ieee_invalid_op 0
		.amdhsa_exception_fp_denorm_src 0
		.amdhsa_exception_fp_ieee_div_zero 0
		.amdhsa_exception_fp_ieee_overflow 0
		.amdhsa_exception_fp_ieee_underflow 0
		.amdhsa_exception_fp_ieee_inexact 0
		.amdhsa_exception_int_div_zero 0
	.end_amdhsa_kernel
	.section	.text._ZL15flash_attn_tileILi64ELi64ELi4ELi4ELb0EEvPKcS1_S1_S1_S1_PKiPfP15HIP_vector_typeIfLj2EEffffjfiS5_IjLj3EEiiiiiiiiiiiliiliiiiil,"axG",@progbits,_ZL15flash_attn_tileILi64ELi64ELi4ELi4ELb0EEvPKcS1_S1_S1_S1_PKiPfP15HIP_vector_typeIfLj2EEffffjfiS5_IjLj3EEiiiiiiiiiiiliiliiiiil,comdat
.Lfunc_end24:
	.size	_ZL15flash_attn_tileILi64ELi64ELi4ELi4ELb0EEvPKcS1_S1_S1_S1_PKiPfP15HIP_vector_typeIfLj2EEffffjfiS5_IjLj3EEiiiiiiiiiiiliiliiiiil, .Lfunc_end24-_ZL15flash_attn_tileILi64ELi64ELi4ELi4ELb0EEvPKcS1_S1_S1_S1_PKiPfP15HIP_vector_typeIfLj2EEffffjfiS5_IjLj3EEiiiiiiiiiiiliiliiiiil
                                        ; -- End function
	.section	.AMDGPU.csdata,"",@progbits
; Kernel info:
; codeLenInByte = 25200
; NumSgprs: 47
; NumVgprs: 203
; ScratchSize: 0
; MemoryBound: 0
; FloatMode: 240
; IeeeMode: 1
; LDSByteSize: 24576 bytes/workgroup (compile time only)
; SGPRBlocks: 5
; VGPRBlocks: 25
; NumSGPRsForWavesPerEU: 47
; NumVGPRsForWavesPerEU: 203
; Occupancy: 5
; WaveLimiterHint : 1
; COMPUTE_PGM_RSRC2:SCRATCH_EN: 0
; COMPUTE_PGM_RSRC2:USER_SGPR: 13
; COMPUTE_PGM_RSRC2:TRAP_HANDLER: 0
; COMPUTE_PGM_RSRC2:TGID_X_EN: 1
; COMPUTE_PGM_RSRC2:TGID_Y_EN: 1
; COMPUTE_PGM_RSRC2:TGID_Z_EN: 1
; COMPUTE_PGM_RSRC2:TIDIG_COMP_CNT: 1
	.section	.text._ZL33flash_attn_stream_k_fixup_uniformILi64ELi4ELi4EEvPfPK15HIP_vector_typeIfLj2EEiiiiiiS1_IjLj3EES5_S5_,"axG",@progbits,_ZL33flash_attn_stream_k_fixup_uniformILi64ELi4ELi4EEvPfPK15HIP_vector_typeIfLj2EEiiiiiiS1_IjLj3EES5_S5_,comdat
	.globl	_ZL33flash_attn_stream_k_fixup_uniformILi64ELi4ELi4EEvPfPK15HIP_vector_typeIfLj2EEiiiiiiS1_IjLj3EES5_S5_ ; -- Begin function _ZL33flash_attn_stream_k_fixup_uniformILi64ELi4ELi4EEvPfPK15HIP_vector_typeIfLj2EEiiiiiiS1_IjLj3EES5_S5_
	.p2align	8
	.type	_ZL33flash_attn_stream_k_fixup_uniformILi64ELi4ELi4EEvPfPK15HIP_vector_typeIfLj2EEiiiiiiS1_IjLj3EES5_S5_,@function
_ZL33flash_attn_stream_k_fixup_uniformILi64ELi4ELi4EEvPfPK15HIP_vector_typeIfLj2EEiiiiiiS1_IjLj3EES5_S5_: ; @_ZL33flash_attn_stream_k_fixup_uniformILi64ELi4ELi4EEvPfPK15HIP_vector_typeIfLj2EEiiiiiiS1_IjLj3EES5_S5_
; %bb.0:
	s_clause 0x1
	s_load_b256 s[4:11], s[0:1], 0x1c
	s_load_b128 s[16:19], s[0:1], 0x3c
	s_waitcnt lgkmcnt(0)
	s_mul_hi_u32 s2, s7, s13
	s_delay_alu instid0(SALU_CYCLE_1) | instskip(NEXT) | instid1(SALU_CYCLE_1)
	s_add_i32 s2, s13, s2
	s_lshr_b32 s2, s2, s8
	s_delay_alu instid0(SALU_CYCLE_1) | instskip(SKIP_2) | instid1(SALU_CYCLE_1)
	s_mul_i32 s3, s2, s9
	s_load_b64 s[8:9], s[0:1], 0x10
	s_sub_i32 s7, s13, s3
	s_mul_hi_u32 s3, s7, s10
	s_delay_alu instid0(SALU_CYCLE_1) | instskip(NEXT) | instid1(SALU_CYCLE_1)
	s_add_i32 s3, s7, s3
	s_lshr_b32 s3, s3, s11
	s_delay_alu instid0(SALU_CYCLE_1) | instskip(NEXT) | instid1(SALU_CYCLE_1)
	s_mul_i32 s10, s3, s16
	s_sub_i32 s7, s7, s10
	s_delay_alu instid0(SALU_CYCLE_1) | instskip(NEXT) | instid1(SALU_CYCLE_1)
	s_mul_hi_u32 s10, s7, s17
	s_add_i32 s10, s7, s10
	s_delay_alu instid0(SALU_CYCLE_1) | instskip(NEXT) | instid1(SALU_CYCLE_1)
	s_lshr_b32 s10, s10, s18
	s_mul_i32 s11, s10, s19
	s_lshl_b32 s10, s10, 2
	s_sub_i32 s7, s7, s11
	s_delay_alu instid0(SALU_CYCLE_1) | instskip(NEXT) | instid1(SALU_CYCLE_1)
	s_lshl_b32 s11, s7, 2
	s_add_i32 s11, s11, s14
	s_waitcnt lgkmcnt(0)
	s_cmp_lt_i32 s11, s8
	s_cselect_b32 s11, -1, 0
	s_add_i32 s12, s10, s15
	s_delay_alu instid0(SALU_CYCLE_1) | instskip(SKIP_1) | instid1(SALU_CYCLE_1)
	s_cmp_lt_i32 s12, s5
	s_cselect_b32 s12, -1, 0
	s_and_b32 s11, s11, s12
	s_delay_alu instid0(SALU_CYCLE_1)
	s_and_not1_b32 vcc_lo, exec_lo, s11
	s_cbranch_vccnz .LBB25_6
; %bb.1:
	s_mul_i32 s2, s2, s8
	s_mul_i32 s5, s3, s5
	s_add_i32 s2, s2, s14
	s_mul_i32 s7, s9, s7
	s_mul_i32 s2, s2, s9
	s_lshl_b32 s7, s7, 8
	s_add_i32 s8, s2, s15
	s_load_b128 s[0:3], s[0:1], 0x0
	s_add_i32 s5, s8, s5
	s_lshl_b32 s9, s14, 2
	s_add_i32 s5, s5, s10
	s_delay_alu instid0(SALU_CYCLE_1) | instskip(NEXT) | instid1(SALU_CYCLE_1)
	s_lshl_b32 s5, s5, 6
	s_add_i32 s7, s7, s5
	s_mul_i32 s5, s13, s6
	v_or_b32_e32 v1, s7, v0
	s_add_i32 s10, s5, s6
	s_delay_alu instid0(VALU_DEP_1) | instskip(NEXT) | instid1(VALU_DEP_1)
	v_ashrrev_i32_e32 v2, 31, v1
	v_lshlrev_b64 v[1:2], 2, v[1:2]
	s_waitcnt lgkmcnt(0)
	s_delay_alu instid0(VALU_DEP_1) | instskip(NEXT) | instid1(VALU_DEP_2)
	v_add_co_u32 v1, vcc_lo, s0, v1
	v_add_co_ci_u32_e32 v2, vcc_lo, s1, v2, vcc_lo
	s_add_i32 s0, s9, s15
	s_lshl_b32 s1, s10, 4
	s_delay_alu instid0(SALU_CYCLE_1) | instskip(SKIP_2) | instid1(SALU_CYCLE_1)
	s_add_i32 s0, s0, s1
	global_load_b32 v5, v[1:2], off
	s_add_i32 s0, s0, -16
	s_ashr_i32 s1, s0, 31
	s_delay_alu instid0(SALU_CYCLE_1) | instskip(NEXT) | instid1(SALU_CYCLE_1)
	s_lshl_b64 s[0:1], s[0:1], 3
	s_add_u32 s0, s2, s0
	s_addc_u32 s1, s3, s1
	s_add_i32 s7, s10, -2
	s_load_b32 s11, s[0:1], 0x4
	s_cmp_lt_i32 s7, s5
	s_cbranch_scc1 .LBB25_4
; %bb.2:
	s_lshl_b32 s16, s4, 6
	s_load_b32 s12, s[0:1], 0x0
	s_ashr_i32 s17, s16, 31
	s_delay_alu instid0(SALU_CYCLE_1) | instskip(NEXT) | instid1(SALU_CYCLE_1)
	s_lshl_b64 s[0:1], s[16:17], 2
	s_add_u32 s7, s2, s0
	s_addc_u32 s8, s3, s1
	s_add_i32 s13, s13, 1
	s_lshl_b32 s0, s14, 8
	s_lshl_b32 s1, s15, 6
	s_mul_i32 s6, s6, s13
	s_add_i32 s0, s1, s0
	s_lshl_b32 s1, s6, 10
	s_delay_alu instid0(SALU_CYCLE_1)
	s_add_i32 s0, s0, s1
	s_lshl_b32 s1, s6, 4
	v_or_b32_e32 v0, s0, v0
	s_lshl_b32 s0, s4, 4
	s_add_i32 s1, s15, s1
	s_waitcnt lgkmcnt(0)
	v_mov_b32_e32 v6, s11
	s_add_i32 s0, s1, s0
	v_dual_mov_b32 v0, s12 :: v_dual_add_nc_u32 v3, 0xfffff800, v0
	s_add_i32 s0, s0, s9
	s_add_i32 s4, s10, -1
	s_sub_i32 s0, s0, 32
.LBB25_3:                               ; =>This Inner Loop Header: Depth=1
	s_delay_alu instid0(VALU_DEP_1) | instskip(SKIP_1) | instid1(SALU_CYCLE_1)
	v_ashrrev_i32_e32 v4, 31, v3
	s_ashr_i32 s1, s0, 31
	s_lshl_b64 s[10:11], s[0:1], 3
	s_delay_alu instid0(SALU_CYCLE_1) | instskip(NEXT) | instid1(VALU_DEP_1)
	s_add_u32 s10, s2, s10
	v_lshlrev_b64 v[7:8], 2, v[3:4]
	s_addc_u32 s11, s3, s11
	s_add_i32 s4, s4, -1
	s_add_i32 s0, s0, -16
	s_cmp_le_i32 s4, s5
	s_load_b64 s[10:11], s[10:11], 0x0
	v_add_co_u32 v7, vcc_lo, s7, v7
	v_add_co_ci_u32_e32 v8, vcc_lo, s8, v8, vcc_lo
	global_load_b32 v4, v[7:8], off
	v_max_f32_e32 v7, v0, v0
	s_waitcnt lgkmcnt(0)
	v_max_f32_e64 v8, s10, s10
	s_delay_alu instid0(VALU_DEP_1) | instskip(NEXT) | instid1(VALU_DEP_1)
	v_max_f32_e32 v7, v7, v8
	v_sub_f32_e32 v8, s10, v7
	s_delay_alu instid0(VALU_DEP_1) | instskip(NEXT) | instid1(VALU_DEP_1)
	v_dual_sub_f32 v0, v0, v7 :: v_dual_mul_f32 v9, 0x3fb8aa3b, v8
	v_fma_f32 v10, 0x3fb8aa3b, v8, -v9
	v_rndne_f32_e32 v11, v9
	s_delay_alu instid0(VALU_DEP_3) | instskip(NEXT) | instid1(VALU_DEP_2)
	v_mul_f32_e32 v12, 0x3fb8aa3b, v0
	v_dual_fmac_f32 v10, 0x32a5705f, v8 :: v_dual_sub_f32 v9, v9, v11
	v_cvt_i32_f32_e32 v11, v11
	s_delay_alu instid0(VALU_DEP_3) | instskip(SKIP_1) | instid1(VALU_DEP_4)
	v_fma_f32 v13, 0x3fb8aa3b, v0, -v12
	v_rndne_f32_e32 v14, v12
	v_add_f32_e32 v9, v9, v10
	v_cmp_ngt_f32_e32 vcc_lo, 0xc2ce8ed0, v8
	s_delay_alu instid0(VALU_DEP_3) | instskip(NEXT) | instid1(VALU_DEP_3)
	v_sub_f32_e32 v10, v12, v14
	v_exp_f32_e32 v9, v9
	s_waitcnt_depctr 0xfff
	v_ldexp_f32 v9, v9, v11
	v_cvt_i32_f32_e32 v11, v14
	s_delay_alu instid0(VALU_DEP_2) | instskip(SKIP_1) | instid1(VALU_DEP_2)
	v_cndmask_b32_e32 v9, 0, v9, vcc_lo
	v_cmp_nlt_f32_e32 vcc_lo, 0x42b17218, v8
	v_cndmask_b32_e32 v9, 0x7f800000, v9, vcc_lo
	v_cmp_ngt_f32_e32 vcc_lo, 0xc2ce8ed0, v0
	v_fmac_f32_e32 v13, 0x32a5705f, v0
	s_delay_alu instid0(VALU_DEP_1) | instskip(NEXT) | instid1(VALU_DEP_1)
	v_add_f32_e32 v10, v10, v13
	v_exp_f32_e32 v10, v10
	s_waitcnt_depctr 0xfff
	v_ldexp_f32 v10, v10, v11
	s_delay_alu instid0(VALU_DEP_1)
	v_dual_mov_b32 v11, v6 :: v_dual_cndmask_b32 v10, 0, v10
	v_cmp_le_f32_e32 vcc_lo, 0xc1a00000, v8
	s_waitcnt vmcnt(1)
	v_dual_cndmask_b32 v8, 0, v9 :: v_dual_mov_b32 v9, v5
	v_cmp_nlt_f32_e32 vcc_lo, 0x42b17218, v0
	v_cndmask_b32_e32 v5, 0x7f800000, v10, vcc_lo
	s_delay_alu instid0(VALU_DEP_3) | instskip(SKIP_2) | instid1(VALU_DEP_3)
	v_mul_f32_e32 v10, s11, v8
	v_cmp_le_f32_e32 vcc_lo, 0xc1a00000, v0
	v_mov_b32_e32 v0, v7
	v_mov_b32_e32 v6, v10
	s_waitcnt vmcnt(0)
	v_dual_cndmask_b32 v12, 0, v5 :: v_dual_mul_f32 v5, v4, v8
	s_delay_alu instid0(VALU_DEP_1) | instskip(NEXT) | instid1(VALU_DEP_2)
	v_dual_fmac_f32 v6, v11, v12 :: v_dual_add_nc_u32 v3, 0xfffffc00, v3
	v_fmac_f32_e32 v5, v9, v12
	s_cbranch_scc0 .LBB25_3
	s_branch .LBB25_5
.LBB25_4:
	s_waitcnt lgkmcnt(0)
	v_mov_b32_e32 v6, s11
.LBB25_5:
	s_waitcnt vmcnt(0)
	s_delay_alu instid0(VALU_DEP_1) | instskip(NEXT) | instid1(VALU_DEP_1)
	v_div_scale_f32 v0, null, v6, v6, v5
	v_rcp_f32_e32 v3, v0
	s_waitcnt_depctr 0xfff
	v_fma_f32 v4, -v0, v3, 1.0
	s_delay_alu instid0(VALU_DEP_1) | instskip(SKIP_1) | instid1(VALU_DEP_1)
	v_fmac_f32_e32 v3, v4, v3
	v_div_scale_f32 v4, vcc_lo, v5, v6, v5
	v_mul_f32_e32 v7, v4, v3
	s_delay_alu instid0(VALU_DEP_1) | instskip(NEXT) | instid1(VALU_DEP_1)
	v_fma_f32 v8, -v0, v7, v4
	v_fmac_f32_e32 v7, v8, v3
	s_delay_alu instid0(VALU_DEP_1) | instskip(NEXT) | instid1(VALU_DEP_1)
	v_fma_f32 v0, -v0, v7, v4
	v_div_fmas_f32 v0, v0, v3, v7
	s_delay_alu instid0(VALU_DEP_1)
	v_div_fixup_f32 v0, v0, v6, v5
	global_store_b32 v[1:2], v0, off
.LBB25_6:
	s_nop 0
	s_sendmsg sendmsg(MSG_DEALLOC_VGPRS)
	s_endpgm
	.section	.rodata,"a",@progbits
	.p2align	6, 0x0
	.amdhsa_kernel _ZL33flash_attn_stream_k_fixup_uniformILi64ELi4ELi4EEvPfPK15HIP_vector_typeIfLj2EEiiiiiiS1_IjLj3EES5_S5_
		.amdhsa_group_segment_fixed_size 0
		.amdhsa_private_segment_fixed_size 0
		.amdhsa_kernarg_size 76
		.amdhsa_user_sgpr_count 13
		.amdhsa_user_sgpr_dispatch_ptr 0
		.amdhsa_user_sgpr_queue_ptr 0
		.amdhsa_user_sgpr_kernarg_segment_ptr 1
		.amdhsa_user_sgpr_dispatch_id 0
		.amdhsa_user_sgpr_private_segment_size 0
		.amdhsa_wavefront_size32 1
		.amdhsa_uses_dynamic_stack 0
		.amdhsa_enable_private_segment 0
		.amdhsa_system_sgpr_workgroup_id_x 1
		.amdhsa_system_sgpr_workgroup_id_y 1
		.amdhsa_system_sgpr_workgroup_id_z 1
		.amdhsa_system_sgpr_workgroup_info 0
		.amdhsa_system_vgpr_workitem_id 0
		.amdhsa_next_free_vgpr 15
		.amdhsa_next_free_sgpr 20
		.amdhsa_reserve_vcc 1
		.amdhsa_float_round_mode_32 0
		.amdhsa_float_round_mode_16_64 0
		.amdhsa_float_denorm_mode_32 3
		.amdhsa_float_denorm_mode_16_64 3
		.amdhsa_dx10_clamp 1
		.amdhsa_ieee_mode 1
		.amdhsa_fp16_overflow 0
		.amdhsa_workgroup_processor_mode 1
		.amdhsa_memory_ordered 1
		.amdhsa_forward_progress 0
		.amdhsa_shared_vgpr_count 0
		.amdhsa_exception_fp_ieee_invalid_op 0
		.amdhsa_exception_fp_denorm_src 0
		.amdhsa_exception_fp_ieee_div_zero 0
		.amdhsa_exception_fp_ieee_overflow 0
		.amdhsa_exception_fp_ieee_underflow 0
		.amdhsa_exception_fp_ieee_inexact 0
		.amdhsa_exception_int_div_zero 0
	.end_amdhsa_kernel
	.section	.text._ZL33flash_attn_stream_k_fixup_uniformILi64ELi4ELi4EEvPfPK15HIP_vector_typeIfLj2EEiiiiiiS1_IjLj3EES5_S5_,"axG",@progbits,_ZL33flash_attn_stream_k_fixup_uniformILi64ELi4ELi4EEvPfPK15HIP_vector_typeIfLj2EEiiiiiiS1_IjLj3EES5_S5_,comdat
.Lfunc_end25:
	.size	_ZL33flash_attn_stream_k_fixup_uniformILi64ELi4ELi4EEvPfPK15HIP_vector_typeIfLj2EEiiiiiiS1_IjLj3EES5_S5_, .Lfunc_end25-_ZL33flash_attn_stream_k_fixup_uniformILi64ELi4ELi4EEvPfPK15HIP_vector_typeIfLj2EEiiiiiiS1_IjLj3EES5_S5_
                                        ; -- End function
	.section	.AMDGPU.csdata,"",@progbits
; Kernel info:
; codeLenInByte = 996
; NumSgprs: 22
; NumVgprs: 15
; ScratchSize: 0
; MemoryBound: 0
; FloatMode: 240
; IeeeMode: 1
; LDSByteSize: 0 bytes/workgroup (compile time only)
; SGPRBlocks: 2
; VGPRBlocks: 1
; NumSGPRsForWavesPerEU: 22
; NumVGPRsForWavesPerEU: 15
; Occupancy: 16
; WaveLimiterHint : 0
; COMPUTE_PGM_RSRC2:SCRATCH_EN: 0
; COMPUTE_PGM_RSRC2:USER_SGPR: 13
; COMPUTE_PGM_RSRC2:TRAP_HANDLER: 0
; COMPUTE_PGM_RSRC2:TGID_X_EN: 1
; COMPUTE_PGM_RSRC2:TGID_Y_EN: 1
; COMPUTE_PGM_RSRC2:TGID_Z_EN: 1
; COMPUTE_PGM_RSRC2:TIDIG_COMP_CNT: 0
	.section	.text._ZL33flash_attn_stream_k_fixup_generalILi64ELi4ELi4EEvPfPK15HIP_vector_typeIfLj2EEiiiiS1_IjLj3EES5_S5_S5_,"axG",@progbits,_ZL33flash_attn_stream_k_fixup_generalILi64ELi4ELi4EEvPfPK15HIP_vector_typeIfLj2EEiiiiS1_IjLj3EES5_S5_S5_,comdat
	.globl	_ZL33flash_attn_stream_k_fixup_generalILi64ELi4ELi4EEvPfPK15HIP_vector_typeIfLj2EEiiiiS1_IjLj3EES5_S5_S5_ ; -- Begin function _ZL33flash_attn_stream_k_fixup_generalILi64ELi4ELi4EEvPfPK15HIP_vector_typeIfLj2EEiiiiS1_IjLj3EES5_S5_S5_
	.p2align	8
	.type	_ZL33flash_attn_stream_k_fixup_generalILi64ELi4ELi4EEvPfPK15HIP_vector_typeIfLj2EEiiiiS1_IjLj3EES5_S5_S5_,@function
_ZL33flash_attn_stream_k_fixup_generalILi64ELi4ELi4EEvPfPK15HIP_vector_typeIfLj2EEiiiiS1_IjLj3EES5_S5_S5_: ; @_ZL33flash_attn_stream_k_fixup_generalILi64ELi4ELi4EEvPfPK15HIP_vector_typeIfLj2EEiiiiS1_IjLj3EES5_S5_S5_
; %bb.0:
	s_clause 0x1
	s_load_b128 s[4:7], s[0:1], 0x10
	s_load_b32 s20, s[0:1], 0x50
	s_mov_b32 s2, 0
	s_waitcnt lgkmcnt(0)
	s_mul_hi_i32 s3, s7, s13
	s_mul_i32 s12, s7, s13
	s_cmp_lg_u64 s[2:3], 0
	s_cbranch_scc0 .LBB26_21
; %bb.1:
	v_cvt_f32_ubyte0_e32 v1, 0
	v_cvt_f32_u32_e32 v2, s20
	s_sub_u32 s10, 0, s20
	s_subb_u32 s11, 0, 0
	s_delay_alu instid0(VALU_DEP_1) | instskip(NEXT) | instid1(VALU_DEP_1)
	v_fmamk_f32 v1, v1, 0x4f800000, v2
	v_rcp_f32_e32 v1, v1
	s_waitcnt_depctr 0xfff
	v_mul_f32_e32 v1, 0x5f7ffffc, v1
	s_delay_alu instid0(VALU_DEP_1) | instskip(NEXT) | instid1(VALU_DEP_1)
	v_mul_f32_e32 v2, 0x2f800000, v1
	v_trunc_f32_e32 v2, v2
	s_delay_alu instid0(VALU_DEP_1) | instskip(SKIP_1) | instid1(VALU_DEP_2)
	v_fmamk_f32 v1, v2, 0xcf800000, v1
	v_cvt_u32_f32_e32 v2, v2
	v_cvt_u32_f32_e32 v1, v1
	s_delay_alu instid0(VALU_DEP_2) | instskip(NEXT) | instid1(VALU_DEP_2)
	v_readfirstlane_b32 s8, v2
	v_readfirstlane_b32 s9, v1
	s_delay_alu instid0(VALU_DEP_2) | instskip(NEXT) | instid1(VALU_DEP_1)
	s_mul_i32 s16, s10, s8
	s_mul_hi_u32 s18, s10, s9
	s_mul_i32 s17, s11, s9
	s_add_i32 s16, s18, s16
	s_mul_i32 s19, s10, s9
	s_add_i32 s16, s16, s17
	s_mul_hi_u32 s18, s9, s19
	s_mul_hi_u32 s21, s8, s19
	s_mul_i32 s17, s8, s19
	s_mul_hi_u32 s19, s9, s16
	s_mul_i32 s9, s9, s16
	s_mul_hi_u32 s22, s8, s16
	s_add_u32 s9, s18, s9
	s_addc_u32 s18, 0, s19
	s_add_u32 s9, s9, s17
	s_mul_i32 s16, s8, s16
	s_addc_u32 s9, s18, s21
	s_addc_u32 s17, s22, 0
	s_add_u32 s9, s9, s16
	s_addc_u32 s16, 0, s17
	v_add_co_u32 v1, s9, v1, s9
	s_delay_alu instid0(VALU_DEP_1) | instskip(SKIP_1) | instid1(VALU_DEP_1)
	s_cmp_lg_u32 s9, 0
	s_addc_u32 s8, s8, s16
	v_readfirstlane_b32 s9, v1
	s_mul_i32 s16, s10, s8
	s_delay_alu instid0(VALU_DEP_1)
	s_mul_hi_u32 s17, s10, s9
	s_mul_i32 s11, s11, s9
	s_add_i32 s16, s17, s16
	s_mul_i32 s10, s10, s9
	s_add_i32 s16, s16, s11
	s_mul_hi_u32 s17, s8, s10
	s_mul_i32 s18, s8, s10
	s_mul_hi_u32 s10, s9, s10
	s_mul_hi_u32 s19, s9, s16
	s_mul_i32 s9, s9, s16
	s_mul_hi_u32 s11, s8, s16
	s_add_u32 s9, s10, s9
	s_addc_u32 s10, 0, s19
	s_add_u32 s9, s9, s18
	s_mul_i32 s16, s8, s16
	s_addc_u32 s9, s10, s17
	s_addc_u32 s10, s11, 0
	s_add_u32 s9, s9, s16
	s_addc_u32 s10, 0, s10
	v_add_co_u32 v1, s9, v1, s9
	s_delay_alu instid0(VALU_DEP_1) | instskip(SKIP_2) | instid1(SALU_CYCLE_1)
	s_cmp_lg_u32 s9, 0
	s_addc_u32 s16, s8, s10
	s_ashr_i32 s8, s3, 31
	s_add_u32 s10, s12, s8
	s_addc_u32 s11, s3, s8
	v_readfirstlane_b32 s3, v1
	s_mov_b32 s9, s8
	s_delay_alu instid0(SALU_CYCLE_1) | instskip(NEXT) | instid1(SALU_CYCLE_1)
	s_xor_b64 s[10:11], s[10:11], s[8:9]
	s_mul_i32 s18, s10, s16
	s_delay_alu instid0(VALU_DEP_1)
	s_mul_hi_u32 s19, s10, s3
	s_mul_hi_u32 s17, s10, s16
	;; [unrolled: 1-line block ×3, first 2 shown]
	s_mul_i32 s3, s11, s3
	s_add_u32 s18, s19, s18
	s_addc_u32 s17, 0, s17
	s_mul_hi_u32 s21, s11, s16
	s_add_u32 s3, s18, s3
	s_mul_i32 s16, s11, s16
	s_addc_u32 s3, s17, s22
	s_addc_u32 s17, s21, 0
	s_add_u32 s3, s3, s16
	s_addc_u32 s16, 0, s17
	s_mul_i32 s18, s20, s3
	s_add_u32 s17, s3, 1
	v_sub_co_u32 v1, s10, s10, s18
	s_mul_hi_u32 s18, s20, s3
	s_addc_u32 s19, s16, 0
	s_mul_i32 s21, s20, s16
	s_delay_alu instid0(VALU_DEP_1)
	v_sub_co_u32 v2, s22, v1, s20
	s_add_u32 s23, s3, 2
	s_addc_u32 s24, s16, 0
	s_add_i32 s18, s18, s21
	s_cmp_lg_u32 s10, 0
	v_readfirstlane_b32 s10, v2
	s_subb_u32 s11, s11, s18
	s_cmp_lg_u32 s22, 0
	s_subb_u32 s18, s11, 0
	s_delay_alu instid0(VALU_DEP_1) | instskip(SKIP_4) | instid1(SALU_CYCLE_1)
	s_cmp_ge_u32 s10, s20
	s_cselect_b32 s10, -1, 0
	s_cmp_eq_u32 s18, 0
	v_readfirstlane_b32 s18, v1
	s_cselect_b32 s10, s10, -1
	s_cmp_lg_u32 s10, 0
	s_cselect_b32 s10, s23, s17
	s_cselect_b32 s17, s24, s19
	s_cmp_ge_u32 s18, s20
	s_cselect_b32 s18, -1, 0
	s_cmp_eq_u32 s11, 0
	s_cselect_b32 s11, s18, -1
	s_delay_alu instid0(SALU_CYCLE_1) | instskip(SKIP_2) | instid1(SALU_CYCLE_1)
	s_cmp_lg_u32 s11, 0
	s_cselect_b32 s11, s17, s16
	s_cselect_b32 s10, s10, s3
	s_xor_b64 s[10:11], s[10:11], s[8:9]
	s_delay_alu instid0(SALU_CYCLE_1)
	s_sub_u32 s16, s10, s8
	s_load_b128 s[8:11], s[0:1], 0x44
	s_and_not1_b32 vcc_lo, exec_lo, s2
	s_cbranch_vccnz .LBB26_3
.LBB26_2:
	v_cvt_f32_u32_e32 v1, s20
	s_sub_i32 s3, 0, s20
	s_delay_alu instid0(VALU_DEP_1) | instskip(SKIP_2) | instid1(VALU_DEP_1)
	v_rcp_iflag_f32_e32 v1, v1
	s_waitcnt_depctr 0xfff
	v_mul_f32_e32 v1, 0x4f7ffffe, v1
	v_cvt_u32_f32_e32 v1, v1
	s_delay_alu instid0(VALU_DEP_1) | instskip(NEXT) | instid1(VALU_DEP_1)
	v_readfirstlane_b32 s2, v1
	s_mul_i32 s3, s3, s2
	s_delay_alu instid0(SALU_CYCLE_1) | instskip(NEXT) | instid1(SALU_CYCLE_1)
	s_mul_hi_u32 s3, s2, s3
	s_add_i32 s2, s2, s3
	s_delay_alu instid0(SALU_CYCLE_1) | instskip(NEXT) | instid1(SALU_CYCLE_1)
	s_mul_hi_u32 s2, s12, s2
	s_mul_i32 s3, s2, s20
	s_waitcnt lgkmcnt(0)
	s_add_i32 s11, s2, 1
	s_sub_i32 s3, s12, s3
	s_delay_alu instid0(SALU_CYCLE_1)
	s_sub_i32 s12, s3, s20
	s_cmp_ge_u32 s3, s20
	s_cselect_b32 s2, s11, s2
	s_cselect_b32 s3, s12, s3
	s_add_i32 s11, s2, 1
	s_cmp_ge_u32 s3, s20
	s_cselect_b32 s16, s11, s2
.LBB26_3:
	s_waitcnt lgkmcnt(0)
	s_add_i32 s11, s13, 1
	s_mov_b32 s2, 0
	s_mul_hi_i32 s3, s7, s11
	s_mul_i32 s11, s7, s11
	s_cmp_lg_u64 s[2:3], 0
	s_cbranch_scc0 .LBB26_22
; %bb.4:
	v_cvt_f32_ubyte0_e32 v1, 0
	v_cvt_f32_u32_e32 v2, s20
	s_sub_u32 s18, 0, s20
	s_subb_u32 s19, 0, 0
	s_delay_alu instid0(VALU_DEP_1) | instskip(NEXT) | instid1(VALU_DEP_1)
	v_fmamk_f32 v1, v1, 0x4f800000, v2
	v_rcp_f32_e32 v1, v1
	s_waitcnt_depctr 0xfff
	v_mul_f32_e32 v1, 0x5f7ffffc, v1
	s_delay_alu instid0(VALU_DEP_1) | instskip(NEXT) | instid1(VALU_DEP_1)
	v_mul_f32_e32 v2, 0x2f800000, v1
	v_trunc_f32_e32 v2, v2
	s_delay_alu instid0(VALU_DEP_1) | instskip(SKIP_1) | instid1(VALU_DEP_2)
	v_fmamk_f32 v1, v2, 0xcf800000, v1
	v_cvt_u32_f32_e32 v2, v2
	v_cvt_u32_f32_e32 v1, v1
	s_delay_alu instid0(VALU_DEP_2) | instskip(NEXT) | instid1(VALU_DEP_2)
	v_readfirstlane_b32 s12, v2
	v_readfirstlane_b32 s17, v1
	s_delay_alu instid0(VALU_DEP_2) | instskip(NEXT) | instid1(VALU_DEP_1)
	s_mul_i32 s21, s18, s12
	s_mul_hi_u32 s23, s18, s17
	s_mul_i32 s22, s19, s17
	s_add_i32 s21, s23, s21
	s_mul_i32 s24, s18, s17
	s_add_i32 s21, s21, s22
	s_mul_hi_u32 s23, s17, s24
	s_mul_hi_u32 s25, s12, s24
	s_mul_i32 s22, s12, s24
	s_mul_hi_u32 s24, s17, s21
	s_mul_i32 s17, s17, s21
	s_mul_hi_u32 s26, s12, s21
	s_add_u32 s17, s23, s17
	s_addc_u32 s23, 0, s24
	s_add_u32 s17, s17, s22
	s_mul_i32 s21, s12, s21
	s_addc_u32 s17, s23, s25
	s_addc_u32 s22, s26, 0
	s_add_u32 s17, s17, s21
	s_addc_u32 s21, 0, s22
	v_add_co_u32 v1, s17, v1, s17
	s_delay_alu instid0(VALU_DEP_1) | instskip(SKIP_1) | instid1(VALU_DEP_1)
	s_cmp_lg_u32 s17, 0
	s_addc_u32 s12, s12, s21
	v_readfirstlane_b32 s17, v1
	s_mul_i32 s21, s18, s12
	s_delay_alu instid0(VALU_DEP_1)
	s_mul_hi_u32 s22, s18, s17
	s_mul_i32 s19, s19, s17
	s_add_i32 s21, s22, s21
	s_mul_i32 s18, s18, s17
	s_add_i32 s21, s21, s19
	s_mul_hi_u32 s22, s12, s18
	s_mul_i32 s23, s12, s18
	s_mul_hi_u32 s18, s17, s18
	s_mul_hi_u32 s24, s17, s21
	s_mul_i32 s17, s17, s21
	s_mul_hi_u32 s19, s12, s21
	s_add_u32 s17, s18, s17
	s_addc_u32 s18, 0, s24
	s_add_u32 s17, s17, s23
	s_mul_i32 s21, s12, s21
	s_addc_u32 s17, s18, s22
	s_addc_u32 s18, s19, 0
	s_add_u32 s17, s17, s21
	s_addc_u32 s18, 0, s18
	v_add_co_u32 v1, s17, v1, s17
	s_delay_alu instid0(VALU_DEP_1) | instskip(SKIP_2) | instid1(SALU_CYCLE_1)
	s_cmp_lg_u32 s17, 0
	s_addc_u32 s12, s12, s18
	s_ashr_i32 s18, s3, 31
	s_add_u32 s22, s11, s18
	s_addc_u32 s23, s3, s18
	v_readfirstlane_b32 s3, v1
	s_mov_b32 s19, s18
	s_delay_alu instid0(SALU_CYCLE_1) | instskip(NEXT) | instid1(SALU_CYCLE_1)
	s_xor_b64 s[22:23], s[22:23], s[18:19]
	s_mul_i32 s21, s22, s12
	s_delay_alu instid0(VALU_DEP_1)
	s_mul_hi_u32 s24, s22, s3
	s_mul_hi_u32 s17, s22, s12
	s_mul_hi_u32 s26, s23, s3
	s_mul_i32 s3, s23, s3
	s_add_u32 s21, s24, s21
	s_addc_u32 s17, 0, s17
	s_mul_hi_u32 s25, s23, s12
	s_add_u32 s3, s21, s3
	s_mul_i32 s12, s23, s12
	s_addc_u32 s3, s17, s26
	s_addc_u32 s17, s25, 0
	s_add_u32 s3, s3, s12
	s_addc_u32 s12, 0, s17
	s_mul_i32 s21, s20, s3
	s_add_u32 s17, s3, 1
	v_sub_co_u32 v1, s21, s22, s21
	s_mul_hi_u32 s22, s20, s3
	s_addc_u32 s24, s12, 0
	s_mul_i32 s25, s20, s12
	s_delay_alu instid0(VALU_DEP_1)
	v_sub_co_u32 v2, s26, v1, s20
	s_add_u32 s27, s3, 2
	s_addc_u32 s28, s12, 0
	s_add_i32 s22, s22, s25
	s_cmp_lg_u32 s21, 0
	v_readfirstlane_b32 s21, v2
	s_subb_u32 s22, s23, s22
	s_cmp_lg_u32 s26, 0
	s_subb_u32 s23, s22, 0
	s_delay_alu instid0(VALU_DEP_1) | instskip(SKIP_4) | instid1(SALU_CYCLE_1)
	s_cmp_ge_u32 s21, s20
	s_cselect_b32 s21, -1, 0
	s_cmp_eq_u32 s23, 0
	v_readfirstlane_b32 s23, v1
	s_cselect_b32 s21, s21, -1
	s_cmp_lg_u32 s21, 0
	s_cselect_b32 s17, s27, s17
	s_cselect_b32 s21, s28, s24
	s_cmp_ge_u32 s23, s20
	s_cselect_b32 s23, -1, 0
	s_cmp_eq_u32 s22, 0
	s_cselect_b32 s22, s23, -1
	s_delay_alu instid0(SALU_CYCLE_1) | instskip(SKIP_2) | instid1(SALU_CYCLE_1)
	s_cmp_lg_u32 s22, 0
	s_cselect_b32 s23, s21, s12
	s_cselect_b32 s22, s17, s3
	s_xor_b64 s[22:23], s[22:23], s[18:19]
	s_delay_alu instid0(SALU_CYCLE_1)
	s_sub_u32 s18, s22, s18
	s_and_not1_b32 vcc_lo, exec_lo, s2
	s_cbranch_vccnz .LBB26_6
.LBB26_5:
	v_cvt_f32_u32_e32 v1, s20
	s_sub_i32 s3, 0, s20
	s_delay_alu instid0(VALU_DEP_1) | instskip(SKIP_2) | instid1(VALU_DEP_1)
	v_rcp_iflag_f32_e32 v1, v1
	s_waitcnt_depctr 0xfff
	v_mul_f32_e32 v1, 0x4f7ffffe, v1
	v_cvt_u32_f32_e32 v1, v1
	s_delay_alu instid0(VALU_DEP_1) | instskip(NEXT) | instid1(VALU_DEP_1)
	v_readfirstlane_b32 s2, v1
	s_mul_i32 s3, s3, s2
	s_delay_alu instid0(SALU_CYCLE_1) | instskip(NEXT) | instid1(SALU_CYCLE_1)
	s_mul_hi_u32 s3, s2, s3
	s_add_i32 s2, s2, s3
	s_delay_alu instid0(SALU_CYCLE_1) | instskip(NEXT) | instid1(SALU_CYCLE_1)
	s_mul_hi_u32 s2, s11, s2
	s_mul_i32 s3, s2, s20
	s_delay_alu instid0(SALU_CYCLE_1)
	s_sub_i32 s3, s11, s3
	s_add_i32 s11, s2, 1
	s_sub_i32 s12, s3, s20
	s_cmp_ge_u32 s3, s20
	s_cselect_b32 s2, s11, s2
	s_cselect_b32 s3, s12, s3
	s_add_i32 s11, s2, 1
	s_cmp_ge_u32 s3, s20
	s_cselect_b32 s18, s11, s2
.LBB26_6:
	s_delay_alu instid0(SALU_CYCLE_1) | instskip(SKIP_3) | instid1(SALU_CYCLE_1)
	s_cmp_eq_u32 s16, s18
	s_mul_hi_u32 s2, s16, s8
	s_cselect_b32 s3, -1, 0
	s_add_i32 s2, s2, s16
	s_lshr_b32 s11, s2, s9
	s_delay_alu instid0(SALU_CYCLE_1) | instskip(NEXT) | instid1(SALU_CYCLE_1)
	s_mul_i32 s2, s11, s10
	s_cmp_eq_u32 s2, s16
	s_mul_hi_u32 s2, s18, s8
	s_cselect_b32 s12, -1, 0
	s_add_i32 s2, s2, s18
	s_delay_alu instid0(SALU_CYCLE_1) | instskip(NEXT) | instid1(SALU_CYCLE_1)
	s_lshr_b32 s2, s2, s9
	s_cmp_eq_u32 s11, s2
	s_mul_i32 s2, s2, s10
	s_cselect_b32 s17, -1, 0
	s_cmp_lg_u32 s2, s18
	s_cselect_b32 s2, -1, 0
	s_or_b32 s3, s3, s12
	s_and_b32 s2, s17, s2
	s_delay_alu instid0(SALU_CYCLE_1) | instskip(NEXT) | instid1(SALU_CYCLE_1)
	s_or_b32 s2, s3, s2
	s_and_b32 vcc_lo, exec_lo, s2
	s_cbranch_vccnz .LBB26_24
; %bb.7:
	s_load_b256 s[24:31], s[0:1], 0x20
	s_waitcnt lgkmcnt(0)
	s_mul_hi_u32 s2, s16, s24
	s_delay_alu instid0(SALU_CYCLE_1) | instskip(NEXT) | instid1(SALU_CYCLE_1)
	s_add_i32 s2, s2, s16
	s_lshr_b32 s17, s2, s25
	s_load_b32 s2, s[0:1], 0x40
	s_mul_i32 s3, s17, s26
	s_delay_alu instid0(SALU_CYCLE_1) | instskip(NEXT) | instid1(SALU_CYCLE_1)
	s_sub_i32 s3, s16, s3
	s_mul_hi_u32 s12, s3, s27
	s_delay_alu instid0(SALU_CYCLE_1) | instskip(NEXT) | instid1(SALU_CYCLE_1)
	s_add_i32 s12, s3, s12
	s_lshr_b32 s21, s12, s28
	s_delay_alu instid0(SALU_CYCLE_1) | instskip(NEXT) | instid1(SALU_CYCLE_1)
	s_mul_i32 s12, s21, s29
	s_sub_i32 s3, s3, s12
	s_delay_alu instid0(SALU_CYCLE_1) | instskip(NEXT) | instid1(SALU_CYCLE_1)
	s_mul_hi_u32 s12, s3, s30
	s_add_i32 s12, s3, s12
	s_delay_alu instid0(SALU_CYCLE_1)
	s_lshr_b32 s12, s12, s31
	s_waitcnt lgkmcnt(0)
	s_mul_i32 s2, s12, s2
	s_lshl_b32 s23, s12, 2
	s_sub_i32 s2, s3, s2
	s_mov_b32 s12, 0
	s_mul_hi_u32 s3, s2, s8
	s_delay_alu instid0(SALU_CYCLE_1) | instskip(NEXT) | instid1(SALU_CYCLE_1)
	s_add_i32 s2, s2, s3
	s_lshr_b32 s22, s2, s9
	s_delay_alu instid0(SALU_CYCLE_1) | instskip(NEXT) | instid1(SALU_CYCLE_1)
	s_lshl_b32 s2, s22, 2
	s_add_i32 s2, s2, s14
	s_delay_alu instid0(SALU_CYCLE_1) | instskip(SKIP_2) | instid1(SALU_CYCLE_1)
	s_cmp_lt_i32 s2, s4
	s_cselect_b32 s2, -1, 0
	s_add_i32 s3, s23, s15
	s_cmp_lt_i32 s3, s6
	s_cselect_b32 s3, -1, 0
	s_delay_alu instid0(SALU_CYCLE_1) | instskip(NEXT) | instid1(SALU_CYCLE_1)
	s_and_b32 s2, s2, s3
	s_and_not1_b32 vcc_lo, exec_lo, s2
	s_cbranch_vccnz .LBB26_24
; %bb.8:
	s_load_b128 s[0:3], s[0:1], 0x0
	s_lshl_b32 s18, s20, 6
	s_mov_b32 s19, s12
	s_lshl_b32 s24, s14, 2
	s_lshl_b64 s[18:19], s[18:19], 2
	s_mul_i32 s4, s17, s4
	s_add_i32 s17, s24, s15
	s_mul_i32 s21, s21, s6
	v_cvt_f32_ubyte0_e32 v4, 0
	v_cvt_f32_u32_e32 v5, s20
	s_waitcnt lgkmcnt(0)
	s_add_u32 s18, s2, s18
	s_addc_u32 s19, s3, s19
	s_add_i32 s4, s4, s14
	s_delay_alu instid0(SALU_CYCLE_1) | instskip(SKIP_4) | instid1(SALU_CYCLE_1)
	s_mul_i32 s4, s4, s5
	s_mul_i32 s5, s5, s22
	s_add_i32 s4, s4, s15
	s_lshl_b32 s5, s5, 8
	s_add_i32 s4, s4, s21
	s_add_i32 s4, s4, s23
	s_delay_alu instid0(SALU_CYCLE_1) | instskip(NEXT) | instid1(SALU_CYCLE_1)
	s_lshl_b32 s4, s4, 6
	s_add_i32 s5, s5, s4
	s_delay_alu instid0(SALU_CYCLE_1) | instskip(SKIP_1) | instid1(VALU_DEP_2)
	v_or_b32_e32 v1, s5, v0
	v_lshl_or_b32 v0, s17, 6, v0
	v_ashrrev_i32_e32 v2, 31, v1
	s_delay_alu instid0(VALU_DEP_1) | instskip(NEXT) | instid1(VALU_DEP_1)
	v_lshlrev_b64 v[1:2], 2, v[1:2]
	v_add_co_u32 v1, vcc_lo, s0, v1
	s_delay_alu instid0(VALU_DEP_2) | instskip(SKIP_1) | instid1(SALU_CYCLE_1)
	v_add_co_ci_u32_e32 v2, vcc_lo, s1, v2, vcc_lo
	s_lshl_b32 s0, s13, 4
	s_add_i32 s0, s17, s0
	global_load_b32 v3, v[1:2], off
	s_ashr_i32 s1, s0, 31
	s_delay_alu instid0(SALU_CYCLE_1) | instskip(NEXT) | instid1(SALU_CYCLE_1)
	s_lshl_b64 s[0:1], s[0:1], 3
	s_add_u32 s0, s2, s0
	s_addc_u32 s1, s3, s1
	s_add_i32 s14, s13, -1
	s_load_b64 s[0:1], s[0:1], 0x0
	v_fmac_f32_e32 v5, 0x4f800000, v4
	s_sub_i32 s6, 0, s20
	s_waitcnt lgkmcnt(0)
	v_mov_b32_e32 v8, s0
	s_delay_alu instid0(VALU_DEP_2) | instskip(SKIP_2) | instid1(VALU_DEP_2)
	v_rcp_f32_e32 v4, v5
	v_cvt_f32_u32_e32 v5, s20
	v_mov_b32_e32 v7, s1
	v_rcp_iflag_f32_e32 v5, v5
	s_waitcnt_depctr 0xfff
	v_mul_f32_e32 v4, 0x5f7ffffc, v4
	s_delay_alu instid0(VALU_DEP_1) | instskip(SKIP_1) | instid1(VALU_DEP_2)
	v_mul_f32_e32 v6, 0x2f800000, v4
	v_mul_f32_e32 v9, 0x4f7ffffe, v5
	v_trunc_f32_e32 v6, v6
	s_delay_alu instid0(VALU_DEP_1) | instskip(SKIP_1) | instid1(VALU_DEP_4)
	v_fmac_f32_e32 v4, 0xcf800000, v6
	v_cvt_u32_f32_e32 v5, v6
	v_cvt_u32_f32_e32 v6, v9
	s_delay_alu instid0(VALU_DEP_3)
	v_cvt_u32_f32_e32 v4, v4
.LBB26_9:                               ; =>This Inner Loop Header: Depth=1
	s_mul_hi_i32 s13, s14, s7
	s_mul_i32 s4, s14, s7
	s_cmp_lg_u64 s[12:13], 0
	s_mov_b32 s5, -1
                                        ; implicit-def: $sgpr0_sgpr1
	s_cbranch_scc0 .LBB26_11
; %bb.10:                               ;   in Loop: Header=BB26_9 Depth=1
	v_readfirstlane_b32 s0, v4
	v_readfirstlane_b32 s1, v5
	s_sub_u32 s5, 0, s20
	s_subb_u32 s15, 0, 0
	s_delay_alu instid0(VALU_DEP_2) | instskip(NEXT) | instid1(VALU_DEP_1)
	s_mul_hi_u32 s21, s5, s0
	s_mul_i32 s22, s5, s1
	s_mul_i32 s23, s15, s0
	s_add_i32 s21, s21, s22
	s_mul_i32 s22, s5, s0
	s_add_i32 s21, s21, s23
	s_mul_hi_u32 s23, s0, s22
	s_mul_i32 s24, s0, s21
	s_mul_hi_u32 s0, s0, s21
	s_add_u32 s23, s23, s24
	s_mul_i32 s25, s1, s22
	s_addc_u32 s0, 0, s0
	s_mul_hi_u32 s22, s1, s22
	s_mul_hi_u32 s24, s1, s21
	s_add_u32 s23, s23, s25
	s_addc_u32 s0, s0, s22
	s_mul_i32 s21, s1, s21
	s_addc_u32 s22, s24, 0
	s_add_u32 s0, s0, s21
	s_addc_u32 s21, 0, s22
	v_add_co_u32 v9, s0, v4, s0
	s_delay_alu instid0(VALU_DEP_1) | instskip(SKIP_1) | instid1(VALU_DEP_1)
	s_cmp_lg_u32 s0, 0
	s_addc_u32 s1, s1, s21
	v_readfirstlane_b32 s0, v9
	s_mul_i32 s21, s5, s1
	s_delay_alu instid0(VALU_DEP_1)
	s_mul_hi_u32 s22, s5, s0
	s_mul_i32 s15, s15, s0
	s_add_i32 s21, s22, s21
	s_mul_i32 s5, s5, s0
	s_add_i32 s21, s21, s15
	s_mul_hi_u32 s15, s1, s5
	s_mul_i32 s23, s1, s5
	s_mul_i32 s24, s0, s21
	s_mul_hi_u32 s5, s0, s5
	s_mul_hi_u32 s0, s0, s21
	s_add_u32 s5, s5, s24
	s_addc_u32 s0, 0, s0
	s_mul_hi_u32 s22, s1, s21
	s_add_u32 s5, s5, s23
	s_addc_u32 s0, s0, s15
	s_mul_i32 s5, s1, s21
	s_addc_u32 s15, s22, 0
	s_add_u32 s0, s0, s5
	s_addc_u32 s5, 0, s15
	v_add_co_u32 v9, s0, v9, s0
	s_delay_alu instid0(VALU_DEP_1) | instskip(SKIP_2) | instid1(SALU_CYCLE_1)
	s_cmp_lg_u32 s0, 0
	s_addc_u32 s5, s1, s5
	s_ashr_i32 s0, s13, 31
	s_add_u32 s22, s4, s0
	s_addc_u32 s23, s13, s0
	v_readfirstlane_b32 s13, v9
	s_mov_b32 s1, s0
	s_delay_alu instid0(SALU_CYCLE_1) | instskip(NEXT) | instid1(SALU_CYCLE_1)
	s_xor_b64 s[22:23], s[22:23], s[0:1]
	s_mul_i32 s15, s22, s5
	s_delay_alu instid0(VALU_DEP_1)
	s_mul_hi_u32 s21, s22, s13
	s_mul_hi_u32 s24, s22, s5
	s_add_u32 s15, s21, s15
	s_mul_i32 s25, s23, s13
	s_addc_u32 s21, 0, s24
	s_mul_hi_u32 s13, s23, s13
	s_mul_hi_u32 s24, s23, s5
	s_add_u32 s15, s15, s25
	s_addc_u32 s13, s21, s13
	s_mul_i32 s5, s23, s5
	s_addc_u32 s15, s24, 0
	s_add_u32 s5, s13, s5
	s_addc_u32 s13, 0, s15
	s_mul_i32 s21, s20, s5
	s_add_u32 s15, s5, 1
	v_sub_co_u32 v9, s21, s22, s21
	s_addc_u32 s22, s13, 0
	s_mul_i32 s25, s20, s13
	s_mul_hi_u32 s27, s20, s5
	s_delay_alu instid0(VALU_DEP_1)
	v_sub_co_u32 v10, s26, v9, s20
	s_add_u32 s24, s5, 2
	s_addc_u32 s28, s13, 0
	s_add_i32 s27, s27, s25
	s_cmp_lg_u32 s21, 0
	v_readfirstlane_b32 s21, v10
	s_subb_u32 s23, s23, s27
	s_cmp_lg_u32 s26, 0
	s_subb_u32 s25, s23, 0
	s_delay_alu instid0(VALU_DEP_1) | instskip(SKIP_4) | instid1(SALU_CYCLE_1)
	s_cmp_ge_u32 s21, s20
	s_cselect_b32 s21, -1, 0
	s_cmp_eq_u32 s25, 0
	v_readfirstlane_b32 s25, v9
	s_cselect_b32 s21, s21, -1
	s_cmp_lg_u32 s21, 0
	s_cselect_b32 s15, s24, s15
	s_cselect_b32 s21, s28, s22
	s_cmp_ge_u32 s25, s20
	s_cselect_b32 s22, -1, 0
	s_cmp_eq_u32 s23, 0
	s_cselect_b32 s22, s22, -1
	s_delay_alu instid0(SALU_CYCLE_1) | instskip(SKIP_4) | instid1(SALU_CYCLE_1)
	s_cmp_lg_u32 s22, 0
	s_cselect_b32 s23, s21, s13
	s_cselect_b32 s22, s15, s5
	s_mov_b32 s5, 0
	s_xor_b64 s[22:23], s[22:23], s[0:1]
	s_sub_u32 s0, s22, s0
.LBB26_11:                              ;   in Loop: Header=BB26_9 Depth=1
	s_and_not1_b32 vcc_lo, exec_lo, s5
	s_cbranch_vccnz .LBB26_13
; %bb.12:                               ;   in Loop: Header=BB26_9 Depth=1
	v_readfirstlane_b32 s0, v6
	s_delay_alu instid0(VALU_DEP_1) | instskip(NEXT) | instid1(SALU_CYCLE_1)
	s_mul_i32 s1, s6, s0
	s_mul_hi_u32 s1, s0, s1
	s_delay_alu instid0(SALU_CYCLE_1) | instskip(NEXT) | instid1(SALU_CYCLE_1)
	s_add_i32 s0, s0, s1
	s_mul_hi_u32 s0, s4, s0
	s_delay_alu instid0(SALU_CYCLE_1) | instskip(NEXT) | instid1(SALU_CYCLE_1)
	s_mul_i32 s1, s0, s20
	s_sub_i32 s1, s4, s1
	s_add_i32 s4, s0, 1
	s_sub_i32 s5, s1, s20
	s_cmp_ge_u32 s1, s20
	s_cselect_b32 s0, s4, s0
	s_cselect_b32 s1, s5, s1
	s_add_i32 s4, s0, 1
	s_cmp_ge_u32 s1, s20
	s_cselect_b32 s0, s4, s0
.LBB26_13:                              ;   in Loop: Header=BB26_9 Depth=1
	s_delay_alu instid0(SALU_CYCLE_1)
	s_cmp_lg_u32 s16, s0
	s_cbranch_scc0 .LBB26_17
; %bb.14:                               ;   in Loop: Header=BB26_9 Depth=1
	s_add_i32 s1, s14, s20
	s_mov_b32 s5, s12
	s_lshl_b32 s1, s1, 4
	s_mov_b32 s15, s16
	s_add_i32 s4, s1, s17
	s_mul_hi_u32 s1, s0, s8
	s_lshl_b64 s[4:5], s[4:5], 3
	s_delay_alu instid0(SALU_CYCLE_1) | instskip(SKIP_2) | instid1(SALU_CYCLE_1)
	s_add_u32 s4, s2, s4
	s_addc_u32 s5, s3, s5
	s_add_i32 s1, s1, s0
	s_lshr_b32 s1, s1, s9
	s_delay_alu instid0(SALU_CYCLE_1) | instskip(NEXT) | instid1(SALU_CYCLE_1)
	s_mul_i32 s13, s1, s10
	s_cmp_eq_u32 s13, s0
	s_cselect_b32 s13, -1, 0
	s_cmp_lt_u32 s1, s11
	s_cselect_b32 s1, -1, 0
	s_delay_alu instid0(SALU_CYCLE_1)
	s_or_b32 s1, s1, s13
	s_mov_b32 s13, -1
	s_and_b32 vcc_lo, exec_lo, s1
	s_mov_b32 s1, s14
	s_cbranch_vccnz .LBB26_16
; %bb.15:                               ;   in Loop: Header=BB26_9 Depth=1
	s_add_i32 s1, s14, -1
	s_mov_b32 s13, 0
	s_mov_b32 s15, s0
.LBB26_16:                              ;   in Loop: Header=BB26_9 Depth=1
	v_lshl_add_u32 v9, s14, 10, v0
	s_load_b64 s[4:5], s[4:5], 0x0
	s_delay_alu instid0(VALU_DEP_1) | instskip(NEXT) | instid1(VALU_DEP_1)
	v_ashrrev_i32_e32 v10, 31, v9
	v_lshlrev_b64 v[9:10], 2, v[9:10]
	s_delay_alu instid0(VALU_DEP_1) | instskip(NEXT) | instid1(VALU_DEP_2)
	v_add_co_u32 v9, vcc_lo, s18, v9
	v_add_co_ci_u32_e32 v10, vcc_lo, s19, v10, vcc_lo
	s_waitcnt lgkmcnt(0)
	v_max_f32_e64 v11, s4, s4
	global_load_b32 v10, v[9:10], off
	v_max_f32_e32 v9, v8, v8
	s_delay_alu instid0(VALU_DEP_1) | instskip(NEXT) | instid1(VALU_DEP_1)
	v_max_f32_e32 v9, v9, v11
	v_sub_f32_e32 v12, v8, v9
	s_delay_alu instid0(VALU_DEP_1) | instskip(NEXT) | instid1(VALU_DEP_1)
	v_dual_mul_f32 v14, 0x3fb8aa3b, v12 :: v_dual_sub_f32 v11, s4, v9
	v_rndne_f32_e32 v18, v14
	s_delay_alu instid0(VALU_DEP_2) | instskip(SKIP_2) | instid1(VALU_DEP_4)
	v_mul_f32_e32 v13, 0x3fb8aa3b, v11
	v_fma_f32 v17, 0x3fb8aa3b, v12, -v14
	v_cmp_ngt_f32_e32 vcc_lo, 0xc2ce8ed0, v11
	v_sub_f32_e32 v14, v14, v18
	s_delay_alu instid0(VALU_DEP_4) | instskip(SKIP_2) | instid1(VALU_DEP_3)
	v_fma_f32 v15, 0x3fb8aa3b, v11, -v13
	v_rndne_f32_e32 v16, v13
	v_fmac_f32_e32 v17, 0x32a5705f, v12
	v_fmac_f32_e32 v15, 0x32a5705f, v11
	s_delay_alu instid0(VALU_DEP_2) | instskip(NEXT) | instid1(VALU_DEP_1)
	v_dual_sub_f32 v13, v13, v16 :: v_dual_add_f32 v14, v14, v17
	v_add_f32_e32 v13, v13, v15
	s_delay_alu instid0(VALU_DEP_2) | instskip(SKIP_2) | instid1(VALU_DEP_3)
	v_exp_f32_e32 v14, v14
	v_cvt_i32_f32_e32 v15, v16
	v_cvt_i32_f32_e32 v16, v18
	v_exp_f32_e32 v13, v13
	s_waitcnt_depctr 0xfff
	v_ldexp_f32 v14, v14, v16
	v_ldexp_f32 v13, v13, v15
	s_delay_alu instid0(VALU_DEP_1) | instskip(SKIP_1) | instid1(VALU_DEP_4)
	v_cndmask_b32_e32 v13, 0, v13, vcc_lo
	v_cmp_ngt_f32_e32 vcc_lo, 0xc2ce8ed0, v12
	v_cndmask_b32_e32 v14, 0, v14, vcc_lo
	v_cmp_nlt_f32_e32 vcc_lo, 0x42b17218, v11
	s_delay_alu instid0(VALU_DEP_4) | instskip(SKIP_1) | instid1(VALU_DEP_4)
	v_cndmask_b32_e32 v13, 0x7f800000, v13, vcc_lo
	v_cmp_nlt_f32_e32 vcc_lo, 0x42b17218, v12
	v_cndmask_b32_e32 v14, 0x7f800000, v14, vcc_lo
	v_cmp_le_f32_e32 vcc_lo, 0xc1a00000, v11
	s_delay_alu instid0(VALU_DEP_4) | instskip(SKIP_1) | instid1(VALU_DEP_4)
	v_cndmask_b32_e32 v11, 0, v13, vcc_lo
	v_cmp_le_f32_e32 vcc_lo, 0xc1a00000, v12
	v_cndmask_b32_e32 v12, 0, v14, vcc_lo
	s_waitcnt vmcnt(0)
	s_delay_alu instid0(VALU_DEP_3) | instskip(NEXT) | instid1(VALU_DEP_1)
	v_mul_f32_e32 v10, v10, v11
	v_dual_mul_f32 v11, s5, v11 :: v_dual_fmac_f32 v10, v3, v12
	s_delay_alu instid0(VALU_DEP_1)
	v_fmac_f32_e32 v11, v7, v12
	s_cbranch_execz .LBB26_18
	s_branch .LBB26_19
.LBB26_17:                              ;   in Loop: Header=BB26_9 Depth=1
                                        ; implicit-def: $sgpr13
                                        ; implicit-def: $vgpr10
                                        ; implicit-def: $vgpr9
                                        ; implicit-def: $vgpr11
                                        ; implicit-def: $sgpr1
                                        ; implicit-def: $sgpr15
.LBB26_18:                              ;   in Loop: Header=BB26_9 Depth=1
	v_mov_b32_e32 v11, v7
	s_waitcnt vmcnt(0)
	v_dual_mov_b32 v9, v8 :: v_dual_mov_b32 v10, v3
	s_add_i32 s1, s14, -1
	s_mov_b32 s13, 0
	s_mov_b32 s15, s16
.LBB26_19:                              ;   in Loop: Header=BB26_9 Depth=1
	s_and_not1_b32 vcc_lo, exec_lo, s13
	s_cbranch_vccz .LBB26_23
; %bb.20:                               ;   in Loop: Header=BB26_9 Depth=1
	v_dual_mov_b32 v7, v11 :: v_dual_mov_b32 v8, v9
	s_waitcnt vmcnt(0)
	v_mov_b32_e32 v3, v10
	s_mov_b32 s16, s15
	s_mov_b32 s14, s1
	s_branch .LBB26_9
.LBB26_21:
                                        ; implicit-def: $sgpr16_sgpr17
	s_load_b128 s[8:11], s[0:1], 0x44
	s_branch .LBB26_2
.LBB26_22:
                                        ; implicit-def: $sgpr18_sgpr19
	s_branch .LBB26_5
.LBB26_23:
	v_div_scale_f32 v0, null, v11, v11, v10
	s_waitcnt vmcnt(0)
	s_delay_alu instid0(VALU_DEP_1) | instskip(SKIP_2) | instid1(VALU_DEP_1)
	v_rcp_f32_e32 v3, v0
	s_waitcnt_depctr 0xfff
	v_fma_f32 v4, -v0, v3, 1.0
	v_fmac_f32_e32 v3, v4, v3
	v_div_scale_f32 v4, vcc_lo, v10, v11, v10
	s_delay_alu instid0(VALU_DEP_1) | instskip(NEXT) | instid1(VALU_DEP_1)
	v_mul_f32_e32 v5, v4, v3
	v_fma_f32 v6, -v0, v5, v4
	s_delay_alu instid0(VALU_DEP_1) | instskip(NEXT) | instid1(VALU_DEP_1)
	v_fmac_f32_e32 v5, v6, v3
	v_fma_f32 v0, -v0, v5, v4
	s_delay_alu instid0(VALU_DEP_1) | instskip(NEXT) | instid1(VALU_DEP_1)
	v_div_fmas_f32 v0, v0, v3, v5
	v_div_fixup_f32 v0, v0, v11, v10
	global_store_b32 v[1:2], v0, off
.LBB26_24:
	s_nop 0
	s_sendmsg sendmsg(MSG_DEALLOC_VGPRS)
	s_endpgm
	.section	.rodata,"a",@progbits
	.p2align	6, 0x0
	.amdhsa_kernel _ZL33flash_attn_stream_k_fixup_generalILi64ELi4ELi4EEvPfPK15HIP_vector_typeIfLj2EEiiiiS1_IjLj3EES5_S5_S5_
		.amdhsa_group_segment_fixed_size 0
		.amdhsa_private_segment_fixed_size 0
		.amdhsa_kernarg_size 336
		.amdhsa_user_sgpr_count 13
		.amdhsa_user_sgpr_dispatch_ptr 0
		.amdhsa_user_sgpr_queue_ptr 0
		.amdhsa_user_sgpr_kernarg_segment_ptr 1
		.amdhsa_user_sgpr_dispatch_id 0
		.amdhsa_user_sgpr_private_segment_size 0
		.amdhsa_wavefront_size32 1
		.amdhsa_uses_dynamic_stack 0
		.amdhsa_enable_private_segment 0
		.amdhsa_system_sgpr_workgroup_id_x 1
		.amdhsa_system_sgpr_workgroup_id_y 1
		.amdhsa_system_sgpr_workgroup_id_z 1
		.amdhsa_system_sgpr_workgroup_info 0
		.amdhsa_system_vgpr_workitem_id 0
		.amdhsa_next_free_vgpr 19
		.amdhsa_next_free_sgpr 32
		.amdhsa_reserve_vcc 1
		.amdhsa_float_round_mode_32 0
		.amdhsa_float_round_mode_16_64 0
		.amdhsa_float_denorm_mode_32 3
		.amdhsa_float_denorm_mode_16_64 3
		.amdhsa_dx10_clamp 1
		.amdhsa_ieee_mode 1
		.amdhsa_fp16_overflow 0
		.amdhsa_workgroup_processor_mode 1
		.amdhsa_memory_ordered 1
		.amdhsa_forward_progress 0
		.amdhsa_shared_vgpr_count 0
		.amdhsa_exception_fp_ieee_invalid_op 0
		.amdhsa_exception_fp_denorm_src 0
		.amdhsa_exception_fp_ieee_div_zero 0
		.amdhsa_exception_fp_ieee_overflow 0
		.amdhsa_exception_fp_ieee_underflow 0
		.amdhsa_exception_fp_ieee_inexact 0
		.amdhsa_exception_int_div_zero 0
	.end_amdhsa_kernel
	.section	.text._ZL33flash_attn_stream_k_fixup_generalILi64ELi4ELi4EEvPfPK15HIP_vector_typeIfLj2EEiiiiS1_IjLj3EES5_S5_S5_,"axG",@progbits,_ZL33flash_attn_stream_k_fixup_generalILi64ELi4ELi4EEvPfPK15HIP_vector_typeIfLj2EEiiiiS1_IjLj3EES5_S5_S5_,comdat
.Lfunc_end26:
	.size	_ZL33flash_attn_stream_k_fixup_generalILi64ELi4ELi4EEvPfPK15HIP_vector_typeIfLj2EEiiiiS1_IjLj3EES5_S5_S5_, .Lfunc_end26-_ZL33flash_attn_stream_k_fixup_generalILi64ELi4ELi4EEvPfPK15HIP_vector_typeIfLj2EEiiiiS1_IjLj3EES5_S5_S5_
                                        ; -- End function
	.section	.AMDGPU.csdata,"",@progbits
; Kernel info:
; codeLenInByte = 3224
; NumSgprs: 34
; NumVgprs: 19
; ScratchSize: 0
; MemoryBound: 0
; FloatMode: 240
; IeeeMode: 1
; LDSByteSize: 0 bytes/workgroup (compile time only)
; SGPRBlocks: 4
; VGPRBlocks: 2
; NumSGPRsForWavesPerEU: 34
; NumVGPRsForWavesPerEU: 19
; Occupancy: 16
; WaveLimiterHint : 0
; COMPUTE_PGM_RSRC2:SCRATCH_EN: 0
; COMPUTE_PGM_RSRC2:USER_SGPR: 13
; COMPUTE_PGM_RSRC2:TRAP_HANDLER: 0
; COMPUTE_PGM_RSRC2:TGID_X_EN: 1
; COMPUTE_PGM_RSRC2:TGID_Y_EN: 1
; COMPUTE_PGM_RSRC2:TGID_Z_EN: 1
; COMPUTE_PGM_RSRC2:TIDIG_COMP_CNT: 0
	.section	.text._ZL15flash_attn_tileILi64ELi64ELi2ELi4ELb0EEvPKcS1_S1_S1_S1_PKiPfP15HIP_vector_typeIfLj2EEffffjfiS5_IjLj3EEiiiiiiiiiiiliiliiiiil,"axG",@progbits,_ZL15flash_attn_tileILi64ELi64ELi2ELi4ELb0EEvPKcS1_S1_S1_S1_PKiPfP15HIP_vector_typeIfLj2EEffffjfiS5_IjLj3EEiiiiiiiiiiiliiliiiiil,comdat
	.globl	_ZL15flash_attn_tileILi64ELi64ELi2ELi4ELb0EEvPKcS1_S1_S1_S1_PKiPfP15HIP_vector_typeIfLj2EEffffjfiS5_IjLj3EEiiiiiiiiiiiliiliiiiil ; -- Begin function _ZL15flash_attn_tileILi64ELi64ELi2ELi4ELb0EEvPKcS1_S1_S1_S1_PKiPfP15HIP_vector_typeIfLj2EEffffjfiS5_IjLj3EEiiiiiiiiiiiliiliiiiil
	.p2align	8
	.type	_ZL15flash_attn_tileILi64ELi64ELi2ELi4ELb0EEvPKcS1_S1_S1_S1_PKiPfP15HIP_vector_typeIfLj2EEffffjfiS5_IjLj3EEiiiiiiiiiiiliiliiiiil,@function
_ZL15flash_attn_tileILi64ELi64ELi2ELi4ELb0EEvPKcS1_S1_S1_S1_PKiPfP15HIP_vector_typeIfLj2EEffffjfiS5_IjLj3EEiiiiiiiiiiiliiliiiiil: ; @_ZL15flash_attn_tileILi64ELi64ELi2ELi4ELb0EEvPKcS1_S1_S1_S1_PKiPfP15HIP_vector_typeIfLj2EEffffjfiS5_IjLj3EEiiiiiiiiiiiliiliiiiil
; %bb.0:
	s_clause 0x1
	s_load_b128 s[36:39], s[0:1], 0x5c
	s_load_b64 s[34:35], s[0:1], 0x80
	s_mov_b64 s[40:41], 0
	s_waitcnt lgkmcnt(0)
	s_ashr_i32 s2, s39, 31
	s_delay_alu instid0(SALU_CYCLE_1) | instskip(NEXT) | instid1(SALU_CYCLE_1)
	s_lshr_b32 s2, s2, 30
	s_add_i32 s2, s39, s2
	s_delay_alu instid0(SALU_CYCLE_1) | instskip(NEXT) | instid1(SALU_CYCLE_1)
	s_ashr_i32 s2, s2, 2
	v_cvt_f32_u32_e32 v1, s2
	s_sub_i32 s4, 0, s2
	s_delay_alu instid0(VALU_DEP_1) | instskip(SKIP_2) | instid1(VALU_DEP_1)
	v_rcp_iflag_f32_e32 v1, v1
	s_waitcnt_depctr 0xfff
	v_mul_f32_e32 v1, 0x4f7ffffe, v1
	v_cvt_u32_f32_e32 v1, v1
	s_delay_alu instid0(VALU_DEP_1) | instskip(NEXT) | instid1(VALU_DEP_1)
	v_readfirstlane_b32 s3, v1
	s_mul_i32 s4, s4, s3
	s_delay_alu instid0(SALU_CYCLE_1) | instskip(NEXT) | instid1(SALU_CYCLE_1)
	s_mul_hi_u32 s4, s3, s4
	s_add_i32 s3, s3, s4
	s_delay_alu instid0(SALU_CYCLE_1) | instskip(NEXT) | instid1(SALU_CYCLE_1)
	s_mul_hi_u32 s3, s15, s3
	s_mul_i32 s4, s3, s2
	s_add_i32 s5, s3, 1
	s_sub_i32 s4, s15, s4
	s_delay_alu instid0(SALU_CYCLE_1)
	s_sub_i32 s6, s4, s2
	s_cmp_ge_u32 s4, s2
	s_cselect_b32 s3, s5, s3
	s_cselect_b32 s4, s6, s4
	s_add_i32 s5, s3, 1
	s_cmp_ge_u32 s4, s2
	s_cselect_b32 s33, s5, s3
	s_abs_i32 s2, s35
	s_abs_i32 s7, s39
	v_cvt_f32_u32_e32 v1, s2
	s_sub_i32 s4, 0, s2
	s_lshl_b32 s5, s15, 2
	s_mul_i32 s6, s33, s39
	s_delay_alu instid0(VALU_DEP_1) | instskip(SKIP_3) | instid1(VALU_DEP_1)
	v_rcp_iflag_f32_e32 v1, v1
	s_sub_i32 s42, s5, s6
	s_waitcnt_depctr 0xfff
	v_mul_f32_e32 v1, 0x4f7ffffe, v1
	v_cvt_u32_f32_e32 v1, v1
	s_delay_alu instid0(VALU_DEP_1) | instskip(NEXT) | instid1(VALU_DEP_1)
	v_readfirstlane_b32 s3, v1
	s_mul_i32 s4, s4, s3
	s_delay_alu instid0(SALU_CYCLE_1) | instskip(NEXT) | instid1(SALU_CYCLE_1)
	s_mul_hi_u32 s4, s3, s4
	s_add_i32 s3, s3, s4
	s_xor_b32 s4, s39, s35
	s_mul_hi_u32 s3, s7, s3
	s_ashr_i32 s4, s4, 31
	s_mul_i32 s5, s3, s2
	s_add_i32 s6, s3, 1
	s_sub_i32 s5, s7, s5
	s_delay_alu instid0(SALU_CYCLE_1)
	s_sub_i32 s7, s5, s2
	s_cmp_ge_u32 s5, s2
	s_cselect_b32 s3, s6, s3
	s_cselect_b32 s5, s7, s5
	s_add_i32 s6, s3, 1
	s_cmp_ge_u32 s5, s2
	s_cselect_b32 s2, s6, s3
	s_delay_alu instid0(SALU_CYCLE_1) | instskip(NEXT) | instid1(SALU_CYCLE_1)
	s_xor_b32 s2, s2, s4
	s_sub_i32 s9, s2, s4
	s_clause 0x1
	s_load_b512 s[16:31], s[0:1], 0x0
	s_load_b64 s[2:3], s[0:1], 0xb8
	s_abs_i32 s8, s9
	s_delay_alu instid0(SALU_CYCLE_1) | instskip(NEXT) | instid1(VALU_DEP_1)
	v_cvt_f32_u32_e32 v1, s8
	v_rcp_iflag_f32_e32 v1, v1
	s_waitcnt_depctr 0xfff
	v_mul_f32_e32 v1, 0x4f7ffffe, v1
	s_waitcnt lgkmcnt(0)
	s_cmp_eq_u64 s[22:23], 0
	s_delay_alu instid0(VALU_DEP_1) | instskip(NEXT) | instid1(VALU_DEP_1)
	v_cvt_u32_f32_e32 v1, v1
	v_readfirstlane_b32 s10, v1
	s_cbranch_scc1 .LBB27_2
; %bb.1:
	s_abs_i32 s2, s2
	s_abs_i32 s6, s33
	v_cvt_f32_u32_e32 v1, s2
	s_sub_i32 s5, 0, s2
	s_delay_alu instid0(VALU_DEP_1) | instskip(SKIP_2) | instid1(VALU_DEP_1)
	v_rcp_iflag_f32_e32 v1, v1
	s_waitcnt_depctr 0xfff
	v_mul_f32_e32 v1, 0x4f7ffffe, v1
	v_cvt_u32_f32_e32 v1, v1
	s_delay_alu instid0(VALU_DEP_1) | instskip(NEXT) | instid1(VALU_DEP_1)
	v_readfirstlane_b32 s4, v1
	s_mul_i32 s5, s5, s4
	s_delay_alu instid0(SALU_CYCLE_1) | instskip(NEXT) | instid1(SALU_CYCLE_1)
	s_mul_hi_u32 s5, s4, s5
	s_add_i32 s7, s4, s5
	s_load_b64 s[4:5], s[0:1], 0xc8
	s_mul_hi_u32 s7, s6, s7
	s_delay_alu instid0(SALU_CYCLE_1) | instskip(NEXT) | instid1(SALU_CYCLE_1)
	s_mul_i32 s7, s7, s2
	s_sub_i32 s6, s6, s7
	s_ashr_i32 s7, s33, 31
	s_sub_i32 s11, s6, s2
	s_cmp_ge_u32 s6, s2
	s_cselect_b32 s6, s11, s6
	s_delay_alu instid0(SALU_CYCLE_1) | instskip(SKIP_2) | instid1(SALU_CYCLE_1)
	s_sub_i32 s11, s6, s2
	s_cmp_ge_u32 s6, s2
	s_cselect_b32 s2, s11, s6
	s_xor_b32 s2, s2, s7
	s_delay_alu instid0(SALU_CYCLE_1)
	s_sub_i32 s2, s2, s7
	s_waitcnt lgkmcnt(0)
	s_mul_i32 s5, s2, s5
	s_mul_hi_u32 s6, s2, s4
	s_ashr_i32 s7, s2, 31
	s_add_i32 s5, s6, s5
	s_mul_i32 s7, s7, s4
	s_mul_i32 s2, s2, s4
	s_add_i32 s5, s5, s7
	s_add_u32 s40, s22, s2
	s_addc_u32 s41, s23, s5
.LBB27_2:
	v_bfe_u32 v1, v0, 10, 10
	s_load_b128 s[4:7], s[0:1], 0x70
	v_and_b32_e32 v33, 0x3ff, v0
	s_delay_alu instid0(VALU_DEP_2) | instskip(SKIP_1) | instid1(VALU_DEP_2)
	v_lshrrev_b32_e32 v2, 1, v1
	v_lshlrev_b32_e32 v5, 1, v1
	v_lshl_add_u32 v32, s13, 1, v2
	s_delay_alu instid0(VALU_DEP_2) | instskip(SKIP_1) | instid1(VALU_DEP_3)
	v_or_b32_e32 v12, 1, v5
	v_and_b32_e32 v69, 2, v5
	v_mul_hi_u32 v2, s36, v32
	s_delay_alu instid0(VALU_DEP_3) | instskip(SKIP_3) | instid1(VALU_DEP_2)
	v_and_b32_e32 v13, 3, v12
	s_waitcnt lgkmcnt(0)
	s_mul_i32 s2, s33, s6
	s_mul_i32 s6, s42, s5
	v_add_nc_u32_e32 v2, v32, v2
	s_ashr_i32 s7, s2, 31
	s_add_u32 s2, s16, s2
	s_addc_u32 s7, s17, s7
	s_ashr_i32 s11, s6, 31
	v_lshrrev_b32_e32 v2, s37, v2
	s_add_u32 s2, s2, s6
	s_addc_u32 s6, s7, s11
	s_ashr_i32 s7, s4, 31
	s_delay_alu instid0(SALU_CYCLE_1)
	v_alignbit_b32 v6, s7, s4, 2
	v_mul_lo_u32 v2, v2, s38
	s_ashr_i32 s4, s5, 31
	s_lshr_b32 s7, s7, 2
	v_alignbit_b32 v10, s4, s5, 2
	s_lshr_b32 s11, s4, 2
	s_cmp_eq_u64 s[26:27], 0
	s_delay_alu instid0(VALU_DEP_2) | instskip(NEXT) | instid1(VALU_DEP_1)
	v_sub_nc_u32_e32 v2, v32, v2
	v_mad_u64_u32 v[3:4], null, v6, v2, 0
	s_delay_alu instid0(VALU_DEP_1) | instskip(SKIP_1) | instid1(VALU_DEP_2)
	v_mad_u64_u32 v[5:6], null, s7, v2, v[4:5]
	v_mad_u64_u32 v[6:7], null, v10, v13, 0
	v_mov_b32_e32 v4, v5
	v_mul_lo_u32 v11, s11, v69
	s_delay_alu instid0(VALU_DEP_3) | instskip(SKIP_1) | instid1(VALU_DEP_4)
	v_mov_b32_e32 v5, v7
	v_mad_u64_u32 v[8:9], null, v10, v69, 0
	v_lshlrev_b64 v[3:4], 2, v[3:4]
	s_delay_alu instid0(VALU_DEP_2) | instskip(NEXT) | instid1(VALU_DEP_4)
	v_or_b32_e32 v9, v9, v11
	v_mad_u64_u32 v[10:11], null, s11, v13, v[5:6]
	v_lshlrev_b32_e32 v0, 3, v33
	s_delay_alu instid0(VALU_DEP_4) | instskip(SKIP_3) | instid1(VALU_DEP_4)
	v_add_co_u32 v3, vcc_lo, s2, v3
	v_add_co_ci_u32_e32 v4, vcc_lo, s6, v4, vcc_lo
	v_lshlrev_b64 v[8:9], 2, v[8:9]
	v_mov_b32_e32 v7, v10
	v_add_co_u32 v0, vcc_lo, v3, v0
	s_delay_alu instid0(VALU_DEP_4) | instskip(NEXT) | instid1(VALU_DEP_3)
	v_add_co_ci_u32_e32 v10, vcc_lo, 0, v4, vcc_lo
	v_lshlrev_b64 v[3:4], 2, v[6:7]
	s_delay_alu instid0(VALU_DEP_3) | instskip(NEXT) | instid1(VALU_DEP_3)
	v_add_co_u32 v5, vcc_lo, v0, v8
	v_add_co_ci_u32_e32 v6, vcc_lo, v10, v9, vcc_lo
	s_load_b32 s2, s[0:1], 0x40
	s_delay_alu instid0(VALU_DEP_3) | instskip(NEXT) | instid1(VALU_DEP_4)
	v_add_co_u32 v3, vcc_lo, v0, v3
	v_add_co_ci_u32_e32 v4, vcc_lo, v10, v4, vcc_lo
	s_clause 0x1
	global_load_b64 v[5:6], v[5:6], off
	global_load_b64 v[3:4], v[3:4], off
	v_lshlrev_b32_e32 v0, 6, v1
	v_lshlrev_b32_e32 v7, 5, v12
	s_delay_alu instid0(VALU_DEP_2) | instskip(NEXT) | instid1(VALU_DEP_2)
	v_add_lshl_u32 v0, v0, v33, 2
	v_add_lshl_u32 v7, v7, v33, 2
	s_waitcnt vmcnt(1) lgkmcnt(0)
	v_fma_mixlo_f16 v5, v5, s2, 0
	s_waitcnt vmcnt(0)
	v_fma_mixlo_f16 v3, v3, s2, 0
	s_delay_alu instid0(VALU_DEP_2) | instskip(NEXT) | instid1(VALU_DEP_2)
	v_fma_mixhi_f16 v5, v6, s2, 0
	v_fma_mixhi_f16 v3, v4, s2, 0
	ds_store_b32 v0, v5 offset:20480
	ds_store_b32 v7, v3 offset:20480
	s_waitcnt lgkmcnt(0)
	s_barrier
	buffer_gl0_inv
	s_cbranch_scc1 .LBB27_4
; %bb.3:
	s_load_b32 s2, s[0:1], 0xd0
	s_mov_b32 s5, 0
	s_waitcnt lgkmcnt(0)
	s_mul_i32 s2, s2, s33
	s_delay_alu instid0(SALU_CYCLE_1) | instskip(NEXT) | instid1(SALU_CYCLE_1)
	s_add_i32 s4, s2, s13
	s_lshl_b64 s[4:5], s[4:5], 2
	s_delay_alu instid0(SALU_CYCLE_1)
	s_add_u32 s4, s26, s4
	s_addc_u32 s5, s27, s5
	s_load_b32 s34, s[4:5], 0x0
.LBB27_4:
	v_mbcnt_lo_u32_b32 v70, -1, 0
	s_lshl_b32 s26, s14, 7
	s_waitcnt lgkmcnt(0)
	s_cmp_lt_i32 s26, s34
	s_cbranch_scc1 .LBB27_6
; %bb.5:
	v_mbcnt_lo_u32_b32 v0, -1, 0
	v_mov_b32_e32 v72, 32
	s_mov_b32 s2, 0
	s_mov_b32 s4, 0xfeffffff
	s_delay_alu instid0(VALU_DEP_2)
	v_xor_b32_e32 v79, 16, v0
	v_xor_b32_e32 v77, 8, v0
	;; [unrolled: 1-line block ×5, first 2 shown]
	s_branch .LBB27_7
.LBB27_6:
	s_mov_b32 s2, -1
                                        ; implicit-def: $sgpr4
                                        ; implicit-def: $vgpr0
                                        ; implicit-def: $vgpr72
                                        ; implicit-def: $vgpr79
                                        ; implicit-def: $vgpr77
                                        ; implicit-def: $vgpr76
                                        ; implicit-def: $vgpr75
                                        ; implicit-def: $vgpr73
.LBB27_7:
	s_delay_alu instid0(SALU_CYCLE_1) | instskip(SKIP_2) | instid1(VALU_DEP_3)
	v_cndmask_b32_e64 v3, 0, 1, s2
	v_dual_mov_b32 v68, s4 :: v_dual_mov_b32 v117, s2
	v_dual_mov_b32 v115, s2 :: v_dual_mov_b32 v116, s2
	v_cmp_ne_u32_e32 vcc_lo, 1, v3
	v_dual_mov_b32 v67, s4 :: v_dual_mov_b32 v88, s2
	s_cbranch_vccnz .LBB27_11
; %bb.8:
	s_clause 0x1
	s_load_b128 s[4:7], s[0:1], 0x98
	s_load_b64 s[12:13], s[0:1], 0x8c
	s_sub_i32 s2, 0, s8
	s_abs_i32 s11, s42
	s_mul_i32 s2, s2, s10
	s_ashr_i32 s15, s42, 31
	s_mul_hi_u32 s2, s10, s2
	s_ashr_i32 s9, s9, 31
	s_add_i32 s10, s10, s2
	s_ashr_i32 s2, s3, 1
	s_mul_hi_u32 s3, s11, s10
	s_ashr_i32 s10, s33, 31
	s_load_b64 s[16:17], s[0:1], 0xa8
	s_mul_i32 s22, s3, s8
	v_lshrrev_b32_e32 v0, 3, v33
	v_dual_mov_b32 v88, 0 :: v_dual_lshlrev_b32 v71, 2, v33
	v_mov_b32_e32 v72, 32
	v_lshl_add_u32 v80, v1, 8, 0x5000
	s_delay_alu instid0(VALU_DEP_4)
	v_lshl_add_u32 v14, v1, 2, v0
	s_waitcnt lgkmcnt(0)
	s_ashr_i32 s27, s6, 2
	s_mul_i32 s5, s33, s5
	s_mul_hi_u32 s6, s33, s4
	s_ashr_i32 s35, s12, 2
	s_mul_i32 s12, s10, s4
	s_add_i32 s5, s6, s5
	s_mul_i32 s4, s33, s4
	s_add_i32 s5, s5, s12
	s_add_u32 s4, s18, s4
	s_addc_u32 s5, s19, s5
	s_xor_b32 s6, s15, s9
	s_sub_i32 s9, s11, s22
	s_add_i32 s11, s3, 1
	s_sub_i32 s12, s9, s8
	s_cmp_ge_u32 s9, s8
	s_mul_i32 s10, s10, s16
	s_cselect_b32 s3, s11, s3
	s_cselect_b32 s9, s12, s9
	s_add_i32 s11, s3, 1
	s_cmp_ge_u32 s9, s8
	s_mul_i32 s8, s33, s17
	s_cselect_b32 s3, s11, s3
	s_mul_hi_u32 s9, s33, s16
	s_xor_b32 s3, s3, s6
	v_mul_lo_u32 v3, s35, v14
	s_sub_i32 s3, s3, s6
	v_mul_lo_u32 v0, s27, v14
	s_mul_i32 s6, s3, s13
	s_mul_i32 s11, s33, s16
	s_ashr_i32 s12, s6, 31
	s_add_u32 s36, s4, s6
	s_addc_u32 s37, s5, s12
	s_add_i32 s4, s9, s8
	s_mul_i32 s3, s3, s7
	s_add_i32 s4, s4, s10
	s_add_u32 s5, s20, s11
	s_addc_u32 s4, s21, s4
	s_ashr_i32 s6, s3, 31
	s_add_u32 s43, s5, s3
	s_addc_u32 s44, s4, s6
	s_lshl_b32 s3, s35, 4
	s_lshl_b32 s4, s27, 4
	v_dual_mov_b32 v68, 0xfeffffff :: v_dual_add_nc_u32 v5, s3, v3
	v_dual_mov_b32 v116, 0 :: v_dual_add_nc_u32 v13, s4, v0
	v_and_b32_e32 v31, 28, v71
	s_delay_alu instid0(VALU_DEP_3) | instskip(SKIP_1) | instid1(VALU_DEP_4)
	v_add_nc_u32_e32 v7, s3, v5
	v_ashrrev_i32_e32 v4, 31, v3
	v_add_nc_u32_e32 v17, s4, v13
	v_ashrrev_i32_e32 v6, 31, v5
	v_dual_mov_b32 v67, 0xfeffffff :: v_dual_lshlrev_b32 v18, 2, v31
	v_add_nc_u32_e32 v9, s3, v7
	s_delay_alu instid0(VALU_DEP_4) | instskip(SKIP_1) | instid1(VALU_DEP_4)
	v_add_nc_u32_e32 v21, s4, v17
	v_ashrrev_i32_e32 v8, 31, v7
	v_mad_u32_u24 v74, 0x90, v14, v18
	v_lshl_or_b32 v89, v14, 7, v18
	v_add_nc_u32_e32 v11, s3, v9
	v_add_nc_u32_e32 v25, s4, v21
	v_ashrrev_i32_e32 v10, 31, v9
	v_lshl_add_u32 v90, v1, 9, 0x4800
	v_ashrrev_i32_e32 v1, 31, v0
	v_add_nc_u32_e32 v15, s3, v11
	v_add_nc_u32_e32 v27, s4, v25
	v_ashrrev_i32_e32 v12, 31, v11
	v_ashrrev_i32_e32 v14, 31, v13
	v_ashrrev_i32_e32 v18, 31, v17
	v_add_nc_u32_e32 v19, s3, v15
	v_add_nc_u32_e32 v29, s4, v27
	v_ashrrev_i32_e32 v16, 31, v15
	v_ashrrev_i32_e32 v22, 31, v21
	;; [unrolled: 5-line block ×3, first 2 shown]
	v_ashrrev_i32_e32 v30, 31, v29
	v_ashrrev_i32_e32 v24, 31, v23
	;; [unrolled: 1-line block ×3, first 2 shown]
	v_mad_u64_u32 v[34:35], null, v2, s2, v[33:34]
	v_lshlrev_b64 v[35:36], 2, v[3:4]
	v_lshlrev_b64 v[37:38], 2, v[5:6]
	;; [unrolled: 1-line block ×16, first 2 shown]
	v_mul_u32_u24_e32 v78, 0x90, v33
	v_add_nc_u32_e32 v81, 0x900, v74
	v_dual_mov_b32 v115, 0 :: v_dual_add_nc_u32 v82, 0x1200, v74
	v_add_nc_u32_e32 v83, 0x1b00, v74
	v_dual_mov_b32 v117, 0 :: v_dual_add_nc_u32 v84, 0x2400, v74
	v_add_nc_u32_e32 v85, 0x2d00, v74
	v_add_nc_u32_e32 v86, 0x3600, v74
	;; [unrolled: 1-line block ×10, first 2 shown]
	v_lshlrev_b32_e32 v98, 2, v31
	v_xor_b32_e32 v79, 16, v70
	v_xor_b32_e32 v77, 8, v70
	;; [unrolled: 1-line block ×5, first 2 shown]
	v_add_nc_u32_e32 v99, v90, v71
	v_add_nc_u32_e32 v100, 0x400, v71
	;; [unrolled: 1-line block ×16, first 2 shown]
	s_add_u32 s22, s0, 0xd0
	s_addc_u32 s23, s1, 0
.LBB27_9:                               ; =>This Inner Loop Header: Depth=1
	s_mul_hi_i32 s3, s26, s35
	s_mul_i32 s2, s26, s35
	v_dual_mov_b32 v118, 0 :: v_dual_mov_b32 v119, 0
	s_lshl_b64 s[2:3], s[2:3], 2
	v_dual_mov_b32 v120, 0 :: v_dual_mov_b32 v121, 0
	s_add_u32 s8, s36, s2
	s_addc_u32 s9, s37, s3
	v_add_co_u32 v0, vcc_lo, s8, v37
	v_add_co_u32 v1, s2, s8, v39
	v_add_co_u32 v2, s3, s8, v41
	;; [unrolled: 1-line block ×7, first 2 shown]
	s_delay_alu instid0(VALU_DEP_1)
	v_add_co_ci_u32_e64 v10, s8, s9, v36, s8
	v_add_co_ci_u32_e32 v11, vcc_lo, s9, v38, vcc_lo
	v_add_co_ci_u32_e64 v13, vcc_lo, s9, v40, s2
	v_add_co_ci_u32_e64 v14, vcc_lo, s9, v42, s3
	;; [unrolled: 1-line block ×6, first 2 shown]
	v_add_co_u32 v4, vcc_lo, v0, v98
	v_add_co_u32 v0, s8, v9, v98
	v_add_co_u32 v8, s2, v1, v98
	v_add_co_ci_u32_e64 v1, s8, 0, v10, s8
	v_add_co_u32 v12, s3, v2, v98
	v_add_co_u32 v20, s5, v5, v98
	v_add_co_ci_u32_e32 v5, vcc_lo, 0, v11, vcc_lo
	v_add_co_u32 v16, s4, v3, v98
	v_add_co_u32 v24, s6, v6, v98
	;; [unrolled: 1-line block ×3, first 2 shown]
	v_add_co_ci_u32_e64 v9, vcc_lo, 0, v13, s2
	v_add_co_ci_u32_e64 v13, vcc_lo, 0, v14, s3
	;; [unrolled: 1-line block ×6, first 2 shown]
	s_clause 0x7
	global_load_b128 v[0:3], v[0:1], off
	global_load_b128 v[4:7], v[4:5], off
	global_load_b128 v[8:11], v[8:9], off
	global_load_b128 v[12:15], v[12:13], off
	global_load_b128 v[16:19], v[16:17], off
	global_load_b128 v[20:23], v[20:21], off
	global_load_b128 v[24:27], v[24:25], off
	global_load_b128 v[28:31], v[28:29], off
	v_dual_mov_b32 v125, 0 :: v_dual_add_nc_u32 v126, s26, v34
	v_dual_mov_b32 v124, 0 :: v_dual_mov_b32 v123, 0
	v_mov_b32_e32 v122, 0
	s_delay_alu instid0(VALU_DEP_3)
	v_ashrrev_i32_e32 v127, 31, v126
	v_cmp_gt_i32_e64 s2, 32, v79
	v_cmp_gt_i32_e64 s3, 32, v77
	s_mul_hi_i32 s7, s26, s27
	s_mul_i32 s6, s26, s27
	v_lshlrev_b64 v[126:127], 1, v[126:127]
	v_cmp_gt_i32_e64 s4, 32, v76
	v_cmp_gt_i32_e64 s5, 32, v75
	s_waitcnt vmcnt(7)
	ds_store_b128 v74, v[0:3]
	s_waitcnt vmcnt(6)
	ds_store_b128 v81, v[4:7]
	;; [unrolled: 2-line block ×8, first 2 shown]
	s_waitcnt lgkmcnt(0)
	s_barrier
	buffer_gl0_inv
	ds_load_b128 v[0:3], v78
	ds_load_b128 v[4:7], v80
	ds_load_b128 v[8:11], v80 offset:128
	ds_load_b128 v[12:15], v78 offset:4608
	;; [unrolled: 1-line block ×4, first 2 shown]
	s_waitcnt lgkmcnt(4)
	;;#ASMSTART
	v_dot2_f32_f16 v118, v0, v4, v118
	;;#ASMEND
	;;#ASMSTART
	v_dot2_f32_f16 v118, v1, v5, v118
	;;#ASMEND
	;;#ASMSTART
	v_dot2_f32_f16 v118, v2, v6, v118
	;;#ASMEND
	;;#ASMSTART
	v_dot2_f32_f16 v118, v3, v7, v118
	;;#ASMEND
	s_waitcnt lgkmcnt(3)
	;;#ASMSTART
	v_dot2_f32_f16 v119, v0, v8, v119
	;;#ASMEND
	;;#ASMSTART
	v_dot2_f32_f16 v119, v1, v9, v119
	;;#ASMEND
	;;#ASMSTART
	v_dot2_f32_f16 v119, v2, v10, v119
	;;#ASMEND
	;;#ASMSTART
	v_dot2_f32_f16 v119, v3, v11, v119
	;;#ASMEND
	s_waitcnt lgkmcnt(2)
	;;#ASMSTART
	v_dot2_f32_f16 v120, v12, v4, v120
	;;#ASMEND
	;;#ASMSTART
	v_dot2_f32_f16 v120, v13, v5, v120
	;;#ASMEND
	;;#ASMSTART
	v_dot2_f32_f16 v120, v14, v6, v120
	;;#ASMEND
	;;#ASMSTART
	v_dot2_f32_f16 v120, v15, v7, v120
	;;#ASMEND
	;;#ASMSTART
	v_dot2_f32_f16 v121, v12, v8, v121
	;;#ASMEND
	;;#ASMSTART
	v_dot2_f32_f16 v121, v13, v9, v121
	;;#ASMEND
	;; [unrolled: 3-line block ×4, first 2 shown]
	s_waitcnt lgkmcnt(1)
	;;#ASMSTART
	v_dot2_f32_f16 v125, v16, v4, v125
	;;#ASMEND
	;;#ASMSTART
	v_dot2_f32_f16 v125, v17, v5, v125
	;;#ASMEND
	;; [unrolled: 3-line block ×8, first 2 shown]
	s_waitcnt lgkmcnt(0)
	;;#ASMSTART
	v_dot2_f32_f16 v122, v20, v4, v122
	;;#ASMEND
	;;#ASMSTART
	v_dot2_f32_f16 v122, v21, v5, v122
	;;#ASMEND
	;; [unrolled: 3-line block ×8, first 2 shown]
	ds_load_b128 v[0:3], v78 offset:16
	ds_load_b128 v[4:7], v80 offset:16
	;; [unrolled: 1-line block ×6, first 2 shown]
	s_waitcnt lgkmcnt(4)
	;;#ASMSTART
	v_dot2_f32_f16 v118, v0, v4, v118
	;;#ASMEND
	;;#ASMSTART
	v_dot2_f32_f16 v118, v1, v5, v118
	;;#ASMEND
	;;#ASMSTART
	v_dot2_f32_f16 v118, v2, v6, v118
	;;#ASMEND
	;;#ASMSTART
	v_dot2_f32_f16 v118, v3, v7, v118
	;;#ASMEND
	s_waitcnt lgkmcnt(3)
	;;#ASMSTART
	v_dot2_f32_f16 v119, v0, v8, v119
	;;#ASMEND
	;;#ASMSTART
	v_dot2_f32_f16 v119, v1, v9, v119
	;;#ASMEND
	;;#ASMSTART
	v_dot2_f32_f16 v119, v2, v10, v119
	;;#ASMEND
	;;#ASMSTART
	v_dot2_f32_f16 v119, v3, v11, v119
	;;#ASMEND
	;; [unrolled: 13-line block ×3, first 2 shown]
	;;#ASMSTART
	v_dot2_f32_f16 v121, v12, v8, v121
	;;#ASMEND
	;;#ASMSTART
	v_dot2_f32_f16 v121, v13, v9, v121
	;;#ASMEND
	;; [unrolled: 3-line block ×4, first 2 shown]
	s_waitcnt lgkmcnt(1)
	;;#ASMSTART
	v_dot2_f32_f16 v125, v16, v4, v125
	;;#ASMEND
	;;#ASMSTART
	v_dot2_f32_f16 v125, v17, v5, v125
	;;#ASMEND
	;;#ASMSTART
	v_dot2_f32_f16 v125, v18, v6, v125
	;;#ASMEND
	;;#ASMSTART
	v_dot2_f32_f16 v125, v19, v7, v125
	;;#ASMEND
	;;#ASMSTART
	v_dot2_f32_f16 v124, v16, v8, v124
	;;#ASMEND
	;;#ASMSTART
	v_dot2_f32_f16 v124, v17, v9, v124
	;;#ASMEND
	;;#ASMSTART
	v_dot2_f32_f16 v124, v18, v10, v124
	;;#ASMEND
	;;#ASMSTART
	v_dot2_f32_f16 v124, v19, v11, v124
	;;#ASMEND
	s_waitcnt lgkmcnt(0)
	;;#ASMSTART
	v_dot2_f32_f16 v122, v20, v4, v122
	;;#ASMEND
	;;#ASMSTART
	v_dot2_f32_f16 v122, v21, v5, v122
	;;#ASMEND
	;; [unrolled: 3-line block ×8, first 2 shown]
	ds_load_b128 v[0:3], v78 offset:32
	ds_load_b128 v[4:7], v80 offset:32
	;; [unrolled: 1-line block ×6, first 2 shown]
	s_waitcnt lgkmcnt(4)
	;;#ASMSTART
	v_dot2_f32_f16 v118, v0, v4, v118
	;;#ASMEND
	;;#ASMSTART
	v_dot2_f32_f16 v118, v1, v5, v118
	;;#ASMEND
	;;#ASMSTART
	v_dot2_f32_f16 v118, v2, v6, v118
	;;#ASMEND
	;;#ASMSTART
	v_dot2_f32_f16 v118, v3, v7, v118
	;;#ASMEND
	s_waitcnt lgkmcnt(3)
	;;#ASMSTART
	v_dot2_f32_f16 v119, v0, v8, v119
	;;#ASMEND
	;;#ASMSTART
	v_dot2_f32_f16 v119, v1, v9, v119
	;;#ASMEND
	;;#ASMSTART
	v_dot2_f32_f16 v119, v2, v10, v119
	;;#ASMEND
	;;#ASMSTART
	v_dot2_f32_f16 v119, v3, v11, v119
	;;#ASMEND
	s_waitcnt lgkmcnt(2)
	;;#ASMSTART
	v_dot2_f32_f16 v120, v12, v4, v120
	;;#ASMEND
	;;#ASMSTART
	v_dot2_f32_f16 v120, v13, v5, v120
	;;#ASMEND
	;;#ASMSTART
	v_dot2_f32_f16 v120, v14, v6, v120
	;;#ASMEND
	;;#ASMSTART
	v_dot2_f32_f16 v120, v15, v7, v120
	;;#ASMEND
	;;#ASMSTART
	v_dot2_f32_f16 v121, v12, v8, v121
	;;#ASMEND
	;;#ASMSTART
	v_dot2_f32_f16 v121, v13, v9, v121
	;;#ASMEND
	;; [unrolled: 3-line block ×4, first 2 shown]
	s_waitcnt lgkmcnt(1)
	;;#ASMSTART
	v_dot2_f32_f16 v125, v16, v4, v125
	;;#ASMEND
	;;#ASMSTART
	v_dot2_f32_f16 v125, v17, v5, v125
	;;#ASMEND
	;; [unrolled: 3-line block ×8, first 2 shown]
	s_waitcnt lgkmcnt(0)
	;;#ASMSTART
	v_dot2_f32_f16 v122, v20, v4, v122
	;;#ASMEND
	;;#ASMSTART
	v_dot2_f32_f16 v122, v21, v5, v122
	;;#ASMEND
	;; [unrolled: 3-line block ×8, first 2 shown]
	ds_load_b128 v[0:3], v78 offset:48
	ds_load_b128 v[4:7], v80 offset:48
	;; [unrolled: 1-line block ×6, first 2 shown]
	s_waitcnt lgkmcnt(4)
	;;#ASMSTART
	v_dot2_f32_f16 v118, v0, v4, v118
	;;#ASMEND
	;;#ASMSTART
	v_dot2_f32_f16 v118, v1, v5, v118
	;;#ASMEND
	;;#ASMSTART
	v_dot2_f32_f16 v118, v2, v6, v118
	;;#ASMEND
	;;#ASMSTART
	v_dot2_f32_f16 v118, v3, v7, v118
	;;#ASMEND
	s_waitcnt lgkmcnt(3)
	;;#ASMSTART
	v_dot2_f32_f16 v119, v0, v8, v119
	;;#ASMEND
	;;#ASMSTART
	v_dot2_f32_f16 v119, v1, v9, v119
	;;#ASMEND
	;;#ASMSTART
	v_dot2_f32_f16 v119, v2, v10, v119
	;;#ASMEND
	;;#ASMSTART
	v_dot2_f32_f16 v119, v3, v11, v119
	;;#ASMEND
	;; [unrolled: 13-line block ×3, first 2 shown]
	;;#ASMSTART
	v_dot2_f32_f16 v121, v12, v8, v121
	;;#ASMEND
	;;#ASMSTART
	v_dot2_f32_f16 v121, v13, v9, v121
	;;#ASMEND
	;; [unrolled: 3-line block ×4, first 2 shown]
	s_waitcnt lgkmcnt(1)
	;;#ASMSTART
	v_dot2_f32_f16 v125, v16, v4, v125
	;;#ASMEND
	;;#ASMSTART
	v_dot2_f32_f16 v125, v17, v5, v125
	;;#ASMEND
	;; [unrolled: 3-line block ×8, first 2 shown]
	s_waitcnt lgkmcnt(0)
	;;#ASMSTART
	v_dot2_f32_f16 v122, v20, v4, v122
	;;#ASMEND
	;;#ASMSTART
	v_dot2_f32_f16 v122, v21, v5, v122
	;;#ASMEND
	;;#ASMSTART
	v_dot2_f32_f16 v122, v22, v6, v122
	;;#ASMEND
	;;#ASMSTART
	v_dot2_f32_f16 v122, v23, v7, v122
	;;#ASMEND
	;;#ASMSTART
	v_dot2_f32_f16 v123, v20, v8, v123
	;;#ASMEND
	;;#ASMSTART
	v_dot2_f32_f16 v123, v21, v9, v123
	;;#ASMEND
	;;#ASMSTART
	v_dot2_f32_f16 v123, v22, v10, v123
	;;#ASMEND
	;;#ASMSTART
	v_dot2_f32_f16 v123, v23, v11, v123
	;;#ASMEND
	ds_load_b128 v[0:3], v78 offset:64
	ds_load_b128 v[4:7], v80 offset:64
	;; [unrolled: 1-line block ×6, first 2 shown]
	s_waitcnt lgkmcnt(4)
	;;#ASMSTART
	v_dot2_f32_f16 v118, v0, v4, v118
	;;#ASMEND
	;;#ASMSTART
	v_dot2_f32_f16 v118, v1, v5, v118
	;;#ASMEND
	;;#ASMSTART
	v_dot2_f32_f16 v118, v2, v6, v118
	;;#ASMEND
	;;#ASMSTART
	v_dot2_f32_f16 v118, v3, v7, v118
	;;#ASMEND
	s_waitcnt lgkmcnt(3)
	;;#ASMSTART
	v_dot2_f32_f16 v119, v0, v8, v119
	;;#ASMEND
	;;#ASMSTART
	v_dot2_f32_f16 v119, v1, v9, v119
	;;#ASMEND
	;;#ASMSTART
	v_dot2_f32_f16 v119, v2, v10, v119
	;;#ASMEND
	;;#ASMSTART
	v_dot2_f32_f16 v119, v3, v11, v119
	;;#ASMEND
	;; [unrolled: 13-line block ×3, first 2 shown]
	;;#ASMSTART
	v_dot2_f32_f16 v121, v12, v8, v121
	;;#ASMEND
	;;#ASMSTART
	v_dot2_f32_f16 v121, v13, v9, v121
	;;#ASMEND
	;; [unrolled: 3-line block ×4, first 2 shown]
	s_waitcnt lgkmcnt(1)
	;;#ASMSTART
	v_dot2_f32_f16 v125, v16, v4, v125
	;;#ASMEND
	;;#ASMSTART
	v_dot2_f32_f16 v125, v17, v5, v125
	;;#ASMEND
	;; [unrolled: 3-line block ×8, first 2 shown]
	s_waitcnt lgkmcnt(0)
	;;#ASMSTART
	v_dot2_f32_f16 v122, v20, v4, v122
	;;#ASMEND
	;;#ASMSTART
	v_dot2_f32_f16 v122, v21, v5, v122
	;;#ASMEND
	;; [unrolled: 3-line block ×8, first 2 shown]
	ds_load_b128 v[0:3], v78 offset:80
	ds_load_b128 v[4:7], v80 offset:80
	;; [unrolled: 1-line block ×6, first 2 shown]
	s_waitcnt lgkmcnt(4)
	;;#ASMSTART
	v_dot2_f32_f16 v118, v0, v4, v118
	;;#ASMEND
	;;#ASMSTART
	v_dot2_f32_f16 v118, v1, v5, v118
	;;#ASMEND
	;;#ASMSTART
	v_dot2_f32_f16 v118, v2, v6, v118
	;;#ASMEND
	;;#ASMSTART
	v_dot2_f32_f16 v118, v3, v7, v118
	;;#ASMEND
	s_waitcnt lgkmcnt(3)
	;;#ASMSTART
	v_dot2_f32_f16 v119, v0, v8, v119
	;;#ASMEND
	;;#ASMSTART
	v_dot2_f32_f16 v119, v1, v9, v119
	;;#ASMEND
	;;#ASMSTART
	v_dot2_f32_f16 v119, v2, v10, v119
	;;#ASMEND
	;;#ASMSTART
	v_dot2_f32_f16 v119, v3, v11, v119
	;;#ASMEND
	;; [unrolled: 13-line block ×3, first 2 shown]
	;;#ASMSTART
	v_dot2_f32_f16 v121, v12, v8, v121
	;;#ASMEND
	;;#ASMSTART
	v_dot2_f32_f16 v121, v13, v9, v121
	;;#ASMEND
	;; [unrolled: 3-line block ×4, first 2 shown]
	s_waitcnt lgkmcnt(1)
	;;#ASMSTART
	v_dot2_f32_f16 v125, v16, v4, v125
	;;#ASMEND
	;;#ASMSTART
	v_dot2_f32_f16 v125, v17, v5, v125
	;;#ASMEND
	;; [unrolled: 3-line block ×8, first 2 shown]
	s_waitcnt lgkmcnt(0)
	;;#ASMSTART
	v_dot2_f32_f16 v122, v20, v4, v122
	;;#ASMEND
	;;#ASMSTART
	v_dot2_f32_f16 v122, v21, v5, v122
	;;#ASMEND
	;; [unrolled: 3-line block ×8, first 2 shown]
	ds_load_b128 v[0:3], v78 offset:96
	ds_load_b128 v[4:7], v80 offset:96
	;; [unrolled: 1-line block ×6, first 2 shown]
	s_waitcnt lgkmcnt(4)
	;;#ASMSTART
	v_dot2_f32_f16 v118, v0, v4, v118
	;;#ASMEND
	;;#ASMSTART
	v_dot2_f32_f16 v118, v1, v5, v118
	;;#ASMEND
	;;#ASMSTART
	v_dot2_f32_f16 v118, v2, v6, v118
	;;#ASMEND
	;;#ASMSTART
	v_dot2_f32_f16 v118, v3, v7, v118
	;;#ASMEND
	s_waitcnt lgkmcnt(3)
	;;#ASMSTART
	v_dot2_f32_f16 v119, v0, v8, v119
	;;#ASMEND
	;;#ASMSTART
	v_dot2_f32_f16 v119, v1, v9, v119
	;;#ASMEND
	;;#ASMSTART
	v_dot2_f32_f16 v119, v2, v10, v119
	;;#ASMEND
	;;#ASMSTART
	v_dot2_f32_f16 v119, v3, v11, v119
	;;#ASMEND
	;; [unrolled: 13-line block ×3, first 2 shown]
	;;#ASMSTART
	v_dot2_f32_f16 v121, v12, v8, v121
	;;#ASMEND
	;;#ASMSTART
	v_dot2_f32_f16 v121, v13, v9, v121
	;;#ASMEND
	;; [unrolled: 3-line block ×4, first 2 shown]
	s_waitcnt lgkmcnt(1)
	;;#ASMSTART
	v_dot2_f32_f16 v125, v16, v4, v125
	;;#ASMEND
	;;#ASMSTART
	v_dot2_f32_f16 v125, v17, v5, v125
	;;#ASMEND
	;; [unrolled: 3-line block ×8, first 2 shown]
	s_waitcnt lgkmcnt(0)
	;;#ASMSTART
	v_dot2_f32_f16 v122, v20, v4, v122
	;;#ASMEND
	;;#ASMSTART
	v_dot2_f32_f16 v122, v21, v5, v122
	;;#ASMEND
	;; [unrolled: 3-line block ×8, first 2 shown]
	ds_load_b128 v[0:3], v78 offset:112
	ds_load_b128 v[4:7], v80 offset:112
	;; [unrolled: 1-line block ×6, first 2 shown]
	s_waitcnt lgkmcnt(4)
	;;#ASMSTART
	v_dot2_f32_f16 v118, v0, v4, v118
	;;#ASMEND
	;;#ASMSTART
	v_dot2_f32_f16 v118, v1, v5, v118
	;;#ASMEND
	;; [unrolled: 3-line block ×4, first 2 shown]
	s_waitcnt lgkmcnt(3)
	;;#ASMSTART
	v_dot2_f32_f16 v119, v0, v8, v119
	;;#ASMEND
	;;#ASMSTART
	v_dot2_f32_f16 v119, v1, v9, v119
	;;#ASMEND
	v_mov_b32_e32 v1, v117
	;;#ASMSTART
	v_dot2_f32_f16 v119, v2, v10, v119
	;;#ASMEND
	;;#ASMSTART
	v_dot2_f32_f16 v119, v3, v11, v119
	;;#ASMEND
	s_waitcnt lgkmcnt(2)
	;;#ASMSTART
	v_dot2_f32_f16 v120, v12, v4, v120
	;;#ASMEND
	;;#ASMSTART
	v_dot2_f32_f16 v120, v13, v5, v120
	;;#ASMEND
	;; [unrolled: 3-line block ×8, first 2 shown]
	s_waitcnt lgkmcnt(1)
	;;#ASMSTART
	v_dot2_f32_f16 v125, v16, v4, v125
	;;#ASMEND
	;;#ASMSTART
	v_dot2_f32_f16 v125, v17, v5, v125
	;;#ASMEND
	;; [unrolled: 3-line block ×6, first 2 shown]
	v_add_co_u32 v126, vcc_lo, s40, v126
	;;#ASMSTART
	v_dot2_f32_f16 v124, v18, v10, v124
	;;#ASMEND
	;;#ASMSTART
	v_dot2_f32_f16 v124, v19, v11, v124
	;;#ASMEND
	s_waitcnt lgkmcnt(0)
	;;#ASMSTART
	v_dot2_f32_f16 v122, v20, v4, v122
	;;#ASMEND
	v_add_co_ci_u32_e32 v127, vcc_lo, s41, v127, vcc_lo
	;;#ASMSTART
	v_dot2_f32_f16 v122, v21, v5, v122
	;;#ASMEND
	;;#ASMSTART
	v_dot2_f32_f16 v122, v22, v6, v122
	;;#ASMEND
	;; [unrolled: 3-line block ×7, first 2 shown]
	s_clause 0x3
	flat_load_u16 v130, v[126:127] offset:64
	flat_load_u16 v131, v[126:127] offset:128
	flat_load_u16 v132, v[126:127]
	flat_load_u16 v133, v[126:127] offset:192
	v_cmp_gt_i32_e32 vcc_lo, 32, v73
	v_cndmask_b32_e64 v2, v70, v79, s2
	v_cndmask_b32_e64 v3, v70, v77, s3
	s_lshl_b64 s[2:3], s[6:7], 2
	v_cndmask_b32_e64 v4, v70, v76, s4
	v_cndmask_b32_e32 v6, v70, v73, vcc_lo
	s_add_u32 s8, s43, s2
	v_cndmask_b32_e64 v5, v70, v75, s5
	s_addc_u32 s9, s44, s3
	v_add_co_u32 v7, vcc_lo, s8, v53
	v_add_co_u32 v8, s2, s8, v55
	v_add_co_u32 v9, s3, s8, v57
	;; [unrolled: 1-line block ×7, first 2 shown]
	v_dual_mov_b32 v0, v116 :: v_dual_lshlrev_b32 v117, 2, v2
	v_dual_mov_b32 v116, v68 :: v_dual_lshlrev_b32 v135, 2, v3
	v_add_co_ci_u32_e64 v3, s8, s9, v52, s8
	v_lshlrev_b32_e32 v138, 2, v6
	v_add_co_ci_u32_e32 v6, vcc_lo, s9, v54, vcc_lo
	v_add_co_ci_u32_e64 v17, vcc_lo, s9, v56, s2
	v_lshlrev_b32_e32 v136, 2, v4
	v_add_co_ci_u32_e64 v18, vcc_lo, s9, v58, s3
	v_add_co_ci_u32_e64 v19, vcc_lo, s9, v60, s4
	;; [unrolled: 1-line block ×5, first 2 shown]
	v_add_co_u32 v4, s8, v15, v98
	v_add_co_u32 v2, vcc_lo, v7, v98
	v_dual_mov_b32 v134, v67 :: v_dual_lshlrev_b32 v137, 2, v5
	v_add_co_u32 v12, s2, v8, v98
	v_add_co_ci_u32_e64 v5, s8, 0, v3, s8
	v_add_co_u32 v16, s3, v9, v98
	v_add_co_ci_u32_e32 v3, vcc_lo, 0, v6, vcc_lo
	v_add_co_u32 v20, s4, v10, v98
	v_add_co_u32 v24, s5, v11, v98
	;; [unrolled: 1-line block ×4, first 2 shown]
	v_add_co_ci_u32_e64 v13, vcc_lo, 0, v17, s2
	v_add_co_ci_u32_e64 v17, vcc_lo, 0, v18, s3
	;; [unrolled: 1-line block ×6, first 2 shown]
	s_waitcnt vmcnt(0) lgkmcnt(0)
	s_barrier
	buffer_gl0_inv
	s_clause 0x7
	global_load_b128 v[4:7], v[4:5], off
	global_load_b128 v[8:11], v[2:3], off
	;; [unrolled: 1-line block ×8, first 2 shown]
	v_cvt_f32_f16_e64 v2, v130
	v_cvt_f32_f16_e64 v3, v131
	;; [unrolled: 1-line block ×4, first 2 shown]
	s_delay_alu instid0(VALU_DEP_4) | instskip(NEXT) | instid1(VALU_DEP_3)
	v_add_f32_e32 v120, v120, v2
	v_dual_add_f32 v2, v121, v2 :: v_dual_add_f32 v119, v119, v67
	s_delay_alu instid0(VALU_DEP_3) | instskip(SKIP_3) | instid1(VALU_DEP_4)
	v_dual_add_f32 v121, v123, v68 :: v_dual_add_f32 v118, v118, v67
	v_add_f32_e32 v125, v125, v3
	v_add_f32_e32 v3, v124, v3
	;; [unrolled: 1-line block ×3, first 2 shown]
	v_dual_add_f32 v133, 0x40051340, v121 :: v_dual_add_f32 v122, v122, v68
	v_add_f32_e32 v123, 0x40051340, v118
	s_delay_alu instid0(VALU_DEP_4) | instskip(SKIP_4) | instid1(VALU_DEP_4)
	v_dual_add_f32 v68, 0x40051340, v2 :: v_dual_add_f32 v131, 0x40051340, v3
	v_add_f32_e32 v124, 0x40051340, v119
	v_add_f32_e32 v130, 0x40051340, v125
	v_add_f32_e32 v132, 0x40051340, v122
	v_max3_f32 v67, v134, v123, v67
	v_max3_f32 v68, v116, v124, v68
	s_delay_alu instid0(VALU_DEP_2) | instskip(NEXT) | instid1(VALU_DEP_2)
	v_max3_f32 v67, v67, v130, v132
	v_max3_f32 v68, v68, v131, v133
	ds_bpermute_b32 v123, v117, v67
	ds_bpermute_b32 v117, v117, v68
	s_waitcnt lgkmcnt(1)
	v_max_f32_e32 v123, v123, v123
	s_waitcnt lgkmcnt(0)
	v_max_f32_e32 v117, v117, v117
	s_delay_alu instid0(VALU_DEP_1) | instskip(SKIP_4) | instid1(VALU_DEP_1)
	v_dual_max_f32 v67, v67, v123 :: v_dual_max_f32 v68, v68, v117
	ds_bpermute_b32 v117, v135, v67
	ds_bpermute_b32 v123, v135, v68
	s_waitcnt lgkmcnt(0)
	v_max_f32_e32 v123, v123, v123
	v_dual_max_f32 v117, v117, v117 :: v_dual_max_f32 v68, v68, v123
	ds_bpermute_b32 v123, v136, v68
	s_waitcnt lgkmcnt(0)
	v_max_f32_e32 v123, v123, v123
	s_delay_alu instid0(VALU_DEP_1) | instskip(SKIP_4) | instid1(VALU_DEP_1)
	v_dual_max_f32 v67, v67, v117 :: v_dual_max_f32 v68, v68, v123
	ds_bpermute_b32 v117, v136, v67
	ds_bpermute_b32 v123, v137, v68
	s_waitcnt lgkmcnt(0)
	v_max_f32_e32 v123, v123, v123
	v_dual_max_f32 v117, v117, v117 :: v_dual_max_f32 v68, v68, v123
	ds_bpermute_b32 v123, v138, v68
	s_waitcnt lgkmcnt(0)
	v_max_f32_e32 v123, v123, v123
	s_delay_alu instid0(VALU_DEP_1) | instskip(SKIP_3) | instid1(VALU_DEP_2)
	v_dual_max_f32 v67, v67, v117 :: v_dual_max_f32 v68, v68, v123
	ds_bpermute_b32 v117, v137, v67
	v_sub_f32_e32 v116, v116, v68
	v_sub_f32_e32 v2, v2, v68
	v_cmp_ngt_f32_e64 s9, 0xc2ce8ed0, v116
	v_cmp_nlt_f32_e64 s20, 0x42b17218, v116
	s_delay_alu instid0(VALU_DEP_3) | instskip(SKIP_3) | instid1(VALU_DEP_1)
	v_cmp_ngt_f32_e64 s6, 0xc2ce8ed0, v2
	v_cmp_nlt_f32_e64 s17, 0x42b17218, v2
	s_waitcnt lgkmcnt(0)
	v_max_f32_e32 v117, v117, v117
	v_max_f32_e32 v67, v67, v117
	ds_bpermute_b32 v117, v138, v67
	s_waitcnt lgkmcnt(0)
	v_max_f32_e32 v117, v117, v117
	s_delay_alu instid0(VALU_DEP_1) | instskip(NEXT) | instid1(VALU_DEP_1)
	v_max_f32_e32 v67, v67, v117
	v_dual_sub_f32 v119, v119, v68 :: v_dual_sub_f32 v122, v122, v67
	v_sub_f32_e32 v121, v121, v68
	s_delay_alu instid0(VALU_DEP_2) | instskip(SKIP_1) | instid1(VALU_DEP_4)
	v_cmp_ngt_f32_e32 vcc_lo, 0xc2ce8ed0, v119
	v_cmp_nlt_f32_e64 s11, 0x42b17218, v119
	v_mul_f32_e32 v132, 0x3fb8aa3b, v122
	v_sub_f32_e32 v120, v120, v67
	v_sub_f32_e32 v123, v125, v67
	v_cmp_ngt_f32_e64 s4, 0xc2ce8ed0, v122
	v_cmp_nlt_f32_e64 s15, 0x42b17218, v122
	v_fma_f32 v146, 0x3fb8aa3b, v122, -v132
	v_rndne_f32_e32 v147, v132
	v_mul_f32_e32 v137, 0x3fb8aa3b, v116
	v_dual_mul_f32 v124, 0x3fb8aa3b, v120 :: v_dual_sub_f32 v117, v134, v67
	v_mul_f32_e32 v134, 0x3fb8aa3b, v2
	v_fmac_f32_e32 v146, 0x32a5705f, v122
	v_sub_f32_e32 v122, v132, v147
	v_fma_f32 v156, 0x3fb8aa3b, v116, -v137
	v_rndne_f32_e32 v157, v137
	v_mul_f32_e32 v125, 0x3fb8aa3b, v119
	v_fma_f32 v138, 0x3fb8aa3b, v120, -v124
	v_sub_f32_e32 v118, v118, v67
	v_fmac_f32_e32 v156, 0x32a5705f, v116
	v_sub_f32_e32 v116, v137, v157
	v_fma_f32 v140, 0x3fb8aa3b, v119, -v125
	v_rndne_f32_e32 v141, v125
	v_rndne_f32_e32 v139, v124
	v_fma_f32 v150, 0x3fb8aa3b, v2, -v134
	v_fmac_f32_e32 v138, 0x32a5705f, v120
	s_delay_alu instid0(VALU_DEP_4)
	v_dual_fmac_f32 v140, 0x32a5705f, v119 :: v_dual_sub_f32 v119, v125, v141
	v_dual_sub_f32 v3, v3, v68 :: v_dual_mul_f32 v130, 0x3fb8aa3b, v118
	v_mul_f32_e32 v136, 0x3fb8aa3b, v121
	v_cmp_ngt_f32_e64 s10, 0xc2ce8ed0, v120
	v_cmp_nlt_f32_e64 s21, 0x42b17218, v120
	v_sub_f32_e32 v120, v124, v139
	v_mul_f32_e32 v131, 0x3fb8aa3b, v123
	v_dual_fmac_f32 v150, 0x32a5705f, v2 :: v_dual_add_f32 v119, v119, v140
	v_fma_f32 v142, 0x3fb8aa3b, v118, -v130
	v_rndne_f32_e32 v143, v130
	v_dual_mul_f32 v133, 0x3fb8aa3b, v117 :: v_dual_add_f32 v120, v120, v138
	v_fma_f32 v144, 0x3fb8aa3b, v123, -v131
	v_rndne_f32_e32 v145, v131
	v_exp_f32_e32 v119, v119
	v_cmp_ngt_f32_e64 s2, 0xc2ce8ed0, v118
	v_cmp_ngt_f32_e64 s3, 0xc2ce8ed0, v123
	v_cmp_nlt_f32_e64 s12, 0x42b17218, v118
	v_cmp_nlt_f32_e64 s13, 0x42b17218, v123
	v_cvt_i32_f32_e32 v125, v141
	v_fmac_f32_e32 v142, 0x32a5705f, v118
	v_sub_f32_e32 v118, v130, v143
	v_rndne_f32_e32 v149, v133
	v_dual_fmac_f32 v144, 0x32a5705f, v123 :: v_dual_sub_f32 v123, v131, v145
	s_delay_alu instid0(VALU_DEP_3) | instskip(SKIP_3) | instid1(VALU_DEP_4)
	v_dual_mul_f32 v135, 0x3fb8aa3b, v3 :: v_dual_add_f32 v118, v118, v142
	v_fma_f32 v148, 0x3fb8aa3b, v117, -v133
	v_rndne_f32_e32 v151, v134
	v_fma_f32 v154, 0x3fb8aa3b, v121, -v136
	v_fma_f32 v152, 0x3fb8aa3b, v3, -v135
	v_rndne_f32_e32 v153, v135
	v_rndne_f32_e32 v155, v136
	v_ldexp_f32 v119, v119, v125
	v_cmp_ngt_f32_e64 s5, 0xc2ce8ed0, v117
	v_cmp_ngt_f32_e64 s7, 0xc2ce8ed0, v3
	;; [unrolled: 1-line block ×3, first 2 shown]
	v_cmp_nlt_f32_e64 s16, 0x42b17218, v117
	v_cmp_nlt_f32_e64 s18, 0x42b17218, v3
	;; [unrolled: 1-line block ×3, first 2 shown]
	v_fmac_f32_e32 v148, 0x32a5705f, v117
	v_dual_sub_f32 v117, v133, v149 :: v_dual_sub_f32 v2, v134, v151
	v_dual_add_f32 v123, v123, v144 :: v_dual_fmac_f32 v154, 0x32a5705f, v121
	v_sub_f32_e32 v121, v136, v155
	s_delay_alu instid0(VALU_DEP_3) | instskip(SKIP_3) | instid1(VALU_DEP_4)
	v_dual_fmac_f32 v152, 0x32a5705f, v3 :: v_dual_add_f32 v117, v117, v148
	v_dual_sub_f32 v3, v135, v153 :: v_dual_add_f32 v122, v122, v146
	v_cndmask_b32_e32 v119, 0, v119, vcc_lo
	v_cvt_i32_f32_e32 v133, v149
	v_exp_f32_e32 v117, v117
	s_delay_alu instid0(VALU_DEP_3)
	v_add_f32_e32 v3, v3, v152
	v_cvt_i32_f32_e32 v134, v151
	v_cndmask_b32_e64 v119, 0x7f800000, v119, s11
	v_add_f32_e32 v2, v2, v150
	v_add_f32_e32 v121, v121, v154
	v_exp_f32_e32 v120, v120
	v_exp_f32_e32 v3, v3
	v_cvt_i32_f32_e32 v124, v139
	v_exp_f32_e32 v2, v2
	v_cvt_i32_f32_e32 v135, v153
	v_exp_f32_e32 v122, v122
	v_exp_f32_e32 v121, v121
	v_ldexp_f32 v117, v117, v133
	v_cvt_i32_f32_e32 v132, v147
	v_cvt_i32_f32_e32 v136, v155
	v_exp_f32_e32 v123, v123
	v_ldexp_f32 v120, v120, v124
	v_ldexp_f32 v3, v3, v135
	v_ldexp_f32 v2, v2, v134
	v_cndmask_b32_e64 v117, 0, v117, s5
	v_cvt_i32_f32_e32 v131, v145
	v_ldexp_f32 v122, v122, v132
	v_ldexp_f32 v121, v121, v136
	v_cndmask_b32_e64 v124, 0, v2, s6
	v_cndmask_b32_e64 v3, 0, v3, s7
	;; [unrolled: 1-line block ×3, first 2 shown]
	v_ldexp_f32 v123, v123, v131
	v_cndmask_b32_e64 v122, 0, v122, s4
	v_cndmask_b32_e64 v117, 0x7f800000, v124, s17
	;; [unrolled: 1-line block ×4, first 2 shown]
	v_cvt_f16_f32_e64 v131, v119
	v_exp_f32_e32 v118, v118
	v_add_f32_e32 v119, v119, v117
	v_cndmask_b32_e64 v122, 0x7f800000, v122, s15
	v_cndmask_b32_e64 v121, 0x7f800000, v121, s19
	v_cvt_i32_f32_e32 v130, v143
	v_cvt_i32_f32_e32 v137, v157
	v_add_f32_e32 v119, v124, v119
	v_add_f32_e32 v116, v116, v156
	v_cndmask_b32_e64 v120, 0, v120, s10
	v_cndmask_b32_e64 v123, 0, v123, s3
	v_ldexp_f32 v118, v118, v130
	v_cvt_f16_f32_e32 v117, v117
	v_exp_f32_e32 v116, v116
	v_cndmask_b32_e64 v120, 0x7f800000, v120, s21
	v_cndmask_b32_e64 v123, 0x7f800000, v123, s13
	v_cndmask_b32_e64 v118, 0, v118, s2
	v_cvt_f16_f32_e64 v130, v122
	v_cvt_f16_f32_e64 v132, v124
	;; [unrolled: 1-line block ×3, first 2 shown]
	v_cvt_f16_f32_e32 v125, v123
	v_cndmask_b32_e64 v118, 0x7f800000, v118, s12
	v_cvt_f16_f32_e64 v158, v2
	v_ldexp_f32 v116, v116, v137
	v_pack_b32_f16 v124, v130, v133
	s_delay_alu instid0(VALU_DEP_2) | instskip(NEXT) | instid1(VALU_DEP_1)
	v_cndmask_b32_e64 v116, 0, v116, s9
	v_cndmask_b32_e64 v3, 0x7f800000, v116, s20
	v_add_f32_e32 v116, v118, v120
	v_cvt_f16_f32_e32 v120, v120
	v_cvt_f16_f32_e32 v118, v118
	s_delay_alu instid0(VALU_DEP_4) | instskip(NEXT) | instid1(VALU_DEP_3)
	v_cvt_f16_f32_e64 v159, v3
	v_pack_b32_f16 v120, v120, v117
	v_add_f32_e32 v117, v121, v119
	s_delay_alu instid0(VALU_DEP_4) | instskip(NEXT) | instid1(VALU_DEP_2)
	v_pack_b32_f16 v118, v118, v131
	v_dual_fmac_f32 v117, v1, v3 :: v_dual_add_f32 v116, v123, v116
	v_pack_b32_f16 v123, v125, v132
	ds_store_2addr_b32 v99, v118, v120 offset1:32
	ds_store_2addr_b32 v99, v123, v124 offset0:64 offset1:96
	s_waitcnt vmcnt(7)
	ds_store_b128 v89, v[4:7]
	s_waitcnt vmcnt(6)
	ds_store_b128 v91, v[8:11]
	;; [unrolled: 2-line block ×8, first 2 shown]
	v_add_f32_e32 v116, v122, v116
	s_waitcnt lgkmcnt(0)
	s_barrier
	buffer_gl0_inv
	ds_load_2addr_b32 v[161:162], v71 offset1:32
	ds_load_2addr_b32 v[163:164], v71 offset0:64 offset1:96
	ds_load_2addr_b32 v[165:166], v71 offset0:128 offset1:160
	ds_load_b128 v[4:7], v90
	ds_load_b128 v[8:11], v90 offset:16
	ds_load_2addr_b32 v[167:168], v71 offset0:192 offset1:224
	ds_load_2addr_b32 v[169:170], v100 offset1:32
	ds_load_2addr_b32 v[171:172], v100 offset0:64 offset1:96
	ds_load_2addr_b32 v[173:174], v100 offset0:128 offset1:160
	ds_load_b128 v[12:15], v90 offset:32
	ds_load_b128 v[16:19], v90 offset:48
	ds_load_2addr_b32 v[175:176], v100 offset0:192 offset1:224
	ds_load_2addr_b32 v[177:178], v101 offset1:32
	ds_load_2addr_b32 v[179:180], v101 offset0:64 offset1:96
	ds_load_2addr_b32 v[181:182], v101 offset0:128 offset1:160
	ds_load_b128 v[20:23], v90 offset:64
	;; [unrolled: 6-line block ×8, first 2 shown]
	s_waitcnt lgkmcnt(48)
	v_pk_mul_f16 v160, v161, v4 op_sel_hi:[1,0]
	v_pk_mul_f16 v4, v161, v4 op_sel:[0,1]
	ds_load_2addr_b32 v[231:232], v107 offset0:192 offset1:224
	v_fmac_f32_e32 v116, v0, v2
	v_pk_fma_f16 v115, v158, v115, v160 op_sel_hi:[0,1,1]
	v_pk_fma_f16 v4, v88, v159, v4 op_sel_hi:[1,0,1]
	ds_load_b128 v[158:161], v90 offset:272
	v_pk_fma_f16 v88, v162, v5, v115 op_sel_hi:[1,0,1]
	v_pk_fma_f16 v4, v162, v5, v4 op_sel:[0,1,0]
	s_delay_alu instid0(VALU_DEP_2) | instskip(NEXT) | instid1(VALU_DEP_2)
	v_pk_fma_f16 v5, v163, v6, v88 op_sel_hi:[1,0,1]
	v_pk_fma_f16 v4, v163, v6, v4 op_sel:[0,1,0]
	ds_load_2addr_b32 v[162:163], v108 offset1:32
	ds_load_2addr_b32 v[233:234], v108 offset0:64 offset1:96
	ds_load_2addr_b32 v[235:236], v108 offset0:128 offset1:160
	v_pk_fma_f16 v5, v164, v7, v5 op_sel_hi:[1,0,1]
	v_pk_fma_f16 v4, v164, v7, v4 op_sel:[0,1,0]
	s_waitcnt lgkmcnt(52)
	s_delay_alu instid0(VALU_DEP_2) | instskip(NEXT) | instid1(VALU_DEP_2)
	v_pk_fma_f16 v5, v165, v8, v5 op_sel_hi:[1,0,1]
	v_pk_fma_f16 v4, v165, v8, v4 op_sel:[0,1,0]
	s_delay_alu instid0(VALU_DEP_2) | instskip(NEXT) | instid1(VALU_DEP_2)
	v_pk_fma_f16 v5, v166, v9, v5 op_sel_hi:[1,0,1]
	v_pk_fma_f16 v4, v166, v9, v4 op_sel:[0,1,0]
	s_waitcnt lgkmcnt(51)
	s_delay_alu instid0(VALU_DEP_2) | instskip(NEXT) | instid1(VALU_DEP_2)
	v_pk_fma_f16 v5, v167, v10, v5 op_sel_hi:[1,0,1]
	v_pk_fma_f16 v4, v167, v10, v4 op_sel:[0,1,0]
	s_delay_alu instid0(VALU_DEP_2) | instskip(NEXT) | instid1(VALU_DEP_2)
	v_pk_fma_f16 v88, v168, v11, v5 op_sel_hi:[1,0,1]
	v_pk_fma_f16 v115, v168, v11, v4 op_sel:[0,1,0]
	ds_load_b128 v[4:7], v90 offset:288
	ds_load_b128 v[8:11], v90 offset:304
	ds_load_2addr_b32 v[164:165], v108 offset0:192 offset1:224
	s_waitcnt lgkmcnt(50)
	v_pk_fma_f16 v88, v169, v12, v88 op_sel_hi:[1,0,1]
	v_pk_fma_f16 v12, v169, v12, v115 op_sel:[0,1,0]
	s_delay_alu instid0(VALU_DEP_2) | instskip(NEXT) | instid1(VALU_DEP_2)
	v_pk_fma_f16 v88, v170, v13, v88 op_sel_hi:[1,0,1]
	v_pk_fma_f16 v12, v170, v13, v12 op_sel:[0,1,0]
	s_delay_alu instid0(VALU_DEP_2) | instskip(NEXT) | instid1(VALU_DEP_2)
	v_pk_fma_f16 v13, v171, v14, v88 op_sel_hi:[1,0,1]
	v_pk_fma_f16 v12, v171, v14, v12 op_sel:[0,1,0]
	ds_load_2addr_b32 v[166:167], v109 offset1:32
	ds_load_2addr_b32 v[168:169], v109 offset0:64 offset1:96
	ds_load_2addr_b32 v[170:171], v109 offset0:128 offset1:160
	v_pk_fma_f16 v13, v172, v15, v13 op_sel_hi:[1,0,1]
	v_pk_fma_f16 v12, v172, v15, v12 op_sel:[0,1,0]
	s_waitcnt lgkmcnt(52)
	s_delay_alu instid0(VALU_DEP_2) | instskip(NEXT) | instid1(VALU_DEP_2)
	v_pk_fma_f16 v13, v173, v16, v13 op_sel_hi:[1,0,1]
	v_pk_fma_f16 v12, v173, v16, v12 op_sel:[0,1,0]
	s_delay_alu instid0(VALU_DEP_2) | instskip(NEXT) | instid1(VALU_DEP_2)
	v_pk_fma_f16 v13, v174, v17, v13 op_sel_hi:[1,0,1]
	v_pk_fma_f16 v12, v174, v17, v12 op_sel:[0,1,0]
	s_waitcnt lgkmcnt(51)
	s_delay_alu instid0(VALU_DEP_2) | instskip(NEXT) | instid1(VALU_DEP_2)
	v_pk_fma_f16 v13, v175, v18, v13 op_sel_hi:[1,0,1]
	v_pk_fma_f16 v12, v175, v18, v12 op_sel:[0,1,0]
	s_delay_alu instid0(VALU_DEP_2) | instskip(NEXT) | instid1(VALU_DEP_2)
	v_pk_fma_f16 v88, v176, v19, v13 op_sel_hi:[1,0,1]
	v_pk_fma_f16 v115, v176, v19, v12 op_sel:[0,1,0]
	ds_load_b128 v[12:15], v90 offset:320
	ds_load_b128 v[16:19], v90 offset:336
	ds_load_2addr_b32 v[172:173], v109 offset0:192 offset1:224
	s_waitcnt lgkmcnt(50)
	v_pk_fma_f16 v88, v177, v20, v88 op_sel_hi:[1,0,1]
	v_pk_fma_f16 v20, v177, v20, v115 op_sel:[0,1,0]
	s_delay_alu instid0(VALU_DEP_2) | instskip(NEXT) | instid1(VALU_DEP_2)
	;; [unrolled: 31-line block ×6, first 2 shown]
	v_pk_fma_f16 v88, v210, v139, v88 op_sel_hi:[1,0,1]
	v_pk_fma_f16 v115, v210, v139, v115 op_sel:[0,1,0]
	s_delay_alu instid0(VALU_DEP_2) | instskip(NEXT) | instid1(VALU_DEP_2)
	v_pk_fma_f16 v88, v211, v140, v88 op_sel_hi:[1,0,1]
	v_pk_fma_f16 v115, v211, v140, v115 op_sel:[0,1,0]
	ds_load_2addr_b32 v[206:207], v114 offset1:32
	ds_load_2addr_b32 v[208:209], v114 offset0:64 offset1:96
	ds_load_2addr_b32 v[210:211], v114 offset0:128 offset1:160
	v_pk_fma_f16 v88, v212, v141, v88 op_sel_hi:[1,0,1]
	v_pk_fma_f16 v115, v212, v141, v115 op_sel:[0,1,0]
	s_waitcnt lgkmcnt(52)
	s_delay_alu instid0(VALU_DEP_2) | instskip(NEXT) | instid1(VALU_DEP_2)
	v_pk_fma_f16 v88, v213, v142, v88 op_sel_hi:[1,0,1]
	v_pk_fma_f16 v115, v213, v142, v115 op_sel:[0,1,0]
	s_delay_alu instid0(VALU_DEP_2) | instskip(NEXT) | instid1(VALU_DEP_2)
	v_pk_fma_f16 v88, v214, v143, v88 op_sel_hi:[1,0,1]
	v_pk_fma_f16 v115, v214, v143, v115 op_sel:[0,1,0]
	s_waitcnt lgkmcnt(51)
	s_delay_alu instid0(VALU_DEP_2) | instskip(NEXT) | instid1(VALU_DEP_2)
	v_pk_fma_f16 v88, v215, v144, v88 op_sel_hi:[1,0,1]
	v_pk_fma_f16 v115, v215, v144, v115 op_sel:[0,1,0]
	s_delay_alu instid0(VALU_DEP_2) | instskip(NEXT) | instid1(VALU_DEP_2)
	v_pk_fma_f16 v88, v216, v145, v88 op_sel_hi:[1,0,1]
	v_pk_fma_f16 v115, v216, v145, v115 op_sel:[0,1,0]
	ds_load_b128 v[138:141], v90 offset:480
	ds_load_b128 v[142:145], v90 offset:496
	s_waitcnt lgkmcnt(49)
	v_pk_fma_f16 v88, v217, v146, v88 op_sel_hi:[1,0,1]
	v_pk_fma_f16 v115, v217, v146, v115 op_sel:[0,1,0]
	s_delay_alu instid0(VALU_DEP_2) | instskip(NEXT) | instid1(VALU_DEP_2)
	v_pk_fma_f16 v88, v218, v147, v88 op_sel_hi:[1,0,1]
	v_pk_fma_f16 v115, v218, v147, v115 op_sel:[0,1,0]
	ds_load_2addr_b32 v[146:147], v114 offset0:192 offset1:224
	s_waitcnt lgkmcnt(0)
	s_barrier
	v_pk_fma_f16 v88, v219, v148, v88 op_sel_hi:[1,0,1]
	v_pk_fma_f16 v115, v219, v148, v115 op_sel:[0,1,0]
	buffer_gl0_inv
	s_load_b32 s2, s[22:23], 0x4
	v_pk_fma_f16 v88, v220, v149, v88 op_sel_hi:[1,0,1]
	v_pk_fma_f16 v115, v220, v149, v115 op_sel:[0,1,0]
	s_delay_alu instid0(VALU_DEP_2) | instskip(NEXT) | instid1(VALU_DEP_2)
	v_pk_fma_f16 v88, v221, v150, v88 op_sel_hi:[1,0,1]
	v_pk_fma_f16 v115, v221, v150, v115 op_sel:[0,1,0]
	s_delay_alu instid0(VALU_DEP_2) | instskip(NEXT) | instid1(VALU_DEP_2)
	;; [unrolled: 3-line block ×3, first 2 shown]
	v_pk_fma_f16 v88, v223, v152, v88 op_sel_hi:[1,0,1]
	v_pk_fma_f16 v115, v223, v152, v115 op_sel:[0,1,0]
	s_waitcnt lgkmcnt(0)
	s_lshl_b32 s2, s2, 7
	s_delay_alu instid0(VALU_DEP_2) | instskip(NEXT) | instid1(VALU_DEP_2)
	v_pk_fma_f16 v88, v224, v153, v88 op_sel_hi:[1,0,1]
	v_pk_fma_f16 v115, v224, v153, v115 op_sel:[0,1,0]
	s_add_i32 s26, s2, s26
	s_delay_alu instid0(SALU_CYCLE_1) | instskip(NEXT) | instid1(VALU_DEP_2)
	s_cmp_ge_i32 s26, s34
	v_pk_fma_f16 v88, v225, v154, v88 op_sel_hi:[1,0,1]
	s_delay_alu instid0(VALU_DEP_2) | instskip(NEXT) | instid1(VALU_DEP_2)
	v_pk_fma_f16 v115, v225, v154, v115 op_sel:[0,1,0]
	v_pk_fma_f16 v88, v226, v155, v88 op_sel_hi:[1,0,1]
	s_delay_alu instid0(VALU_DEP_2) | instskip(NEXT) | instid1(VALU_DEP_2)
	v_pk_fma_f16 v115, v226, v155, v115 op_sel:[0,1,0]
	;; [unrolled: 3-line block ×63, first 2 shown]
	v_pk_fma_f16 v115, v147, v145, v0 op_sel_hi:[1,0,1]
	s_delay_alu instid0(VALU_DEP_2)
	v_pk_fma_f16 v88, v147, v145, v1 op_sel:[0,1,0]
	s_cbranch_scc0 .LBB27_9
; %bb.10:
	v_mov_b32_e32 v0, v70
.LBB27_11:
	v_cmp_lt_i32_e32 vcc_lo, v79, v72
	v_lshlrev_b32_e32 v6, 1, v33
	s_cmp_lg_u64 s[24:25], 0
	s_cselect_b32 s2, -1, 0
	v_cndmask_b32_e32 v1, v0, v79, vcc_lo
	v_cmp_lt_i32_e32 vcc_lo, v77, v72
	s_cmp_eq_u32 s14, 0
	s_cselect_b32 s3, -1, 0
	s_delay_alu instid0(VALU_DEP_2)
	v_lshlrev_b32_e32 v1, 2, v1
	s_and_b32 s2, s3, s2
	ds_bpermute_b32 v2, v1, v116
	s_waitcnt lgkmcnt(0)
	v_add_f32_e32 v2, v116, v2
	v_cndmask_b32_e32 v3, v0, v77, vcc_lo
	ds_bpermute_b32 v1, v1, v117
	v_cmp_lt_i32_e32 vcc_lo, v76, v72
	v_lshlrev_b32_e32 v3, 2, v3
	v_cndmask_b32_e32 v5, v0, v76, vcc_lo
	v_cmp_lt_i32_e32 vcc_lo, v75, v72
	ds_bpermute_b32 v4, v3, v2
	s_waitcnt lgkmcnt(0)
	v_dual_add_f32 v2, v2, v4 :: v_dual_lshlrev_b32 v5, 2, v5
	v_add_f32_e32 v1, v117, v1
	ds_bpermute_b32 v3, v3, v1
	s_waitcnt lgkmcnt(0)
	v_add_f32_e32 v1, v1, v3
	ds_bpermute_b32 v3, v5, v2
	ds_bpermute_b32 v4, v5, v1
	v_cndmask_b32_e32 v5, v0, v75, vcc_lo
	v_cmp_lt_i32_e32 vcc_lo, v73, v72
	s_delay_alu instid0(VALU_DEP_2) | instskip(SKIP_2) | instid1(VALU_DEP_1)
	v_lshlrev_b32_e32 v5, 2, v5
	v_cndmask_b32_e32 v0, v0, v73, vcc_lo
	s_and_b32 vcc_lo, exec_lo, s2
	v_lshlrev_b32_e32 v0, 2, v0
	s_waitcnt lgkmcnt(0)
	v_dual_add_f32 v2, v2, v3 :: v_dual_add_f32 v1, v1, v4
	ds_bpermute_b32 v3, v5, v2
	ds_bpermute_b32 v4, v5, v1
	s_waitcnt lgkmcnt(0)
	v_dual_add_f32 v2, v2, v3 :: v_dual_add_f32 v1, v1, v4
	ds_bpermute_b32 v3, v0, v2
	ds_bpermute_b32 v4, v0, v1
	s_waitcnt lgkmcnt(0)
	v_dual_add_f32 v0, v2, v3 :: v_dual_add_f32 v1, v1, v4
	s_cbranch_vccz .LBB27_14
; %bb.12:
	v_dual_max_f32 v7, v68, v68 :: v_dual_add_nc_u32 v2, s42, v69
	s_delay_alu instid0(VALU_DEP_1) | instskip(NEXT) | instid1(VALU_DEP_1)
	v_ashrrev_i32_e32 v3, 31, v2
	v_lshlrev_b64 v[2:3], 2, v[2:3]
	s_delay_alu instid0(VALU_DEP_1) | instskip(NEXT) | instid1(VALU_DEP_2)
	v_add_co_u32 v2, vcc_lo, s24, v2
	v_add_co_ci_u32_e32 v3, vcc_lo, s25, v3, vcc_lo
	global_load_b64 v[2:3], v[2:3], off
	s_waitcnt vmcnt(0)
	v_dual_max_f32 v4, v67, v67 :: v_dual_max_f32 v5, v2, v2
	v_max_f32_e32 v8, v3, v3
	s_delay_alu instid0(VALU_DEP_1) | instskip(NEXT) | instid1(VALU_DEP_1)
	v_dual_max_f32 v4, v4, v5 :: v_dual_max_f32 v5, v7, v8
	v_dual_sub_f32 v7, v67, v4 :: v_dual_sub_f32 v8, v68, v5
	v_dual_sub_f32 v2, v2, v4 :: v_dual_sub_f32 v3, v3, v5
	s_delay_alu instid0(VALU_DEP_2) | instskip(NEXT) | instid1(VALU_DEP_2)
	v_dual_mov_b32 v68, v5 :: v_dual_mul_f32 v9, 0x3fb8aa3b, v7
	v_dual_mul_f32 v11, 0x3fb8aa3b, v8 :: v_dual_mul_f32 v10, 0x3fb8aa3b, v2
	s_delay_alu instid0(VALU_DEP_3) | instskip(SKIP_1) | instid1(VALU_DEP_4)
	v_mul_f32_e32 v12, 0x3fb8aa3b, v3
	v_cmp_ngt_f32_e32 vcc_lo, 0xc2ce8ed0, v7
	v_fma_f32 v13, 0x3fb8aa3b, v7, -v9
	v_rndne_f32_e32 v14, v9
	v_fma_f32 v15, 0x3fb8aa3b, v2, -v10
	v_rndne_f32_e32 v16, v10
	v_fma_f32 v17, 0x3fb8aa3b, v8, -v11
	v_fmac_f32_e32 v13, 0x32a5705f, v7
	v_sub_f32_e32 v9, v9, v14
	v_rndne_f32_e32 v20, v12
	v_dual_sub_f32 v10, v10, v16 :: v_dual_fmac_f32 v15, 0x32a5705f, v2
	v_fma_f32 v19, 0x3fb8aa3b, v3, -v12
	s_delay_alu instid0(VALU_DEP_3) | instskip(NEXT) | instid1(VALU_DEP_3)
	v_dual_add_f32 v9, v9, v13 :: v_dual_sub_f32 v12, v12, v20
	v_dual_fmac_f32 v17, 0x32a5705f, v8 :: v_dual_add_f32 v10, v10, v15
	v_cvt_i32_f32_e32 v13, v14
	s_delay_alu instid0(VALU_DEP_3)
	v_exp_f32_e32 v9, v9
	v_cvt_i32_f32_e32 v14, v16
	v_rndne_f32_e32 v18, v11
	v_exp_f32_e32 v10, v10
	v_cvt_i32_f32_e32 v16, v20
	v_mov_b32_e32 v67, v4
	s_delay_alu instid0(VALU_DEP_3) | instskip(NEXT) | instid1(TRANS32_DEP_2)
	v_cvt_i32_f32_e32 v15, v18
	v_ldexp_f32 v9, v9, v13
	s_waitcnt_depctr 0xfff
	v_ldexp_f32 v10, v10, v14
	v_cndmask_b32_e32 v9, 0, v9, vcc_lo
	v_cmp_ngt_f32_e32 vcc_lo, 0xc2ce8ed0, v2
	s_delay_alu instid0(VALU_DEP_3) | instskip(NEXT) | instid1(VALU_DEP_1)
	v_dual_fmac_f32 v19, 0x32a5705f, v3 :: v_dual_cndmask_b32 v10, 0, v10
	v_dual_sub_f32 v11, v11, v18 :: v_dual_add_f32 v12, v12, v19
	v_cmp_ngt_f32_e32 vcc_lo, 0xc2ce8ed0, v8
	s_delay_alu instid0(VALU_DEP_2) | instskip(NEXT) | instid1(VALU_DEP_3)
	v_add_f32_e32 v11, v11, v17
	v_exp_f32_e32 v12, v12
	s_delay_alu instid0(VALU_DEP_1) | instskip(SKIP_3) | instid1(VALU_DEP_1)
	v_exp_f32_e32 v11, v11
	s_waitcnt_depctr 0xfff
	v_ldexp_f32 v12, v12, v16
	v_ldexp_f32 v11, v11, v15
	v_cndmask_b32_e32 v11, 0, v11, vcc_lo
	v_cmp_ngt_f32_e32 vcc_lo, 0xc2ce8ed0, v3
	s_delay_alu instid0(VALU_DEP_4)
	v_cndmask_b32_e32 v12, 0, v12, vcc_lo
	v_cmp_nlt_f32_e32 vcc_lo, 0x42b17218, v7
	v_cndmask_b32_e32 v7, 0x7f800000, v9, vcc_lo
	v_cmp_nlt_f32_e32 vcc_lo, 0x42b17218, v2
	;; [unrolled: 2-line block ×3, first 2 shown]
	s_delay_alu instid0(VALU_DEP_2) | instskip(SKIP_2) | instid1(VALU_DEP_3)
	v_fmac_f32_e32 v2, v0, v7
	v_cndmask_b32_e32 v8, 0x7f800000, v11, vcc_lo
	v_cmp_nlt_f32_e32 vcc_lo, 0x42b17218, v3
	v_mov_b32_e32 v0, v2
	v_cvt_f16_f32_e32 v9, v7
	v_cndmask_b32_e32 v3, 0x7f800000, v12, vcc_lo
	v_cvt_f16_f32_e32 v10, v8
	s_delay_alu instid0(VALU_DEP_3) | instskip(NEXT) | instid1(VALU_DEP_3)
	v_pk_mul_f16 v115, v115, v9 op_sel_hi:[1,0]
	v_fmac_f32_e32 v3, v1, v8
	s_delay_alu instid0(VALU_DEP_3) | instskip(NEXT) | instid1(VALU_DEP_2)
	v_pk_mul_f16 v88, v88, v10 op_sel_hi:[1,0]
	v_mov_b32_e32 v1, v3
	s_mov_b32 s2, exec_lo
	v_cmpx_gt_i32_e64 s38, v32
	s_cbranch_execnz .LBB27_15
.LBB27_13:
	s_nop 0
	s_sendmsg sendmsg(MSG_DEALLOC_VGPRS)
	s_endpgm
.LBB27_14:
	s_delay_alu instid0(VALU_DEP_1)
	v_dual_mov_b32 v3, v1 :: v_dual_mov_b32 v2, v0
	s_mov_b32 s2, exec_lo
	v_cmpx_gt_i32_e64 s38, v32
	s_cbranch_execz .LBB27_13
.LBB27_15:
	s_load_b32 s1, s[0:1], 0xd4
	v_mov_b32_e32 v7, 1.0
	s_waitcnt lgkmcnt(0)
	s_cmp_lg_u32 s1, 1
	s_cselect_b32 s3, -1, 0
	s_cmp_eq_u32 s1, 1
	s_cselect_b32 s2, -1, 0
	s_and_b32 vcc_lo, exec_lo, s3
	s_cbranch_vccnz .LBB27_17
; %bb.16:
	v_div_scale_f32 v4, null, v0, v0, 1.0
	s_delay_alu instid0(VALU_DEP_1) | instskip(SKIP_2) | instid1(VALU_DEP_1)
	v_rcp_f32_e32 v5, v4
	s_waitcnt_depctr 0xfff
	v_fma_f32 v7, -v4, v5, 1.0
	v_fmac_f32_e32 v5, v7, v5
	v_div_scale_f32 v7, vcc_lo, 1.0, v0, 1.0
	s_delay_alu instid0(VALU_DEP_1) | instskip(NEXT) | instid1(VALU_DEP_1)
	v_mul_f32_e32 v8, v7, v5
	v_fma_f32 v9, -v4, v8, v7
	s_delay_alu instid0(VALU_DEP_1) | instskip(NEXT) | instid1(VALU_DEP_1)
	v_fmac_f32_e32 v8, v9, v5
	v_fma_f32 v4, -v4, v8, v7
	s_delay_alu instid0(VALU_DEP_1) | instskip(NEXT) | instid1(VALU_DEP_1)
	v_div_fmas_f32 v4, v4, v5, v8
	v_div_fixup_f32 v7, v4, v0, 1.0
.LBB27_17:
	v_mad_u64_u32 v[4:5], null, s33, s38, v[32:33]
	v_cmp_eq_u32_e32 vcc_lo, 0, v33
	s_delay_alu instid0(VALU_DEP_2) | instskip(NEXT) | instid1(VALU_DEP_1)
	v_mul_lo_u32 v0, v4, s39
	v_add3_u32 v0, s42, v69, v0
	s_delay_alu instid0(VALU_DEP_1) | instskip(SKIP_3) | instid1(VALU_DEP_3)
	v_mad_u64_u32 v[4:5], null, s1, v0, s[14:15]
	v_cvt_f32_f16_e32 v5, v115
	v_mov_b32_e32 v9, 0
	v_lshrrev_b32_e32 v0, 16, v115
	v_mul_f32_e32 v10, v7, v5
	v_lshl_add_u32 v8, v4, 6, v6
	s_delay_alu instid0(VALU_DEP_3) | instskip(NEXT) | instid1(VALU_DEP_2)
	v_cvt_f32_f16_e32 v0, v0
	v_lshlrev_b64 v[8:9], 2, v[8:9]
	s_delay_alu instid0(VALU_DEP_2) | instskip(NEXT) | instid1(VALU_DEP_2)
	v_mul_f32_e32 v11, v7, v0
	v_add_co_u32 v7, s0, s28, v8
	s_delay_alu instid0(VALU_DEP_1)
	v_add_co_ci_u32_e64 v8, s0, s29, v9, s0
	s_and_b32 s0, vcc_lo, s3
	global_store_b64 v[7:8], v[10:11], off
	s_and_saveexec_b32 s3, s0
	s_cbranch_execz .LBB27_19
; %bb.18:
	v_ashrrev_i32_e32 v5, 31, v4
	v_dual_mov_b32 v9, v67 :: v_dual_mov_b32 v10, v2
	s_delay_alu instid0(VALU_DEP_2) | instskip(NEXT) | instid1(VALU_DEP_1)
	v_lshlrev_b64 v[7:8], 3, v[4:5]
	v_add_co_u32 v7, vcc_lo, s30, v7
	s_delay_alu instid0(VALU_DEP_2)
	v_add_co_ci_u32_e32 v8, vcc_lo, s31, v8, vcc_lo
	global_store_b64 v[7:8], v[9:10], off
.LBB27_19:
	s_or_b32 exec_lo, exec_lo, s3
	v_mov_b32_e32 v2, 1.0
	s_and_not1_b32 vcc_lo, exec_lo, s2
	s_cbranch_vccnz .LBB27_21
; %bb.20:
	v_div_scale_f32 v0, null, v1, v1, 1.0
	s_delay_alu instid0(VALU_DEP_1) | instskip(SKIP_2) | instid1(VALU_DEP_1)
	v_rcp_f32_e32 v2, v0
	s_waitcnt_depctr 0xfff
	v_fma_f32 v5, -v0, v2, 1.0
	v_fmac_f32_e32 v2, v5, v2
	v_div_scale_f32 v5, vcc_lo, 1.0, v1, 1.0
	s_delay_alu instid0(VALU_DEP_1) | instskip(NEXT) | instid1(VALU_DEP_1)
	v_mul_f32_e32 v7, v5, v2
	v_fma_f32 v8, -v0, v7, v5
	s_delay_alu instid0(VALU_DEP_1) | instskip(NEXT) | instid1(VALU_DEP_1)
	v_fmac_f32_e32 v7, v8, v2
	v_fma_f32 v0, -v0, v7, v5
	s_delay_alu instid0(VALU_DEP_1) | instskip(NEXT) | instid1(VALU_DEP_1)
	v_div_fmas_f32 v0, v0, v2, v7
	v_div_fixup_f32 v2, v0, v1, 1.0
.LBB27_21:
	v_dual_mov_b32 v5, 0 :: v_dual_add_nc_u32 v0, s1, v4
	v_lshrrev_b32_e32 v1, 16, v88
	s_delay_alu instid0(VALU_DEP_2) | instskip(SKIP_1) | instid1(VALU_DEP_3)
	v_lshl_add_u32 v4, v0, 6, v6
	v_cvt_f32_f16_e32 v6, v88
	v_cvt_f32_f16_e32 v7, v1
	s_delay_alu instid0(VALU_DEP_3) | instskip(NEXT) | instid1(VALU_DEP_3)
	v_lshlrev_b64 v[4:5], 2, v[4:5]
	v_mul_f32_e32 v1, v2, v6
	s_delay_alu instid0(VALU_DEP_3) | instskip(NEXT) | instid1(VALU_DEP_3)
	v_mul_f32_e32 v2, v2, v7
	v_add_co_u32 v4, vcc_lo, s28, v4
	s_delay_alu instid0(VALU_DEP_4)
	v_add_co_ci_u32_e32 v5, vcc_lo, s29, v5, vcc_lo
	global_store_b64 v[4:5], v[1:2], off
	s_and_b32 exec_lo, exec_lo, s0
	s_cbranch_execz .LBB27_13
; %bb.22:
	v_ashrrev_i32_e32 v1, 31, v0
	v_mov_b32_e32 v2, v68
	s_delay_alu instid0(VALU_DEP_2) | instskip(NEXT) | instid1(VALU_DEP_1)
	v_lshlrev_b64 v[0:1], 3, v[0:1]
	v_add_co_u32 v0, vcc_lo, s30, v0
	s_delay_alu instid0(VALU_DEP_2)
	v_add_co_ci_u32_e32 v1, vcc_lo, s31, v1, vcc_lo
	global_store_b64 v[0:1], v[2:3], off
	s_nop 0
	s_sendmsg sendmsg(MSG_DEALLOC_VGPRS)
	s_endpgm
	.section	.rodata,"a",@progbits
	.p2align	6, 0x0
	.amdhsa_kernel _ZL15flash_attn_tileILi64ELi64ELi2ELi4ELb0EEvPKcS1_S1_S1_S1_PKiPfP15HIP_vector_typeIfLj2EEffffjfiS5_IjLj3EEiiiiiiiiiiiliiliiiiil
		.amdhsa_group_segment_fixed_size 21504
		.amdhsa_private_segment_fixed_size 0
		.amdhsa_kernarg_size 464
		.amdhsa_user_sgpr_count 13
		.amdhsa_user_sgpr_dispatch_ptr 0
		.amdhsa_user_sgpr_queue_ptr 0
		.amdhsa_user_sgpr_kernarg_segment_ptr 1
		.amdhsa_user_sgpr_dispatch_id 0
		.amdhsa_user_sgpr_private_segment_size 0
		.amdhsa_wavefront_size32 1
		.amdhsa_uses_dynamic_stack 0
		.amdhsa_enable_private_segment 0
		.amdhsa_system_sgpr_workgroup_id_x 1
		.amdhsa_system_sgpr_workgroup_id_y 1
		.amdhsa_system_sgpr_workgroup_id_z 1
		.amdhsa_system_sgpr_workgroup_info 0
		.amdhsa_system_vgpr_workitem_id 1
		.amdhsa_next_free_vgpr 237
		.amdhsa_next_free_sgpr 45
		.amdhsa_reserve_vcc 1
		.amdhsa_float_round_mode_32 0
		.amdhsa_float_round_mode_16_64 0
		.amdhsa_float_denorm_mode_32 3
		.amdhsa_float_denorm_mode_16_64 3
		.amdhsa_dx10_clamp 1
		.amdhsa_ieee_mode 1
		.amdhsa_fp16_overflow 0
		.amdhsa_workgroup_processor_mode 1
		.amdhsa_memory_ordered 1
		.amdhsa_forward_progress 0
		.amdhsa_shared_vgpr_count 0
		.amdhsa_exception_fp_ieee_invalid_op 0
		.amdhsa_exception_fp_denorm_src 0
		.amdhsa_exception_fp_ieee_div_zero 0
		.amdhsa_exception_fp_ieee_overflow 0
		.amdhsa_exception_fp_ieee_underflow 0
		.amdhsa_exception_fp_ieee_inexact 0
		.amdhsa_exception_int_div_zero 0
	.end_amdhsa_kernel
	.section	.text._ZL15flash_attn_tileILi64ELi64ELi2ELi4ELb0EEvPKcS1_S1_S1_S1_PKiPfP15HIP_vector_typeIfLj2EEffffjfiS5_IjLj3EEiiiiiiiiiiiliiliiiiil,"axG",@progbits,_ZL15flash_attn_tileILi64ELi64ELi2ELi4ELb0EEvPKcS1_S1_S1_S1_PKiPfP15HIP_vector_typeIfLj2EEffffjfiS5_IjLj3EEiiiiiiiiiiiliiliiiiil,comdat
.Lfunc_end27:
	.size	_ZL15flash_attn_tileILi64ELi64ELi2ELi4ELb0EEvPKcS1_S1_S1_S1_PKiPfP15HIP_vector_typeIfLj2EEffffjfiS5_IjLj3EEiiiiiiiiiiiliiliiiiil, .Lfunc_end27-_ZL15flash_attn_tileILi64ELi64ELi2ELi4ELb0EEvPKcS1_S1_S1_S1_PKiPfP15HIP_vector_typeIfLj2EEffffjfiS5_IjLj3EEiiiiiiiiiiiliiliiiiil
                                        ; -- End function
	.section	.AMDGPU.csdata,"",@progbits
; Kernel info:
; codeLenInByte = 15288
; NumSgprs: 47
; NumVgprs: 237
; ScratchSize: 0
; MemoryBound: 0
; FloatMode: 240
; IeeeMode: 1
; LDSByteSize: 21504 bytes/workgroup (compile time only)
; SGPRBlocks: 5
; VGPRBlocks: 29
; NumSGPRsForWavesPerEU: 47
; NumVGPRsForWavesPerEU: 237
; Occupancy: 6
; WaveLimiterHint : 1
; COMPUTE_PGM_RSRC2:SCRATCH_EN: 0
; COMPUTE_PGM_RSRC2:USER_SGPR: 13
; COMPUTE_PGM_RSRC2:TRAP_HANDLER: 0
; COMPUTE_PGM_RSRC2:TGID_X_EN: 1
; COMPUTE_PGM_RSRC2:TGID_Y_EN: 1
; COMPUTE_PGM_RSRC2:TGID_Z_EN: 1
; COMPUTE_PGM_RSRC2:TIDIG_COMP_CNT: 1
	.section	.text._ZL33flash_attn_stream_k_fixup_uniformILi64ELi2ELi4EEvPfPK15HIP_vector_typeIfLj2EEiiiiiiS1_IjLj3EES5_S5_,"axG",@progbits,_ZL33flash_attn_stream_k_fixup_uniformILi64ELi2ELi4EEvPfPK15HIP_vector_typeIfLj2EEiiiiiiS1_IjLj3EES5_S5_,comdat
	.globl	_ZL33flash_attn_stream_k_fixup_uniformILi64ELi2ELi4EEvPfPK15HIP_vector_typeIfLj2EEiiiiiiS1_IjLj3EES5_S5_ ; -- Begin function _ZL33flash_attn_stream_k_fixup_uniformILi64ELi2ELi4EEvPfPK15HIP_vector_typeIfLj2EEiiiiiiS1_IjLj3EES5_S5_
	.p2align	8
	.type	_ZL33flash_attn_stream_k_fixup_uniformILi64ELi2ELi4EEvPfPK15HIP_vector_typeIfLj2EEiiiiiiS1_IjLj3EES5_S5_,@function
_ZL33flash_attn_stream_k_fixup_uniformILi64ELi2ELi4EEvPfPK15HIP_vector_typeIfLj2EEiiiiiiS1_IjLj3EES5_S5_: ; @_ZL33flash_attn_stream_k_fixup_uniformILi64ELi2ELi4EEvPfPK15HIP_vector_typeIfLj2EEiiiiiiS1_IjLj3EES5_S5_
; %bb.0:
	s_clause 0x1
	s_load_b256 s[4:11], s[0:1], 0x1c
	s_load_b128 s[16:19], s[0:1], 0x3c
	s_waitcnt lgkmcnt(0)
	s_mul_hi_u32 s2, s7, s13
	s_delay_alu instid0(SALU_CYCLE_1) | instskip(NEXT) | instid1(SALU_CYCLE_1)
	s_add_i32 s2, s13, s2
	s_lshr_b32 s2, s2, s8
	s_delay_alu instid0(SALU_CYCLE_1) | instskip(SKIP_2) | instid1(SALU_CYCLE_1)
	s_mul_i32 s3, s2, s9
	s_load_b64 s[8:9], s[0:1], 0x10
	s_sub_i32 s7, s13, s3
	s_mul_hi_u32 s3, s7, s10
	s_delay_alu instid0(SALU_CYCLE_1) | instskip(NEXT) | instid1(SALU_CYCLE_1)
	s_add_i32 s3, s7, s3
	s_lshr_b32 s3, s3, s11
	s_delay_alu instid0(SALU_CYCLE_1) | instskip(NEXT) | instid1(SALU_CYCLE_1)
	s_mul_i32 s10, s3, s16
	s_sub_i32 s7, s7, s10
	s_delay_alu instid0(SALU_CYCLE_1) | instskip(NEXT) | instid1(SALU_CYCLE_1)
	s_mul_hi_u32 s10, s7, s17
	s_add_i32 s10, s7, s10
	s_delay_alu instid0(SALU_CYCLE_1) | instskip(NEXT) | instid1(SALU_CYCLE_1)
	s_lshr_b32 s10, s10, s18
	s_mul_i32 s11, s10, s19
	s_lshl_b32 s10, s10, 2
	s_sub_i32 s7, s7, s11
	s_delay_alu instid0(SALU_CYCLE_1) | instskip(NEXT) | instid1(SALU_CYCLE_1)
	s_lshl_b32 s11, s7, 1
	s_add_i32 s11, s11, s14
	s_waitcnt lgkmcnt(0)
	s_cmp_lt_i32 s11, s8
	s_cselect_b32 s11, -1, 0
	s_add_i32 s12, s10, s15
	s_delay_alu instid0(SALU_CYCLE_1) | instskip(SKIP_1) | instid1(SALU_CYCLE_1)
	s_cmp_lt_i32 s12, s5
	s_cselect_b32 s12, -1, 0
	s_and_b32 s11, s11, s12
	s_delay_alu instid0(SALU_CYCLE_1)
	s_and_not1_b32 vcc_lo, exec_lo, s11
	s_cbranch_vccnz .LBB28_6
; %bb.1:
	s_mul_i32 s2, s2, s8
	s_mul_i32 s5, s3, s5
	s_add_i32 s2, s2, s14
	s_mul_i32 s7, s9, s7
	s_mul_i32 s2, s2, s9
	s_lshl_b32 s7, s7, 7
	s_add_i32 s8, s2, s15
	s_load_b128 s[0:3], s[0:1], 0x0
	s_add_i32 s5, s8, s5
	s_lshl_b32 s9, s14, 2
	s_add_i32 s5, s5, s10
	s_delay_alu instid0(SALU_CYCLE_1) | instskip(NEXT) | instid1(SALU_CYCLE_1)
	s_lshl_b32 s5, s5, 6
	s_add_i32 s7, s7, s5
	s_mul_i32 s5, s13, s6
	v_or_b32_e32 v1, s7, v0
	s_add_i32 s10, s5, s6
	s_delay_alu instid0(VALU_DEP_1) | instskip(NEXT) | instid1(VALU_DEP_1)
	v_ashrrev_i32_e32 v2, 31, v1
	v_lshlrev_b64 v[1:2], 2, v[1:2]
	s_waitcnt lgkmcnt(0)
	s_delay_alu instid0(VALU_DEP_1) | instskip(NEXT) | instid1(VALU_DEP_2)
	v_add_co_u32 v1, vcc_lo, s0, v1
	v_add_co_ci_u32_e32 v2, vcc_lo, s1, v2, vcc_lo
	s_add_i32 s0, s9, s15
	s_lshl_b32 s1, s10, 3
	s_delay_alu instid0(SALU_CYCLE_1) | instskip(SKIP_2) | instid1(SALU_CYCLE_1)
	s_add_i32 s0, s0, s1
	global_load_b32 v5, v[1:2], off
	s_add_i32 s0, s0, -8
	s_ashr_i32 s1, s0, 31
	s_delay_alu instid0(SALU_CYCLE_1) | instskip(NEXT) | instid1(SALU_CYCLE_1)
	s_lshl_b64 s[0:1], s[0:1], 3
	s_add_u32 s0, s2, s0
	s_addc_u32 s1, s3, s1
	s_add_i32 s7, s10, -2
	s_load_b32 s11, s[0:1], 0x4
	s_cmp_lt_i32 s7, s5
	s_cbranch_scc1 .LBB28_4
; %bb.2:
	s_lshl_b32 s16, s4, 5
	s_load_b32 s12, s[0:1], 0x0
	s_ashr_i32 s17, s16, 31
	s_delay_alu instid0(SALU_CYCLE_1) | instskip(NEXT) | instid1(SALU_CYCLE_1)
	s_lshl_b64 s[0:1], s[16:17], 2
	s_add_u32 s7, s2, s0
	s_addc_u32 s8, s3, s1
	s_add_i32 s13, s13, 1
	s_lshl_b32 s0, s14, 8
	s_lshl_b32 s1, s15, 6
	s_mul_i32 s6, s6, s13
	s_add_i32 s0, s1, s0
	s_lshl_b32 s1, s6, 9
	s_delay_alu instid0(SALU_CYCLE_1)
	s_add_i32 s0, s0, s1
	s_lshl_b32 s1, s6, 3
	v_or_b32_e32 v0, s0, v0
	s_lshl_b32 s0, s4, 3
	s_add_i32 s1, s15, s1
	s_waitcnt lgkmcnt(0)
	v_mov_b32_e32 v6, s11
	s_add_i32 s0, s1, s0
	v_dual_mov_b32 v0, s12 :: v_dual_add_nc_u32 v3, 0xfffffc00, v0
	s_add_i32 s0, s0, s9
	s_add_i32 s4, s10, -1
	s_add_i32 s0, s0, -16
.LBB28_3:                               ; =>This Inner Loop Header: Depth=1
	s_delay_alu instid0(VALU_DEP_1) | instskip(SKIP_1) | instid1(SALU_CYCLE_1)
	v_ashrrev_i32_e32 v4, 31, v3
	s_ashr_i32 s1, s0, 31
	s_lshl_b64 s[10:11], s[0:1], 3
	s_delay_alu instid0(SALU_CYCLE_1) | instskip(NEXT) | instid1(VALU_DEP_1)
	s_add_u32 s10, s2, s10
	v_lshlrev_b64 v[7:8], 2, v[3:4]
	s_addc_u32 s11, s3, s11
	s_add_i32 s4, s4, -1
	s_add_i32 s0, s0, -8
	s_cmp_le_i32 s4, s5
	s_load_b64 s[10:11], s[10:11], 0x0
	v_add_co_u32 v7, vcc_lo, s7, v7
	v_add_co_ci_u32_e32 v8, vcc_lo, s8, v8, vcc_lo
	global_load_b32 v4, v[7:8], off
	v_max_f32_e32 v7, v0, v0
	s_waitcnt lgkmcnt(0)
	v_max_f32_e64 v8, s10, s10
	s_delay_alu instid0(VALU_DEP_1) | instskip(NEXT) | instid1(VALU_DEP_1)
	v_max_f32_e32 v7, v7, v8
	v_sub_f32_e32 v8, s10, v7
	s_delay_alu instid0(VALU_DEP_1) | instskip(NEXT) | instid1(VALU_DEP_1)
	v_dual_sub_f32 v0, v0, v7 :: v_dual_mul_f32 v9, 0x3fb8aa3b, v8
	v_fma_f32 v10, 0x3fb8aa3b, v8, -v9
	v_rndne_f32_e32 v11, v9
	s_delay_alu instid0(VALU_DEP_3) | instskip(NEXT) | instid1(VALU_DEP_2)
	v_mul_f32_e32 v12, 0x3fb8aa3b, v0
	v_dual_fmac_f32 v10, 0x32a5705f, v8 :: v_dual_sub_f32 v9, v9, v11
	v_cvt_i32_f32_e32 v11, v11
	s_delay_alu instid0(VALU_DEP_3) | instskip(SKIP_1) | instid1(VALU_DEP_4)
	v_fma_f32 v13, 0x3fb8aa3b, v0, -v12
	v_rndne_f32_e32 v14, v12
	v_add_f32_e32 v9, v9, v10
	v_cmp_ngt_f32_e32 vcc_lo, 0xc2ce8ed0, v8
	s_delay_alu instid0(VALU_DEP_3) | instskip(NEXT) | instid1(VALU_DEP_3)
	v_sub_f32_e32 v10, v12, v14
	v_exp_f32_e32 v9, v9
	s_waitcnt_depctr 0xfff
	v_ldexp_f32 v9, v9, v11
	v_cvt_i32_f32_e32 v11, v14
	s_delay_alu instid0(VALU_DEP_2) | instskip(SKIP_1) | instid1(VALU_DEP_2)
	v_cndmask_b32_e32 v9, 0, v9, vcc_lo
	v_cmp_nlt_f32_e32 vcc_lo, 0x42b17218, v8
	v_cndmask_b32_e32 v9, 0x7f800000, v9, vcc_lo
	v_cmp_ngt_f32_e32 vcc_lo, 0xc2ce8ed0, v0
	v_fmac_f32_e32 v13, 0x32a5705f, v0
	s_delay_alu instid0(VALU_DEP_1) | instskip(NEXT) | instid1(VALU_DEP_1)
	v_add_f32_e32 v10, v10, v13
	v_exp_f32_e32 v10, v10
	s_waitcnt_depctr 0xfff
	v_ldexp_f32 v10, v10, v11
	s_delay_alu instid0(VALU_DEP_1)
	v_dual_mov_b32 v11, v6 :: v_dual_cndmask_b32 v10, 0, v10
	v_cmp_le_f32_e32 vcc_lo, 0xc1a00000, v8
	s_waitcnt vmcnt(1)
	v_dual_cndmask_b32 v8, 0, v9 :: v_dual_mov_b32 v9, v5
	v_cmp_nlt_f32_e32 vcc_lo, 0x42b17218, v0
	v_cndmask_b32_e32 v5, 0x7f800000, v10, vcc_lo
	s_delay_alu instid0(VALU_DEP_3) | instskip(SKIP_2) | instid1(VALU_DEP_3)
	v_mul_f32_e32 v10, s11, v8
	v_cmp_le_f32_e32 vcc_lo, 0xc1a00000, v0
	v_mov_b32_e32 v0, v7
	v_mov_b32_e32 v6, v10
	s_waitcnt vmcnt(0)
	v_dual_cndmask_b32 v12, 0, v5 :: v_dual_mul_f32 v5, v4, v8
	s_delay_alu instid0(VALU_DEP_1) | instskip(NEXT) | instid1(VALU_DEP_2)
	v_dual_fmac_f32 v6, v11, v12 :: v_dual_add_nc_u32 v3, 0xfffffe00, v3
	v_fmac_f32_e32 v5, v9, v12
	s_cbranch_scc0 .LBB28_3
	s_branch .LBB28_5
.LBB28_4:
	s_waitcnt lgkmcnt(0)
	v_mov_b32_e32 v6, s11
.LBB28_5:
	s_waitcnt vmcnt(0)
	s_delay_alu instid0(VALU_DEP_1) | instskip(NEXT) | instid1(VALU_DEP_1)
	v_div_scale_f32 v0, null, v6, v6, v5
	v_rcp_f32_e32 v3, v0
	s_waitcnt_depctr 0xfff
	v_fma_f32 v4, -v0, v3, 1.0
	s_delay_alu instid0(VALU_DEP_1) | instskip(SKIP_1) | instid1(VALU_DEP_1)
	v_fmac_f32_e32 v3, v4, v3
	v_div_scale_f32 v4, vcc_lo, v5, v6, v5
	v_mul_f32_e32 v7, v4, v3
	s_delay_alu instid0(VALU_DEP_1) | instskip(NEXT) | instid1(VALU_DEP_1)
	v_fma_f32 v8, -v0, v7, v4
	v_fmac_f32_e32 v7, v8, v3
	s_delay_alu instid0(VALU_DEP_1) | instskip(NEXT) | instid1(VALU_DEP_1)
	v_fma_f32 v0, -v0, v7, v4
	v_div_fmas_f32 v0, v0, v3, v7
	s_delay_alu instid0(VALU_DEP_1)
	v_div_fixup_f32 v0, v0, v6, v5
	global_store_b32 v[1:2], v0, off
.LBB28_6:
	s_nop 0
	s_sendmsg sendmsg(MSG_DEALLOC_VGPRS)
	s_endpgm
	.section	.rodata,"a",@progbits
	.p2align	6, 0x0
	.amdhsa_kernel _ZL33flash_attn_stream_k_fixup_uniformILi64ELi2ELi4EEvPfPK15HIP_vector_typeIfLj2EEiiiiiiS1_IjLj3EES5_S5_
		.amdhsa_group_segment_fixed_size 0
		.amdhsa_private_segment_fixed_size 0
		.amdhsa_kernarg_size 76
		.amdhsa_user_sgpr_count 13
		.amdhsa_user_sgpr_dispatch_ptr 0
		.amdhsa_user_sgpr_queue_ptr 0
		.amdhsa_user_sgpr_kernarg_segment_ptr 1
		.amdhsa_user_sgpr_dispatch_id 0
		.amdhsa_user_sgpr_private_segment_size 0
		.amdhsa_wavefront_size32 1
		.amdhsa_uses_dynamic_stack 0
		.amdhsa_enable_private_segment 0
		.amdhsa_system_sgpr_workgroup_id_x 1
		.amdhsa_system_sgpr_workgroup_id_y 1
		.amdhsa_system_sgpr_workgroup_id_z 1
		.amdhsa_system_sgpr_workgroup_info 0
		.amdhsa_system_vgpr_workitem_id 0
		.amdhsa_next_free_vgpr 15
		.amdhsa_next_free_sgpr 20
		.amdhsa_reserve_vcc 1
		.amdhsa_float_round_mode_32 0
		.amdhsa_float_round_mode_16_64 0
		.amdhsa_float_denorm_mode_32 3
		.amdhsa_float_denorm_mode_16_64 3
		.amdhsa_dx10_clamp 1
		.amdhsa_ieee_mode 1
		.amdhsa_fp16_overflow 0
		.amdhsa_workgroup_processor_mode 1
		.amdhsa_memory_ordered 1
		.amdhsa_forward_progress 0
		.amdhsa_shared_vgpr_count 0
		.amdhsa_exception_fp_ieee_invalid_op 0
		.amdhsa_exception_fp_denorm_src 0
		.amdhsa_exception_fp_ieee_div_zero 0
		.amdhsa_exception_fp_ieee_overflow 0
		.amdhsa_exception_fp_ieee_underflow 0
		.amdhsa_exception_fp_ieee_inexact 0
		.amdhsa_exception_int_div_zero 0
	.end_amdhsa_kernel
	.section	.text._ZL33flash_attn_stream_k_fixup_uniformILi64ELi2ELi4EEvPfPK15HIP_vector_typeIfLj2EEiiiiiiS1_IjLj3EES5_S5_,"axG",@progbits,_ZL33flash_attn_stream_k_fixup_uniformILi64ELi2ELi4EEvPfPK15HIP_vector_typeIfLj2EEiiiiiiS1_IjLj3EES5_S5_,comdat
.Lfunc_end28:
	.size	_ZL33flash_attn_stream_k_fixup_uniformILi64ELi2ELi4EEvPfPK15HIP_vector_typeIfLj2EEiiiiiiS1_IjLj3EES5_S5_, .Lfunc_end28-_ZL33flash_attn_stream_k_fixup_uniformILi64ELi2ELi4EEvPfPK15HIP_vector_typeIfLj2EEiiiiiiS1_IjLj3EES5_S5_
                                        ; -- End function
	.section	.AMDGPU.csdata,"",@progbits
; Kernel info:
; codeLenInByte = 996
; NumSgprs: 22
; NumVgprs: 15
; ScratchSize: 0
; MemoryBound: 0
; FloatMode: 240
; IeeeMode: 1
; LDSByteSize: 0 bytes/workgroup (compile time only)
; SGPRBlocks: 2
; VGPRBlocks: 1
; NumSGPRsForWavesPerEU: 22
; NumVGPRsForWavesPerEU: 15
; Occupancy: 16
; WaveLimiterHint : 0
; COMPUTE_PGM_RSRC2:SCRATCH_EN: 0
; COMPUTE_PGM_RSRC2:USER_SGPR: 13
; COMPUTE_PGM_RSRC2:TRAP_HANDLER: 0
; COMPUTE_PGM_RSRC2:TGID_X_EN: 1
; COMPUTE_PGM_RSRC2:TGID_Y_EN: 1
; COMPUTE_PGM_RSRC2:TGID_Z_EN: 1
; COMPUTE_PGM_RSRC2:TIDIG_COMP_CNT: 0
	.section	.text._ZL33flash_attn_stream_k_fixup_generalILi64ELi2ELi4EEvPfPK15HIP_vector_typeIfLj2EEiiiiS1_IjLj3EES5_S5_S5_,"axG",@progbits,_ZL33flash_attn_stream_k_fixup_generalILi64ELi2ELi4EEvPfPK15HIP_vector_typeIfLj2EEiiiiS1_IjLj3EES5_S5_S5_,comdat
	.globl	_ZL33flash_attn_stream_k_fixup_generalILi64ELi2ELi4EEvPfPK15HIP_vector_typeIfLj2EEiiiiS1_IjLj3EES5_S5_S5_ ; -- Begin function _ZL33flash_attn_stream_k_fixup_generalILi64ELi2ELi4EEvPfPK15HIP_vector_typeIfLj2EEiiiiS1_IjLj3EES5_S5_S5_
	.p2align	8
	.type	_ZL33flash_attn_stream_k_fixup_generalILi64ELi2ELi4EEvPfPK15HIP_vector_typeIfLj2EEiiiiS1_IjLj3EES5_S5_S5_,@function
_ZL33flash_attn_stream_k_fixup_generalILi64ELi2ELi4EEvPfPK15HIP_vector_typeIfLj2EEiiiiS1_IjLj3EES5_S5_S5_: ; @_ZL33flash_attn_stream_k_fixup_generalILi64ELi2ELi4EEvPfPK15HIP_vector_typeIfLj2EEiiiiS1_IjLj3EES5_S5_S5_
; %bb.0:
	s_clause 0x1
	s_load_b128 s[4:7], s[0:1], 0x10
	s_load_b32 s20, s[0:1], 0x50
	s_mov_b32 s2, 0
	s_waitcnt lgkmcnt(0)
	s_mul_hi_i32 s3, s7, s13
	s_mul_i32 s12, s7, s13
	s_cmp_lg_u64 s[2:3], 0
	s_cbranch_scc0 .LBB29_21
; %bb.1:
	v_cvt_f32_ubyte0_e32 v1, 0
	v_cvt_f32_u32_e32 v2, s20
	s_sub_u32 s10, 0, s20
	s_subb_u32 s11, 0, 0
	s_delay_alu instid0(VALU_DEP_1) | instskip(NEXT) | instid1(VALU_DEP_1)
	v_fmamk_f32 v1, v1, 0x4f800000, v2
	v_rcp_f32_e32 v1, v1
	s_waitcnt_depctr 0xfff
	v_mul_f32_e32 v1, 0x5f7ffffc, v1
	s_delay_alu instid0(VALU_DEP_1) | instskip(NEXT) | instid1(VALU_DEP_1)
	v_mul_f32_e32 v2, 0x2f800000, v1
	v_trunc_f32_e32 v2, v2
	s_delay_alu instid0(VALU_DEP_1) | instskip(SKIP_1) | instid1(VALU_DEP_2)
	v_fmamk_f32 v1, v2, 0xcf800000, v1
	v_cvt_u32_f32_e32 v2, v2
	v_cvt_u32_f32_e32 v1, v1
	s_delay_alu instid0(VALU_DEP_2) | instskip(NEXT) | instid1(VALU_DEP_2)
	v_readfirstlane_b32 s8, v2
	v_readfirstlane_b32 s9, v1
	s_delay_alu instid0(VALU_DEP_2) | instskip(NEXT) | instid1(VALU_DEP_1)
	s_mul_i32 s16, s10, s8
	s_mul_hi_u32 s18, s10, s9
	s_mul_i32 s17, s11, s9
	s_add_i32 s16, s18, s16
	s_mul_i32 s19, s10, s9
	s_add_i32 s16, s16, s17
	s_mul_hi_u32 s18, s9, s19
	s_mul_hi_u32 s21, s8, s19
	s_mul_i32 s17, s8, s19
	s_mul_hi_u32 s19, s9, s16
	s_mul_i32 s9, s9, s16
	s_mul_hi_u32 s22, s8, s16
	s_add_u32 s9, s18, s9
	s_addc_u32 s18, 0, s19
	s_add_u32 s9, s9, s17
	s_mul_i32 s16, s8, s16
	s_addc_u32 s9, s18, s21
	s_addc_u32 s17, s22, 0
	s_add_u32 s9, s9, s16
	s_addc_u32 s16, 0, s17
	v_add_co_u32 v1, s9, v1, s9
	s_delay_alu instid0(VALU_DEP_1) | instskip(SKIP_1) | instid1(VALU_DEP_1)
	s_cmp_lg_u32 s9, 0
	s_addc_u32 s8, s8, s16
	v_readfirstlane_b32 s9, v1
	s_mul_i32 s16, s10, s8
	s_delay_alu instid0(VALU_DEP_1)
	s_mul_hi_u32 s17, s10, s9
	s_mul_i32 s11, s11, s9
	s_add_i32 s16, s17, s16
	s_mul_i32 s10, s10, s9
	s_add_i32 s16, s16, s11
	s_mul_hi_u32 s17, s8, s10
	s_mul_i32 s18, s8, s10
	s_mul_hi_u32 s10, s9, s10
	s_mul_hi_u32 s19, s9, s16
	s_mul_i32 s9, s9, s16
	s_mul_hi_u32 s11, s8, s16
	s_add_u32 s9, s10, s9
	s_addc_u32 s10, 0, s19
	s_add_u32 s9, s9, s18
	s_mul_i32 s16, s8, s16
	s_addc_u32 s9, s10, s17
	s_addc_u32 s10, s11, 0
	s_add_u32 s9, s9, s16
	s_addc_u32 s10, 0, s10
	v_add_co_u32 v1, s9, v1, s9
	s_delay_alu instid0(VALU_DEP_1) | instskip(SKIP_2) | instid1(SALU_CYCLE_1)
	s_cmp_lg_u32 s9, 0
	s_addc_u32 s16, s8, s10
	s_ashr_i32 s8, s3, 31
	s_add_u32 s10, s12, s8
	s_addc_u32 s11, s3, s8
	v_readfirstlane_b32 s3, v1
	s_mov_b32 s9, s8
	s_delay_alu instid0(SALU_CYCLE_1) | instskip(NEXT) | instid1(SALU_CYCLE_1)
	s_xor_b64 s[10:11], s[10:11], s[8:9]
	s_mul_i32 s18, s10, s16
	s_delay_alu instid0(VALU_DEP_1)
	s_mul_hi_u32 s19, s10, s3
	s_mul_hi_u32 s17, s10, s16
	;; [unrolled: 1-line block ×3, first 2 shown]
	s_mul_i32 s3, s11, s3
	s_add_u32 s18, s19, s18
	s_addc_u32 s17, 0, s17
	s_mul_hi_u32 s21, s11, s16
	s_add_u32 s3, s18, s3
	s_mul_i32 s16, s11, s16
	s_addc_u32 s3, s17, s22
	s_addc_u32 s17, s21, 0
	s_add_u32 s3, s3, s16
	s_addc_u32 s16, 0, s17
	s_mul_i32 s18, s20, s3
	s_add_u32 s17, s3, 1
	v_sub_co_u32 v1, s10, s10, s18
	s_mul_hi_u32 s18, s20, s3
	s_addc_u32 s19, s16, 0
	s_mul_i32 s21, s20, s16
	s_delay_alu instid0(VALU_DEP_1)
	v_sub_co_u32 v2, s22, v1, s20
	s_add_u32 s23, s3, 2
	s_addc_u32 s24, s16, 0
	s_add_i32 s18, s18, s21
	s_cmp_lg_u32 s10, 0
	v_readfirstlane_b32 s10, v2
	s_subb_u32 s11, s11, s18
	s_cmp_lg_u32 s22, 0
	s_subb_u32 s18, s11, 0
	s_delay_alu instid0(VALU_DEP_1) | instskip(SKIP_4) | instid1(SALU_CYCLE_1)
	s_cmp_ge_u32 s10, s20
	s_cselect_b32 s10, -1, 0
	s_cmp_eq_u32 s18, 0
	v_readfirstlane_b32 s18, v1
	s_cselect_b32 s10, s10, -1
	s_cmp_lg_u32 s10, 0
	s_cselect_b32 s10, s23, s17
	s_cselect_b32 s17, s24, s19
	s_cmp_ge_u32 s18, s20
	s_cselect_b32 s18, -1, 0
	s_cmp_eq_u32 s11, 0
	s_cselect_b32 s11, s18, -1
	s_delay_alu instid0(SALU_CYCLE_1) | instskip(SKIP_2) | instid1(SALU_CYCLE_1)
	s_cmp_lg_u32 s11, 0
	s_cselect_b32 s11, s17, s16
	s_cselect_b32 s10, s10, s3
	s_xor_b64 s[10:11], s[10:11], s[8:9]
	s_delay_alu instid0(SALU_CYCLE_1)
	s_sub_u32 s16, s10, s8
	s_load_b128 s[8:11], s[0:1], 0x44
	s_and_not1_b32 vcc_lo, exec_lo, s2
	s_cbranch_vccnz .LBB29_3
.LBB29_2:
	v_cvt_f32_u32_e32 v1, s20
	s_sub_i32 s3, 0, s20
	s_delay_alu instid0(VALU_DEP_1) | instskip(SKIP_2) | instid1(VALU_DEP_1)
	v_rcp_iflag_f32_e32 v1, v1
	s_waitcnt_depctr 0xfff
	v_mul_f32_e32 v1, 0x4f7ffffe, v1
	v_cvt_u32_f32_e32 v1, v1
	s_delay_alu instid0(VALU_DEP_1) | instskip(NEXT) | instid1(VALU_DEP_1)
	v_readfirstlane_b32 s2, v1
	s_mul_i32 s3, s3, s2
	s_delay_alu instid0(SALU_CYCLE_1) | instskip(NEXT) | instid1(SALU_CYCLE_1)
	s_mul_hi_u32 s3, s2, s3
	s_add_i32 s2, s2, s3
	s_delay_alu instid0(SALU_CYCLE_1) | instskip(NEXT) | instid1(SALU_CYCLE_1)
	s_mul_hi_u32 s2, s12, s2
	s_mul_i32 s3, s2, s20
	s_waitcnt lgkmcnt(0)
	s_add_i32 s11, s2, 1
	s_sub_i32 s3, s12, s3
	s_delay_alu instid0(SALU_CYCLE_1)
	s_sub_i32 s12, s3, s20
	s_cmp_ge_u32 s3, s20
	s_cselect_b32 s2, s11, s2
	s_cselect_b32 s3, s12, s3
	s_add_i32 s11, s2, 1
	s_cmp_ge_u32 s3, s20
	s_cselect_b32 s16, s11, s2
.LBB29_3:
	s_waitcnt lgkmcnt(0)
	s_add_i32 s11, s13, 1
	s_mov_b32 s2, 0
	s_mul_hi_i32 s3, s7, s11
	s_mul_i32 s11, s7, s11
	s_cmp_lg_u64 s[2:3], 0
	s_cbranch_scc0 .LBB29_22
; %bb.4:
	v_cvt_f32_ubyte0_e32 v1, 0
	v_cvt_f32_u32_e32 v2, s20
	s_sub_u32 s18, 0, s20
	s_subb_u32 s19, 0, 0
	s_delay_alu instid0(VALU_DEP_1) | instskip(NEXT) | instid1(VALU_DEP_1)
	v_fmamk_f32 v1, v1, 0x4f800000, v2
	v_rcp_f32_e32 v1, v1
	s_waitcnt_depctr 0xfff
	v_mul_f32_e32 v1, 0x5f7ffffc, v1
	s_delay_alu instid0(VALU_DEP_1) | instskip(NEXT) | instid1(VALU_DEP_1)
	v_mul_f32_e32 v2, 0x2f800000, v1
	v_trunc_f32_e32 v2, v2
	s_delay_alu instid0(VALU_DEP_1) | instskip(SKIP_1) | instid1(VALU_DEP_2)
	v_fmamk_f32 v1, v2, 0xcf800000, v1
	v_cvt_u32_f32_e32 v2, v2
	v_cvt_u32_f32_e32 v1, v1
	s_delay_alu instid0(VALU_DEP_2) | instskip(NEXT) | instid1(VALU_DEP_2)
	v_readfirstlane_b32 s12, v2
	v_readfirstlane_b32 s17, v1
	s_delay_alu instid0(VALU_DEP_2) | instskip(NEXT) | instid1(VALU_DEP_1)
	s_mul_i32 s21, s18, s12
	s_mul_hi_u32 s23, s18, s17
	s_mul_i32 s22, s19, s17
	s_add_i32 s21, s23, s21
	s_mul_i32 s24, s18, s17
	s_add_i32 s21, s21, s22
	s_mul_hi_u32 s23, s17, s24
	s_mul_hi_u32 s25, s12, s24
	s_mul_i32 s22, s12, s24
	s_mul_hi_u32 s24, s17, s21
	s_mul_i32 s17, s17, s21
	s_mul_hi_u32 s26, s12, s21
	s_add_u32 s17, s23, s17
	s_addc_u32 s23, 0, s24
	s_add_u32 s17, s17, s22
	s_mul_i32 s21, s12, s21
	s_addc_u32 s17, s23, s25
	s_addc_u32 s22, s26, 0
	s_add_u32 s17, s17, s21
	s_addc_u32 s21, 0, s22
	v_add_co_u32 v1, s17, v1, s17
	s_delay_alu instid0(VALU_DEP_1) | instskip(SKIP_1) | instid1(VALU_DEP_1)
	s_cmp_lg_u32 s17, 0
	s_addc_u32 s12, s12, s21
	v_readfirstlane_b32 s17, v1
	s_mul_i32 s21, s18, s12
	s_delay_alu instid0(VALU_DEP_1)
	s_mul_hi_u32 s22, s18, s17
	s_mul_i32 s19, s19, s17
	s_add_i32 s21, s22, s21
	s_mul_i32 s18, s18, s17
	s_add_i32 s21, s21, s19
	s_mul_hi_u32 s22, s12, s18
	s_mul_i32 s23, s12, s18
	s_mul_hi_u32 s18, s17, s18
	s_mul_hi_u32 s24, s17, s21
	s_mul_i32 s17, s17, s21
	s_mul_hi_u32 s19, s12, s21
	s_add_u32 s17, s18, s17
	s_addc_u32 s18, 0, s24
	s_add_u32 s17, s17, s23
	s_mul_i32 s21, s12, s21
	s_addc_u32 s17, s18, s22
	s_addc_u32 s18, s19, 0
	s_add_u32 s17, s17, s21
	s_addc_u32 s18, 0, s18
	v_add_co_u32 v1, s17, v1, s17
	s_delay_alu instid0(VALU_DEP_1) | instskip(SKIP_2) | instid1(SALU_CYCLE_1)
	s_cmp_lg_u32 s17, 0
	s_addc_u32 s12, s12, s18
	s_ashr_i32 s18, s3, 31
	s_add_u32 s22, s11, s18
	s_addc_u32 s23, s3, s18
	v_readfirstlane_b32 s3, v1
	s_mov_b32 s19, s18
	s_delay_alu instid0(SALU_CYCLE_1) | instskip(NEXT) | instid1(SALU_CYCLE_1)
	s_xor_b64 s[22:23], s[22:23], s[18:19]
	s_mul_i32 s21, s22, s12
	s_delay_alu instid0(VALU_DEP_1)
	s_mul_hi_u32 s24, s22, s3
	s_mul_hi_u32 s17, s22, s12
	;; [unrolled: 1-line block ×3, first 2 shown]
	s_mul_i32 s3, s23, s3
	s_add_u32 s21, s24, s21
	s_addc_u32 s17, 0, s17
	s_mul_hi_u32 s25, s23, s12
	s_add_u32 s3, s21, s3
	s_mul_i32 s12, s23, s12
	s_addc_u32 s3, s17, s26
	s_addc_u32 s17, s25, 0
	s_add_u32 s3, s3, s12
	s_addc_u32 s12, 0, s17
	s_mul_i32 s21, s20, s3
	s_add_u32 s17, s3, 1
	v_sub_co_u32 v1, s21, s22, s21
	s_mul_hi_u32 s22, s20, s3
	s_addc_u32 s24, s12, 0
	s_mul_i32 s25, s20, s12
	s_delay_alu instid0(VALU_DEP_1)
	v_sub_co_u32 v2, s26, v1, s20
	s_add_u32 s27, s3, 2
	s_addc_u32 s28, s12, 0
	s_add_i32 s22, s22, s25
	s_cmp_lg_u32 s21, 0
	v_readfirstlane_b32 s21, v2
	s_subb_u32 s22, s23, s22
	s_cmp_lg_u32 s26, 0
	s_subb_u32 s23, s22, 0
	s_delay_alu instid0(VALU_DEP_1) | instskip(SKIP_4) | instid1(SALU_CYCLE_1)
	s_cmp_ge_u32 s21, s20
	s_cselect_b32 s21, -1, 0
	s_cmp_eq_u32 s23, 0
	v_readfirstlane_b32 s23, v1
	s_cselect_b32 s21, s21, -1
	s_cmp_lg_u32 s21, 0
	s_cselect_b32 s17, s27, s17
	s_cselect_b32 s21, s28, s24
	s_cmp_ge_u32 s23, s20
	s_cselect_b32 s23, -1, 0
	s_cmp_eq_u32 s22, 0
	s_cselect_b32 s22, s23, -1
	s_delay_alu instid0(SALU_CYCLE_1) | instskip(SKIP_2) | instid1(SALU_CYCLE_1)
	s_cmp_lg_u32 s22, 0
	s_cselect_b32 s23, s21, s12
	s_cselect_b32 s22, s17, s3
	s_xor_b64 s[22:23], s[22:23], s[18:19]
	s_delay_alu instid0(SALU_CYCLE_1)
	s_sub_u32 s18, s22, s18
	s_and_not1_b32 vcc_lo, exec_lo, s2
	s_cbranch_vccnz .LBB29_6
.LBB29_5:
	v_cvt_f32_u32_e32 v1, s20
	s_sub_i32 s3, 0, s20
	s_delay_alu instid0(VALU_DEP_1) | instskip(SKIP_2) | instid1(VALU_DEP_1)
	v_rcp_iflag_f32_e32 v1, v1
	s_waitcnt_depctr 0xfff
	v_mul_f32_e32 v1, 0x4f7ffffe, v1
	v_cvt_u32_f32_e32 v1, v1
	s_delay_alu instid0(VALU_DEP_1) | instskip(NEXT) | instid1(VALU_DEP_1)
	v_readfirstlane_b32 s2, v1
	s_mul_i32 s3, s3, s2
	s_delay_alu instid0(SALU_CYCLE_1) | instskip(NEXT) | instid1(SALU_CYCLE_1)
	s_mul_hi_u32 s3, s2, s3
	s_add_i32 s2, s2, s3
	s_delay_alu instid0(SALU_CYCLE_1) | instskip(NEXT) | instid1(SALU_CYCLE_1)
	s_mul_hi_u32 s2, s11, s2
	s_mul_i32 s3, s2, s20
	s_delay_alu instid0(SALU_CYCLE_1)
	s_sub_i32 s3, s11, s3
	s_add_i32 s11, s2, 1
	s_sub_i32 s12, s3, s20
	s_cmp_ge_u32 s3, s20
	s_cselect_b32 s2, s11, s2
	s_cselect_b32 s3, s12, s3
	s_add_i32 s11, s2, 1
	s_cmp_ge_u32 s3, s20
	s_cselect_b32 s18, s11, s2
.LBB29_6:
	s_delay_alu instid0(SALU_CYCLE_1) | instskip(SKIP_3) | instid1(SALU_CYCLE_1)
	s_cmp_eq_u32 s16, s18
	s_mul_hi_u32 s2, s16, s8
	s_cselect_b32 s3, -1, 0
	s_add_i32 s2, s2, s16
	s_lshr_b32 s11, s2, s9
	s_delay_alu instid0(SALU_CYCLE_1) | instskip(NEXT) | instid1(SALU_CYCLE_1)
	s_mul_i32 s2, s11, s10
	s_cmp_eq_u32 s2, s16
	s_mul_hi_u32 s2, s18, s8
	s_cselect_b32 s12, -1, 0
	s_add_i32 s2, s2, s18
	s_delay_alu instid0(SALU_CYCLE_1) | instskip(NEXT) | instid1(SALU_CYCLE_1)
	s_lshr_b32 s2, s2, s9
	s_cmp_eq_u32 s11, s2
	s_mul_i32 s2, s2, s10
	s_cselect_b32 s17, -1, 0
	s_cmp_lg_u32 s2, s18
	s_cselect_b32 s2, -1, 0
	s_or_b32 s3, s3, s12
	s_and_b32 s2, s17, s2
	s_delay_alu instid0(SALU_CYCLE_1) | instskip(NEXT) | instid1(SALU_CYCLE_1)
	s_or_b32 s2, s3, s2
	s_and_b32 vcc_lo, exec_lo, s2
	s_cbranch_vccnz .LBB29_24
; %bb.7:
	s_load_b256 s[24:31], s[0:1], 0x20
	s_waitcnt lgkmcnt(0)
	s_mul_hi_u32 s2, s16, s24
	s_delay_alu instid0(SALU_CYCLE_1) | instskip(NEXT) | instid1(SALU_CYCLE_1)
	s_add_i32 s2, s2, s16
	s_lshr_b32 s17, s2, s25
	s_load_b32 s2, s[0:1], 0x40
	s_mul_i32 s3, s17, s26
	s_delay_alu instid0(SALU_CYCLE_1) | instskip(NEXT) | instid1(SALU_CYCLE_1)
	s_sub_i32 s3, s16, s3
	s_mul_hi_u32 s12, s3, s27
	s_delay_alu instid0(SALU_CYCLE_1) | instskip(NEXT) | instid1(SALU_CYCLE_1)
	s_add_i32 s12, s3, s12
	s_lshr_b32 s21, s12, s28
	s_delay_alu instid0(SALU_CYCLE_1) | instskip(NEXT) | instid1(SALU_CYCLE_1)
	s_mul_i32 s12, s21, s29
	s_sub_i32 s3, s3, s12
	s_delay_alu instid0(SALU_CYCLE_1) | instskip(NEXT) | instid1(SALU_CYCLE_1)
	s_mul_hi_u32 s12, s3, s30
	s_add_i32 s12, s3, s12
	s_delay_alu instid0(SALU_CYCLE_1)
	s_lshr_b32 s12, s12, s31
	s_waitcnt lgkmcnt(0)
	s_mul_i32 s2, s12, s2
	s_lshl_b32 s23, s12, 2
	s_sub_i32 s2, s3, s2
	s_mov_b32 s12, 0
	s_mul_hi_u32 s3, s2, s8
	s_delay_alu instid0(SALU_CYCLE_1) | instskip(NEXT) | instid1(SALU_CYCLE_1)
	s_add_i32 s2, s2, s3
	s_lshr_b32 s22, s2, s9
	s_delay_alu instid0(SALU_CYCLE_1) | instskip(NEXT) | instid1(SALU_CYCLE_1)
	s_lshl_b32 s2, s22, 1
	s_add_i32 s2, s2, s14
	s_delay_alu instid0(SALU_CYCLE_1) | instskip(SKIP_2) | instid1(SALU_CYCLE_1)
	s_cmp_lt_i32 s2, s4
	s_cselect_b32 s2, -1, 0
	s_add_i32 s3, s23, s15
	s_cmp_lt_i32 s3, s6
	s_cselect_b32 s3, -1, 0
	s_delay_alu instid0(SALU_CYCLE_1) | instskip(NEXT) | instid1(SALU_CYCLE_1)
	s_and_b32 s2, s2, s3
	s_and_not1_b32 vcc_lo, exec_lo, s2
	s_cbranch_vccnz .LBB29_24
; %bb.8:
	s_load_b128 s[0:3], s[0:1], 0x0
	s_lshl_b32 s18, s20, 5
	s_mov_b32 s19, s12
	s_lshl_b32 s24, s14, 2
	s_lshl_b64 s[18:19], s[18:19], 2
	s_mul_i32 s4, s17, s4
	s_add_i32 s17, s24, s15
	s_mul_i32 s21, s21, s6
	v_cvt_f32_ubyte0_e32 v4, 0
	v_cvt_f32_u32_e32 v5, s20
	s_waitcnt lgkmcnt(0)
	s_add_u32 s18, s2, s18
	s_addc_u32 s19, s3, s19
	s_add_i32 s4, s4, s14
	s_delay_alu instid0(SALU_CYCLE_1) | instskip(SKIP_4) | instid1(SALU_CYCLE_1)
	s_mul_i32 s4, s4, s5
	s_mul_i32 s5, s5, s22
	s_add_i32 s4, s4, s15
	s_lshl_b32 s5, s5, 7
	s_add_i32 s4, s4, s21
	s_add_i32 s4, s4, s23
	s_delay_alu instid0(SALU_CYCLE_1) | instskip(NEXT) | instid1(SALU_CYCLE_1)
	s_lshl_b32 s4, s4, 6
	s_add_i32 s5, s5, s4
	s_delay_alu instid0(SALU_CYCLE_1) | instskip(SKIP_1) | instid1(VALU_DEP_2)
	v_or_b32_e32 v1, s5, v0
	v_lshl_or_b32 v0, s17, 6, v0
	v_ashrrev_i32_e32 v2, 31, v1
	s_delay_alu instid0(VALU_DEP_1) | instskip(NEXT) | instid1(VALU_DEP_1)
	v_lshlrev_b64 v[1:2], 2, v[1:2]
	v_add_co_u32 v1, vcc_lo, s0, v1
	s_delay_alu instid0(VALU_DEP_2) | instskip(SKIP_1) | instid1(SALU_CYCLE_1)
	v_add_co_ci_u32_e32 v2, vcc_lo, s1, v2, vcc_lo
	s_lshl_b32 s0, s13, 3
	s_add_i32 s0, s17, s0
	global_load_b32 v3, v[1:2], off
	s_ashr_i32 s1, s0, 31
	s_delay_alu instid0(SALU_CYCLE_1) | instskip(NEXT) | instid1(SALU_CYCLE_1)
	s_lshl_b64 s[0:1], s[0:1], 3
	s_add_u32 s0, s2, s0
	s_addc_u32 s1, s3, s1
	s_add_i32 s14, s13, -1
	s_load_b64 s[0:1], s[0:1], 0x0
	v_fmac_f32_e32 v5, 0x4f800000, v4
	s_sub_i32 s6, 0, s20
	s_waitcnt lgkmcnt(0)
	v_mov_b32_e32 v8, s0
	s_delay_alu instid0(VALU_DEP_2) | instskip(SKIP_2) | instid1(VALU_DEP_2)
	v_rcp_f32_e32 v4, v5
	v_cvt_f32_u32_e32 v5, s20
	v_mov_b32_e32 v7, s1
	v_rcp_iflag_f32_e32 v5, v5
	s_waitcnt_depctr 0xfff
	v_mul_f32_e32 v4, 0x5f7ffffc, v4
	s_delay_alu instid0(VALU_DEP_1) | instskip(SKIP_1) | instid1(VALU_DEP_2)
	v_mul_f32_e32 v6, 0x2f800000, v4
	v_mul_f32_e32 v9, 0x4f7ffffe, v5
	v_trunc_f32_e32 v6, v6
	s_delay_alu instid0(VALU_DEP_1) | instskip(SKIP_1) | instid1(VALU_DEP_4)
	v_fmac_f32_e32 v4, 0xcf800000, v6
	v_cvt_u32_f32_e32 v5, v6
	v_cvt_u32_f32_e32 v6, v9
	s_delay_alu instid0(VALU_DEP_3)
	v_cvt_u32_f32_e32 v4, v4
.LBB29_9:                               ; =>This Inner Loop Header: Depth=1
	s_mul_hi_i32 s13, s14, s7
	s_mul_i32 s4, s14, s7
	s_cmp_lg_u64 s[12:13], 0
	s_mov_b32 s5, -1
                                        ; implicit-def: $sgpr0_sgpr1
	s_cbranch_scc0 .LBB29_11
; %bb.10:                               ;   in Loop: Header=BB29_9 Depth=1
	v_readfirstlane_b32 s0, v4
	v_readfirstlane_b32 s1, v5
	s_sub_u32 s5, 0, s20
	s_subb_u32 s15, 0, 0
	s_delay_alu instid0(VALU_DEP_2) | instskip(NEXT) | instid1(VALU_DEP_1)
	s_mul_hi_u32 s21, s5, s0
	s_mul_i32 s22, s5, s1
	s_mul_i32 s23, s15, s0
	s_add_i32 s21, s21, s22
	s_mul_i32 s22, s5, s0
	s_add_i32 s21, s21, s23
	s_mul_hi_u32 s23, s0, s22
	s_mul_i32 s24, s0, s21
	s_mul_hi_u32 s0, s0, s21
	s_add_u32 s23, s23, s24
	s_mul_i32 s25, s1, s22
	s_addc_u32 s0, 0, s0
	s_mul_hi_u32 s22, s1, s22
	s_mul_hi_u32 s24, s1, s21
	s_add_u32 s23, s23, s25
	s_addc_u32 s0, s0, s22
	s_mul_i32 s21, s1, s21
	s_addc_u32 s22, s24, 0
	s_add_u32 s0, s0, s21
	s_addc_u32 s21, 0, s22
	v_add_co_u32 v9, s0, v4, s0
	s_delay_alu instid0(VALU_DEP_1) | instskip(SKIP_1) | instid1(VALU_DEP_1)
	s_cmp_lg_u32 s0, 0
	s_addc_u32 s1, s1, s21
	v_readfirstlane_b32 s0, v9
	s_mul_i32 s21, s5, s1
	s_delay_alu instid0(VALU_DEP_1)
	s_mul_hi_u32 s22, s5, s0
	s_mul_i32 s15, s15, s0
	s_add_i32 s21, s22, s21
	s_mul_i32 s5, s5, s0
	s_add_i32 s21, s21, s15
	s_mul_hi_u32 s15, s1, s5
	s_mul_i32 s23, s1, s5
	s_mul_i32 s24, s0, s21
	s_mul_hi_u32 s5, s0, s5
	s_mul_hi_u32 s0, s0, s21
	s_add_u32 s5, s5, s24
	s_addc_u32 s0, 0, s0
	s_mul_hi_u32 s22, s1, s21
	s_add_u32 s5, s5, s23
	s_addc_u32 s0, s0, s15
	s_mul_i32 s5, s1, s21
	s_addc_u32 s15, s22, 0
	s_add_u32 s0, s0, s5
	s_addc_u32 s5, 0, s15
	v_add_co_u32 v9, s0, v9, s0
	s_delay_alu instid0(VALU_DEP_1) | instskip(SKIP_2) | instid1(SALU_CYCLE_1)
	s_cmp_lg_u32 s0, 0
	s_addc_u32 s5, s1, s5
	s_ashr_i32 s0, s13, 31
	s_add_u32 s22, s4, s0
	s_addc_u32 s23, s13, s0
	v_readfirstlane_b32 s13, v9
	s_mov_b32 s1, s0
	s_delay_alu instid0(SALU_CYCLE_1) | instskip(NEXT) | instid1(SALU_CYCLE_1)
	s_xor_b64 s[22:23], s[22:23], s[0:1]
	s_mul_i32 s15, s22, s5
	s_delay_alu instid0(VALU_DEP_1)
	s_mul_hi_u32 s21, s22, s13
	s_mul_hi_u32 s24, s22, s5
	s_add_u32 s15, s21, s15
	s_mul_i32 s25, s23, s13
	s_addc_u32 s21, 0, s24
	s_mul_hi_u32 s13, s23, s13
	s_mul_hi_u32 s24, s23, s5
	s_add_u32 s15, s15, s25
	s_addc_u32 s13, s21, s13
	s_mul_i32 s5, s23, s5
	s_addc_u32 s15, s24, 0
	s_add_u32 s5, s13, s5
	s_addc_u32 s13, 0, s15
	s_mul_i32 s21, s20, s5
	s_add_u32 s15, s5, 1
	v_sub_co_u32 v9, s21, s22, s21
	s_addc_u32 s22, s13, 0
	s_mul_i32 s25, s20, s13
	s_mul_hi_u32 s27, s20, s5
	s_delay_alu instid0(VALU_DEP_1)
	v_sub_co_u32 v10, s26, v9, s20
	s_add_u32 s24, s5, 2
	s_addc_u32 s28, s13, 0
	s_add_i32 s27, s27, s25
	s_cmp_lg_u32 s21, 0
	v_readfirstlane_b32 s21, v10
	s_subb_u32 s23, s23, s27
	s_cmp_lg_u32 s26, 0
	s_subb_u32 s25, s23, 0
	s_delay_alu instid0(VALU_DEP_1) | instskip(SKIP_4) | instid1(SALU_CYCLE_1)
	s_cmp_ge_u32 s21, s20
	s_cselect_b32 s21, -1, 0
	s_cmp_eq_u32 s25, 0
	v_readfirstlane_b32 s25, v9
	s_cselect_b32 s21, s21, -1
	s_cmp_lg_u32 s21, 0
	s_cselect_b32 s15, s24, s15
	s_cselect_b32 s21, s28, s22
	s_cmp_ge_u32 s25, s20
	s_cselect_b32 s22, -1, 0
	s_cmp_eq_u32 s23, 0
	s_cselect_b32 s22, s22, -1
	s_delay_alu instid0(SALU_CYCLE_1) | instskip(SKIP_4) | instid1(SALU_CYCLE_1)
	s_cmp_lg_u32 s22, 0
	s_cselect_b32 s23, s21, s13
	s_cselect_b32 s22, s15, s5
	s_mov_b32 s5, 0
	s_xor_b64 s[22:23], s[22:23], s[0:1]
	s_sub_u32 s0, s22, s0
.LBB29_11:                              ;   in Loop: Header=BB29_9 Depth=1
	s_and_not1_b32 vcc_lo, exec_lo, s5
	s_cbranch_vccnz .LBB29_13
; %bb.12:                               ;   in Loop: Header=BB29_9 Depth=1
	v_readfirstlane_b32 s0, v6
	s_delay_alu instid0(VALU_DEP_1) | instskip(NEXT) | instid1(SALU_CYCLE_1)
	s_mul_i32 s1, s6, s0
	s_mul_hi_u32 s1, s0, s1
	s_delay_alu instid0(SALU_CYCLE_1) | instskip(NEXT) | instid1(SALU_CYCLE_1)
	s_add_i32 s0, s0, s1
	s_mul_hi_u32 s0, s4, s0
	s_delay_alu instid0(SALU_CYCLE_1) | instskip(NEXT) | instid1(SALU_CYCLE_1)
	s_mul_i32 s1, s0, s20
	s_sub_i32 s1, s4, s1
	s_add_i32 s4, s0, 1
	s_sub_i32 s5, s1, s20
	s_cmp_ge_u32 s1, s20
	s_cselect_b32 s0, s4, s0
	s_cselect_b32 s1, s5, s1
	s_add_i32 s4, s0, 1
	s_cmp_ge_u32 s1, s20
	s_cselect_b32 s0, s4, s0
.LBB29_13:                              ;   in Loop: Header=BB29_9 Depth=1
	s_delay_alu instid0(SALU_CYCLE_1)
	s_cmp_lg_u32 s16, s0
	s_cbranch_scc0 .LBB29_17
; %bb.14:                               ;   in Loop: Header=BB29_9 Depth=1
	s_add_i32 s1, s14, s20
	s_mov_b32 s5, s12
	s_lshl_b32 s1, s1, 3
	s_mov_b32 s15, s16
	s_add_i32 s4, s1, s17
	s_mul_hi_u32 s1, s0, s8
	s_lshl_b64 s[4:5], s[4:5], 3
	s_delay_alu instid0(SALU_CYCLE_1) | instskip(SKIP_2) | instid1(SALU_CYCLE_1)
	s_add_u32 s4, s2, s4
	s_addc_u32 s5, s3, s5
	s_add_i32 s1, s1, s0
	s_lshr_b32 s1, s1, s9
	s_delay_alu instid0(SALU_CYCLE_1) | instskip(NEXT) | instid1(SALU_CYCLE_1)
	s_mul_i32 s13, s1, s10
	s_cmp_eq_u32 s13, s0
	s_cselect_b32 s13, -1, 0
	s_cmp_lt_u32 s1, s11
	s_cselect_b32 s1, -1, 0
	s_delay_alu instid0(SALU_CYCLE_1)
	s_or_b32 s1, s1, s13
	s_mov_b32 s13, -1
	s_and_b32 vcc_lo, exec_lo, s1
	s_mov_b32 s1, s14
	s_cbranch_vccnz .LBB29_16
; %bb.15:                               ;   in Loop: Header=BB29_9 Depth=1
	s_add_i32 s1, s14, -1
	s_mov_b32 s13, 0
	s_mov_b32 s15, s0
.LBB29_16:                              ;   in Loop: Header=BB29_9 Depth=1
	v_lshl_add_u32 v9, s14, 9, v0
	s_load_b64 s[4:5], s[4:5], 0x0
	s_delay_alu instid0(VALU_DEP_1) | instskip(NEXT) | instid1(VALU_DEP_1)
	v_ashrrev_i32_e32 v10, 31, v9
	v_lshlrev_b64 v[9:10], 2, v[9:10]
	s_delay_alu instid0(VALU_DEP_1) | instskip(NEXT) | instid1(VALU_DEP_2)
	v_add_co_u32 v9, vcc_lo, s18, v9
	v_add_co_ci_u32_e32 v10, vcc_lo, s19, v10, vcc_lo
	s_waitcnt lgkmcnt(0)
	v_max_f32_e64 v11, s4, s4
	global_load_b32 v10, v[9:10], off
	v_max_f32_e32 v9, v8, v8
	s_delay_alu instid0(VALU_DEP_1) | instskip(NEXT) | instid1(VALU_DEP_1)
	v_max_f32_e32 v9, v9, v11
	v_sub_f32_e32 v12, v8, v9
	s_delay_alu instid0(VALU_DEP_1) | instskip(NEXT) | instid1(VALU_DEP_1)
	v_dual_mul_f32 v14, 0x3fb8aa3b, v12 :: v_dual_sub_f32 v11, s4, v9
	v_rndne_f32_e32 v18, v14
	s_delay_alu instid0(VALU_DEP_2) | instskip(SKIP_2) | instid1(VALU_DEP_4)
	v_mul_f32_e32 v13, 0x3fb8aa3b, v11
	v_fma_f32 v17, 0x3fb8aa3b, v12, -v14
	v_cmp_ngt_f32_e32 vcc_lo, 0xc2ce8ed0, v11
	v_sub_f32_e32 v14, v14, v18
	s_delay_alu instid0(VALU_DEP_4) | instskip(SKIP_2) | instid1(VALU_DEP_3)
	v_fma_f32 v15, 0x3fb8aa3b, v11, -v13
	v_rndne_f32_e32 v16, v13
	v_fmac_f32_e32 v17, 0x32a5705f, v12
	v_fmac_f32_e32 v15, 0x32a5705f, v11
	s_delay_alu instid0(VALU_DEP_2) | instskip(NEXT) | instid1(VALU_DEP_1)
	v_dual_sub_f32 v13, v13, v16 :: v_dual_add_f32 v14, v14, v17
	v_add_f32_e32 v13, v13, v15
	s_delay_alu instid0(VALU_DEP_2) | instskip(SKIP_2) | instid1(VALU_DEP_3)
	v_exp_f32_e32 v14, v14
	v_cvt_i32_f32_e32 v15, v16
	v_cvt_i32_f32_e32 v16, v18
	v_exp_f32_e32 v13, v13
	s_waitcnt_depctr 0xfff
	v_ldexp_f32 v14, v14, v16
	v_ldexp_f32 v13, v13, v15
	s_delay_alu instid0(VALU_DEP_1) | instskip(SKIP_1) | instid1(VALU_DEP_4)
	v_cndmask_b32_e32 v13, 0, v13, vcc_lo
	v_cmp_ngt_f32_e32 vcc_lo, 0xc2ce8ed0, v12
	v_cndmask_b32_e32 v14, 0, v14, vcc_lo
	v_cmp_nlt_f32_e32 vcc_lo, 0x42b17218, v11
	s_delay_alu instid0(VALU_DEP_4) | instskip(SKIP_1) | instid1(VALU_DEP_4)
	v_cndmask_b32_e32 v13, 0x7f800000, v13, vcc_lo
	v_cmp_nlt_f32_e32 vcc_lo, 0x42b17218, v12
	v_cndmask_b32_e32 v14, 0x7f800000, v14, vcc_lo
	v_cmp_le_f32_e32 vcc_lo, 0xc1a00000, v11
	s_delay_alu instid0(VALU_DEP_4) | instskip(SKIP_1) | instid1(VALU_DEP_4)
	v_cndmask_b32_e32 v11, 0, v13, vcc_lo
	v_cmp_le_f32_e32 vcc_lo, 0xc1a00000, v12
	v_cndmask_b32_e32 v12, 0, v14, vcc_lo
	s_waitcnt vmcnt(0)
	s_delay_alu instid0(VALU_DEP_3) | instskip(NEXT) | instid1(VALU_DEP_1)
	v_mul_f32_e32 v10, v10, v11
	v_dual_mul_f32 v11, s5, v11 :: v_dual_fmac_f32 v10, v3, v12
	s_delay_alu instid0(VALU_DEP_1)
	v_fmac_f32_e32 v11, v7, v12
	s_cbranch_execz .LBB29_18
	s_branch .LBB29_19
.LBB29_17:                              ;   in Loop: Header=BB29_9 Depth=1
                                        ; implicit-def: $sgpr13
                                        ; implicit-def: $vgpr10
                                        ; implicit-def: $vgpr9
                                        ; implicit-def: $vgpr11
                                        ; implicit-def: $sgpr1
                                        ; implicit-def: $sgpr15
.LBB29_18:                              ;   in Loop: Header=BB29_9 Depth=1
	v_mov_b32_e32 v11, v7
	s_waitcnt vmcnt(0)
	v_dual_mov_b32 v9, v8 :: v_dual_mov_b32 v10, v3
	s_add_i32 s1, s14, -1
	s_mov_b32 s13, 0
	s_mov_b32 s15, s16
.LBB29_19:                              ;   in Loop: Header=BB29_9 Depth=1
	s_and_not1_b32 vcc_lo, exec_lo, s13
	s_cbranch_vccz .LBB29_23
; %bb.20:                               ;   in Loop: Header=BB29_9 Depth=1
	v_dual_mov_b32 v7, v11 :: v_dual_mov_b32 v8, v9
	s_waitcnt vmcnt(0)
	v_mov_b32_e32 v3, v10
	s_mov_b32 s16, s15
	s_mov_b32 s14, s1
	s_branch .LBB29_9
.LBB29_21:
                                        ; implicit-def: $sgpr16_sgpr17
	s_load_b128 s[8:11], s[0:1], 0x44
	s_branch .LBB29_2
.LBB29_22:
                                        ; implicit-def: $sgpr18_sgpr19
	s_branch .LBB29_5
.LBB29_23:
	v_div_scale_f32 v0, null, v11, v11, v10
	s_waitcnt vmcnt(0)
	s_delay_alu instid0(VALU_DEP_1) | instskip(SKIP_2) | instid1(VALU_DEP_1)
	v_rcp_f32_e32 v3, v0
	s_waitcnt_depctr 0xfff
	v_fma_f32 v4, -v0, v3, 1.0
	v_fmac_f32_e32 v3, v4, v3
	v_div_scale_f32 v4, vcc_lo, v10, v11, v10
	s_delay_alu instid0(VALU_DEP_1) | instskip(NEXT) | instid1(VALU_DEP_1)
	v_mul_f32_e32 v5, v4, v3
	v_fma_f32 v6, -v0, v5, v4
	s_delay_alu instid0(VALU_DEP_1) | instskip(NEXT) | instid1(VALU_DEP_1)
	v_fmac_f32_e32 v5, v6, v3
	v_fma_f32 v0, -v0, v5, v4
	s_delay_alu instid0(VALU_DEP_1) | instskip(NEXT) | instid1(VALU_DEP_1)
	v_div_fmas_f32 v0, v0, v3, v5
	v_div_fixup_f32 v0, v0, v11, v10
	global_store_b32 v[1:2], v0, off
.LBB29_24:
	s_nop 0
	s_sendmsg sendmsg(MSG_DEALLOC_VGPRS)
	s_endpgm
	.section	.rodata,"a",@progbits
	.p2align	6, 0x0
	.amdhsa_kernel _ZL33flash_attn_stream_k_fixup_generalILi64ELi2ELi4EEvPfPK15HIP_vector_typeIfLj2EEiiiiS1_IjLj3EES5_S5_S5_
		.amdhsa_group_segment_fixed_size 0
		.amdhsa_private_segment_fixed_size 0
		.amdhsa_kernarg_size 336
		.amdhsa_user_sgpr_count 13
		.amdhsa_user_sgpr_dispatch_ptr 0
		.amdhsa_user_sgpr_queue_ptr 0
		.amdhsa_user_sgpr_kernarg_segment_ptr 1
		.amdhsa_user_sgpr_dispatch_id 0
		.amdhsa_user_sgpr_private_segment_size 0
		.amdhsa_wavefront_size32 1
		.amdhsa_uses_dynamic_stack 0
		.amdhsa_enable_private_segment 0
		.amdhsa_system_sgpr_workgroup_id_x 1
		.amdhsa_system_sgpr_workgroup_id_y 1
		.amdhsa_system_sgpr_workgroup_id_z 1
		.amdhsa_system_sgpr_workgroup_info 0
		.amdhsa_system_vgpr_workitem_id 0
		.amdhsa_next_free_vgpr 19
		.amdhsa_next_free_sgpr 32
		.amdhsa_reserve_vcc 1
		.amdhsa_float_round_mode_32 0
		.amdhsa_float_round_mode_16_64 0
		.amdhsa_float_denorm_mode_32 3
		.amdhsa_float_denorm_mode_16_64 3
		.amdhsa_dx10_clamp 1
		.amdhsa_ieee_mode 1
		.amdhsa_fp16_overflow 0
		.amdhsa_workgroup_processor_mode 1
		.amdhsa_memory_ordered 1
		.amdhsa_forward_progress 0
		.amdhsa_shared_vgpr_count 0
		.amdhsa_exception_fp_ieee_invalid_op 0
		.amdhsa_exception_fp_denorm_src 0
		.amdhsa_exception_fp_ieee_div_zero 0
		.amdhsa_exception_fp_ieee_overflow 0
		.amdhsa_exception_fp_ieee_underflow 0
		.amdhsa_exception_fp_ieee_inexact 0
		.amdhsa_exception_int_div_zero 0
	.end_amdhsa_kernel
	.section	.text._ZL33flash_attn_stream_k_fixup_generalILi64ELi2ELi4EEvPfPK15HIP_vector_typeIfLj2EEiiiiS1_IjLj3EES5_S5_S5_,"axG",@progbits,_ZL33flash_attn_stream_k_fixup_generalILi64ELi2ELi4EEvPfPK15HIP_vector_typeIfLj2EEiiiiS1_IjLj3EES5_S5_S5_,comdat
.Lfunc_end29:
	.size	_ZL33flash_attn_stream_k_fixup_generalILi64ELi2ELi4EEvPfPK15HIP_vector_typeIfLj2EEiiiiS1_IjLj3EES5_S5_S5_, .Lfunc_end29-_ZL33flash_attn_stream_k_fixup_generalILi64ELi2ELi4EEvPfPK15HIP_vector_typeIfLj2EEiiiiS1_IjLj3EES5_S5_S5_
                                        ; -- End function
	.section	.AMDGPU.csdata,"",@progbits
; Kernel info:
; codeLenInByte = 3224
; NumSgprs: 34
; NumVgprs: 19
; ScratchSize: 0
; MemoryBound: 0
; FloatMode: 240
; IeeeMode: 1
; LDSByteSize: 0 bytes/workgroup (compile time only)
; SGPRBlocks: 4
; VGPRBlocks: 2
; NumSGPRsForWavesPerEU: 34
; NumVGPRsForWavesPerEU: 19
; Occupancy: 16
; WaveLimiterHint : 0
; COMPUTE_PGM_RSRC2:SCRATCH_EN: 0
; COMPUTE_PGM_RSRC2:USER_SGPR: 13
; COMPUTE_PGM_RSRC2:TRAP_HANDLER: 0
; COMPUTE_PGM_RSRC2:TGID_X_EN: 1
; COMPUTE_PGM_RSRC2:TGID_Y_EN: 1
; COMPUTE_PGM_RSRC2:TGID_Z_EN: 1
; COMPUTE_PGM_RSRC2:TIDIG_COMP_CNT: 0
	.section	.text._ZL15flash_attn_tileILi64ELi64ELi1ELi4ELb0EEvPKcS1_S1_S1_S1_PKiPfP15HIP_vector_typeIfLj2EEffffjfiS5_IjLj3EEiiiiiiiiiiiliiliiiiil,"axG",@progbits,_ZL15flash_attn_tileILi64ELi64ELi1ELi4ELb0EEvPKcS1_S1_S1_S1_PKiPfP15HIP_vector_typeIfLj2EEffffjfiS5_IjLj3EEiiiiiiiiiiiliiliiiiil,comdat
	.globl	_ZL15flash_attn_tileILi64ELi64ELi1ELi4ELb0EEvPKcS1_S1_S1_S1_PKiPfP15HIP_vector_typeIfLj2EEffffjfiS5_IjLj3EEiiiiiiiiiiiliiliiiiil ; -- Begin function _ZL15flash_attn_tileILi64ELi64ELi1ELi4ELb0EEvPKcS1_S1_S1_S1_PKiPfP15HIP_vector_typeIfLj2EEffffjfiS5_IjLj3EEiiiiiiiiiiiliiliiiiil
	.p2align	8
	.type	_ZL15flash_attn_tileILi64ELi64ELi1ELi4ELb0EEvPKcS1_S1_S1_S1_PKiPfP15HIP_vector_typeIfLj2EEffffjfiS5_IjLj3EEiiiiiiiiiiiliiliiiiil,@function
_ZL15flash_attn_tileILi64ELi64ELi1ELi4ELb0EEvPKcS1_S1_S1_S1_PKiPfP15HIP_vector_typeIfLj2EEffffjfiS5_IjLj3EEiiiiiiiiiiiliiliiiiil: ; @_ZL15flash_attn_tileILi64ELi64ELi1ELi4ELb0EEvPKcS1_S1_S1_S1_PKiPfP15HIP_vector_typeIfLj2EEffffjfiS5_IjLj3EEiiiiiiiiiiiliiliiiiil
; %bb.0:
	s_clause 0x1
	s_load_b128 s[8:11], s[0:1], 0x5c
	s_load_b64 s[34:35], s[0:1], 0x80
	s_mov_b64 s[36:37], 0
	s_waitcnt lgkmcnt(0)
	s_ashr_i32 s2, s11, 31
	s_delay_alu instid0(SALU_CYCLE_1) | instskip(NEXT) | instid1(SALU_CYCLE_1)
	s_lshr_b32 s2, s2, 30
	s_add_i32 s2, s11, s2
	s_delay_alu instid0(SALU_CYCLE_1) | instskip(NEXT) | instid1(SALU_CYCLE_1)
	s_ashr_i32 s2, s2, 2
	v_cvt_f32_u32_e32 v1, s2
	s_sub_i32 s4, 0, s2
	s_delay_alu instid0(VALU_DEP_1) | instskip(SKIP_2) | instid1(VALU_DEP_1)
	v_rcp_iflag_f32_e32 v1, v1
	s_waitcnt_depctr 0xfff
	v_mul_f32_e32 v1, 0x4f7ffffe, v1
	v_cvt_u32_f32_e32 v1, v1
	s_delay_alu instid0(VALU_DEP_1) | instskip(NEXT) | instid1(VALU_DEP_1)
	v_readfirstlane_b32 s3, v1
	s_mul_i32 s4, s4, s3
	s_delay_alu instid0(SALU_CYCLE_1) | instskip(NEXT) | instid1(SALU_CYCLE_1)
	s_mul_hi_u32 s4, s3, s4
	s_add_i32 s3, s3, s4
	s_delay_alu instid0(SALU_CYCLE_1) | instskip(NEXT) | instid1(SALU_CYCLE_1)
	s_mul_hi_u32 s3, s15, s3
	s_mul_i32 s4, s3, s2
	s_add_i32 s5, s3, 1
	s_sub_i32 s4, s15, s4
	s_delay_alu instid0(SALU_CYCLE_1)
	s_sub_i32 s6, s4, s2
	s_cmp_ge_u32 s4, s2
	s_cselect_b32 s3, s5, s3
	s_cselect_b32 s4, s6, s4
	s_add_i32 s5, s3, 1
	s_cmp_ge_u32 s4, s2
	s_cselect_b32 s33, s5, s3
	s_abs_i32 s2, s35
	s_abs_i32 s7, s11
	v_cvt_f32_u32_e32 v1, s2
	s_sub_i32 s4, 0, s2
	s_lshl_b32 s5, s15, 2
	s_mul_i32 s6, s33, s11
	s_delay_alu instid0(VALU_DEP_1) | instskip(SKIP_3) | instid1(VALU_DEP_1)
	v_rcp_iflag_f32_e32 v1, v1
	s_sub_i32 s15, s5, s6
	s_waitcnt_depctr 0xfff
	v_mul_f32_e32 v1, 0x4f7ffffe, v1
	v_cvt_u32_f32_e32 v1, v1
	s_delay_alu instid0(VALU_DEP_1) | instskip(NEXT) | instid1(VALU_DEP_1)
	v_readfirstlane_b32 s3, v1
	s_mul_i32 s4, s4, s3
	s_delay_alu instid0(SALU_CYCLE_1) | instskip(NEXT) | instid1(SALU_CYCLE_1)
	s_mul_hi_u32 s4, s3, s4
	s_add_i32 s3, s3, s4
	s_xor_b32 s4, s11, s35
	s_mul_hi_u32 s3, s7, s3
	s_ashr_i32 s4, s4, 31
	s_mul_i32 s5, s3, s2
	s_add_i32 s6, s3, 1
	s_sub_i32 s5, s7, s5
	s_delay_alu instid0(SALU_CYCLE_1)
	s_sub_i32 s7, s5, s2
	s_cmp_ge_u32 s5, s2
	s_cselect_b32 s3, s6, s3
	s_cselect_b32 s5, s7, s5
	s_add_i32 s6, s3, 1
	s_cmp_ge_u32 s5, s2
	s_cselect_b32 s2, s6, s3
	s_delay_alu instid0(SALU_CYCLE_1) | instskip(NEXT) | instid1(SALU_CYCLE_1)
	s_xor_b32 s2, s2, s4
	s_sub_i32 s35, s2, s4
	s_clause 0x1
	s_load_b512 s[16:31], s[0:1], 0x0
	s_load_b64 s[2:3], s[0:1], 0xb8
	s_abs_i32 s12, s35
	s_delay_alu instid0(SALU_CYCLE_1) | instskip(NEXT) | instid1(VALU_DEP_1)
	v_cvt_f32_u32_e32 v1, s12
	v_rcp_iflag_f32_e32 v1, v1
	s_waitcnt_depctr 0xfff
	v_mul_f32_e32 v1, 0x4f7ffffe, v1
	s_waitcnt lgkmcnt(0)
	s_cmp_eq_u64 s[22:23], 0
	s_delay_alu instid0(VALU_DEP_1) | instskip(NEXT) | instid1(VALU_DEP_1)
	v_cvt_u32_f32_e32 v1, v1
	v_readfirstlane_b32 s38, v1
	s_cbranch_scc1 .LBB30_2
; %bb.1:
	s_abs_i32 s2, s2
	s_abs_i32 s6, s33
	v_cvt_f32_u32_e32 v1, s2
	s_sub_i32 s5, 0, s2
	s_delay_alu instid0(VALU_DEP_1) | instskip(SKIP_2) | instid1(VALU_DEP_1)
	v_rcp_iflag_f32_e32 v1, v1
	s_waitcnt_depctr 0xfff
	v_mul_f32_e32 v1, 0x4f7ffffe, v1
	v_cvt_u32_f32_e32 v1, v1
	s_delay_alu instid0(VALU_DEP_1) | instskip(NEXT) | instid1(VALU_DEP_1)
	v_readfirstlane_b32 s4, v1
	s_mul_i32 s5, s5, s4
	s_delay_alu instid0(SALU_CYCLE_1) | instskip(NEXT) | instid1(SALU_CYCLE_1)
	s_mul_hi_u32 s5, s4, s5
	s_add_i32 s7, s4, s5
	s_load_b64 s[4:5], s[0:1], 0xc8
	s_mul_hi_u32 s7, s6, s7
	s_delay_alu instid0(SALU_CYCLE_1) | instskip(NEXT) | instid1(SALU_CYCLE_1)
	s_mul_i32 s7, s7, s2
	s_sub_i32 s6, s6, s7
	s_ashr_i32 s7, s33, 31
	s_sub_i32 s36, s6, s2
	s_cmp_ge_u32 s6, s2
	s_cselect_b32 s6, s36, s6
	s_delay_alu instid0(SALU_CYCLE_1) | instskip(SKIP_2) | instid1(SALU_CYCLE_1)
	s_sub_i32 s36, s6, s2
	s_cmp_ge_u32 s6, s2
	s_cselect_b32 s2, s36, s6
	s_xor_b32 s2, s2, s7
	s_delay_alu instid0(SALU_CYCLE_1)
	s_sub_i32 s2, s2, s7
	s_waitcnt lgkmcnt(0)
	s_mul_i32 s5, s2, s5
	s_mul_hi_u32 s6, s2, s4
	s_ashr_i32 s7, s2, 31
	s_add_i32 s5, s6, s5
	s_mul_i32 s7, s7, s4
	s_mul_i32 s2, s2, s4
	s_add_i32 s5, s5, s7
	s_add_u32 s36, s22, s2
	s_addc_u32 s37, s23, s5
.LBB30_2:
	v_bfe_u32 v6, v0, 10, 10
	s_load_b128 s[4:7], s[0:1], 0x70
	v_and_b32_e32 v0, 0x3ff, v0
	s_delay_alu instid0(VALU_DEP_2) | instskip(SKIP_1) | instid1(VALU_DEP_3)
	v_lshrrev_b32_e32 v1, 1, v6
	v_lshlrev_b32_e32 v4, 1, v6
	v_lshlrev_b32_e32 v23, 2, v0
	s_delay_alu instid0(VALU_DEP_3) | instskip(NEXT) | instid1(VALU_DEP_3)
	v_add_nc_u32_e32 v1, s13, v1
	v_or_b32_e32 v14, 1, v4
	v_and_b32_e32 v21, 2, v4
	s_delay_alu instid0(VALU_DEP_3) | instskip(NEXT) | instid1(VALU_DEP_3)
	v_mul_hi_u32 v2, s8, v1
	v_and_b32_e32 v15, 3, v14
	s_waitcnt lgkmcnt(0)
	s_mul_i32 s2, s33, s6
	s_mul_i32 s6, s15, s5
	s_delay_alu instid0(VALU_DEP_2)
	v_add_nc_u32_e32 v2, v1, v2
	s_ashr_i32 s7, s2, 31
	s_add_u32 s2, s16, s2
	s_addc_u32 s7, s17, s7
	s_ashr_i32 s8, s6, 31
	v_lshrrev_b32_e32 v2, s9, v2
	s_add_u32 s2, s2, s6
	s_addc_u32 s6, s7, s8
	s_ashr_i32 s7, s4, 31
	s_delay_alu instid0(SALU_CYCLE_1)
	v_alignbit_b32 v5, s7, s4, 2
	v_mul_lo_u32 v2, v2, s10
	s_ashr_i32 s4, s5, 31
	s_lshr_b32 s7, s7, 2
	v_alignbit_b32 v12, s4, s5, 2
	s_lshr_b32 s8, s4, 2
	s_cmp_eq_u64 s[26:27], 0
	v_mul_lo_u32 v13, s8, v21
	s_delay_alu instid0(VALU_DEP_3) | instskip(SKIP_2) | instid1(VALU_DEP_3)
	v_sub_nc_u32_e32 v7, v1, v2
	v_mad_u64_u32 v[8:9], null, v12, v15, 0
	v_mad_u64_u32 v[10:11], null, v12, v21, 0
	;; [unrolled: 1-line block ×3, first 2 shown]
	s_delay_alu instid0(VALU_DEP_2) | instskip(NEXT) | instid1(VALU_DEP_2)
	v_or_b32_e32 v11, v11, v13
	v_mad_u64_u32 v[4:5], null, s7, v7, v[3:4]
	s_delay_alu instid0(VALU_DEP_1) | instskip(NEXT) | instid1(VALU_DEP_1)
	v_dual_mov_b32 v3, v4 :: v_dual_mov_b32 v4, v9
	v_lshlrev_b64 v[2:3], 2, v[2:3]
	s_delay_alu instid0(VALU_DEP_2) | instskip(SKIP_2) | instid1(VALU_DEP_4)
	v_mad_u64_u32 v[12:13], null, s8, v15, v[4:5]
	v_lshlrev_b32_e32 v13, 3, v0
	v_lshlrev_b64 v[4:5], 2, v[10:11]
	v_add_co_u32 v2, vcc_lo, s2, v2
	v_add_co_ci_u32_e32 v3, vcc_lo, s6, v3, vcc_lo
	v_mov_b32_e32 v9, v12
	s_delay_alu instid0(VALU_DEP_3) | instskip(NEXT) | instid1(VALU_DEP_3)
	v_add_co_u32 v10, vcc_lo, v2, v13
	v_add_co_ci_u32_e32 v11, vcc_lo, 0, v3, vcc_lo
	s_delay_alu instid0(VALU_DEP_3) | instskip(NEXT) | instid1(VALU_DEP_3)
	v_lshlrev_b64 v[2:3], 2, v[8:9]
	v_add_co_u32 v4, vcc_lo, v10, v4
	s_delay_alu instid0(VALU_DEP_3) | instskip(SKIP_1) | instid1(VALU_DEP_3)
	v_add_co_ci_u32_e32 v5, vcc_lo, v11, v5, vcc_lo
	s_load_b32 s2, s[0:1], 0x40
	v_add_co_u32 v2, vcc_lo, v10, v2
	s_delay_alu instid0(VALU_DEP_4)
	v_add_co_ci_u32_e32 v3, vcc_lo, v11, v3, vcc_lo
	s_clause 0x1
	global_load_b64 v[4:5], v[4:5], off
	global_load_b64 v[2:3], v[2:3], off
	v_lshlrev_b32_e32 v8, 5, v14
	v_lshl_or_b32 v9, v6, 8, v23
	s_delay_alu instid0(VALU_DEP_2) | instskip(SKIP_4) | instid1(VALU_DEP_2)
	v_add_lshl_u32 v8, v8, v0, 2
	s_waitcnt vmcnt(1) lgkmcnt(0)
	v_fma_mixlo_f16 v4, v4, s2, 0
	s_waitcnt vmcnt(0)
	v_fma_mixlo_f16 v2, v2, s2, 0
	v_fma_mixhi_f16 v4, v5, s2, 0
	s_delay_alu instid0(VALU_DEP_2)
	v_fma_mixhi_f16 v2, v3, s2, 0
	ds_store_b32 v9, v4 offset:4608
	ds_store_b32 v8, v2 offset:4608
	s_waitcnt lgkmcnt(0)
	s_barrier
	buffer_gl0_inv
	s_cbranch_scc1 .LBB30_4
; %bb.3:
	s_load_b32 s2, s[0:1], 0xd0
	s_mov_b32 s5, 0
	s_waitcnt lgkmcnt(0)
	s_mul_i32 s2, s2, s33
	s_delay_alu instid0(SALU_CYCLE_1) | instskip(NEXT) | instid1(SALU_CYCLE_1)
	s_add_i32 s4, s2, s13
	s_lshl_b64 s[4:5], s[4:5], 2
	s_delay_alu instid0(SALU_CYCLE_1)
	s_add_u32 s4, s26, s4
	s_addc_u32 s5, s27, s5
	s_load_b32 s34, s[4:5], 0x0
.LBB30_4:
	v_mbcnt_lo_u32_b32 v25, -1, 0
	s_lshl_b32 s9, s14, 5
	s_waitcnt lgkmcnt(0)
	s_cmp_lt_i32 s9, s34
	s_cbranch_scc1 .LBB30_6
; %bb.5:
	v_mbcnt_lo_u32_b32 v4, -1, 0
	v_mov_b32_e32 v26, 32
	s_mov_b32 s2, 0
	s_mov_b32 s4, 0xfeffffff
	s_delay_alu instid0(VALU_DEP_2)
	v_xor_b32_e32 v31, 16, v4
	v_xor_b32_e32 v30, 8, v4
	;; [unrolled: 1-line block ×5, first 2 shown]
	s_branch .LBB30_7
.LBB30_6:
	s_mov_b32 s2, -1
                                        ; implicit-def: $sgpr4
                                        ; implicit-def: $vgpr4
                                        ; implicit-def: $vgpr26
                                        ; implicit-def: $vgpr31
                                        ; implicit-def: $vgpr30
                                        ; implicit-def: $vgpr29
                                        ; implicit-def: $vgpr28
                                        ; implicit-def: $vgpr27
.LBB30_7:
	s_delay_alu instid0(SALU_CYCLE_1) | instskip(SKIP_3) | instid1(VALU_DEP_4)
	v_cndmask_b32_e64 v2, 0, 1, s2
	v_dual_mov_b32 v3, s4 :: v_dual_mov_b32 v24, s2
	v_mov_b32_e32 v49, s2
	v_dual_mov_b32 v33, s2 :: v_dual_mov_b32 v22, s2
	v_cmp_ne_u32_e32 vcc_lo, 1, v2
	v_mov_b32_e32 v2, s4
	s_cbranch_vccnz .LBB30_11
; %bb.8:
	s_clause 0x1
	s_load_b128 s[4:7], s[0:1], 0x98
	s_load_b64 s[22:23], s[0:1], 0x8c
	s_sub_i32 s2, 0, s12
	s_abs_i32 s8, s15
	s_mul_i32 s2, s2, s38
	s_ashr_i32 s13, s15, 31
	s_mul_hi_u32 s2, s38, s2
	s_ashr_i32 s35, s35, 31
	s_add_i32 s38, s38, s2
	s_ashr_i32 s2, s3, 1
	s_mul_hi_u32 s3, s8, s38
	s_ashr_i32 s38, s33, 31
	s_load_b64 s[26:27], s[0:1], 0xa8
	s_mul_i32 s39, s3, s12
	v_lshrrev_b32_e32 v2, 3, v0
	v_dual_mov_b32 v22, 0 :: v_dual_and_b32 v3, 28, v23
	v_lshl_add_u32 v40, v6, 7, 0x1400
	v_lshl_add_u32 v38, v6, 8, 0x1200
	s_delay_alu instid0(VALU_DEP_4)
	v_lshl_add_u32 v2, v6, 2, v2
	s_waitcnt lgkmcnt(0)
	s_ashr_i32 s16, s6, 2
	s_mul_i32 s5, s33, s5
	s_mul_hi_u32 s6, s33, s4
	s_ashr_i32 s17, s22, 2
	s_mul_i32 s22, s38, s4
	s_add_i32 s5, s6, s5
	s_mul_i32 s4, s33, s4
	s_add_i32 s5, s5, s22
	s_add_u32 s4, s18, s4
	s_addc_u32 s5, s19, s5
	s_sub_i32 s8, s8, s39
	s_xor_b32 s6, s13, s35
	s_add_i32 s13, s3, 1
	s_sub_i32 s18, s8, s12
	s_cmp_ge_u32 s8, s12
	s_mul_i32 s38, s38, s26
	s_cselect_b32 s3, s13, s3
	s_cselect_b32 s8, s18, s8
	s_add_i32 s13, s3, 1
	s_cmp_ge_u32 s8, s12
	s_mul_i32 s8, s33, s27
	s_cselect_b32 s3, s13, s3
	s_mul_hi_u32 s12, s33, s26
	s_xor_b32 s3, s3, s6
	v_mul_lo_u32 v8, s17, v2
	s_sub_i32 s3, s3, s6
	s_mul_i32 s13, s33, s26
	s_mul_i32 s6, s3, s23
	s_mul_i32 s3, s3, s7
	s_ashr_i32 s19, s6, 31
	s_add_u32 s18, s4, s6
	s_addc_u32 s19, s5, s19
	s_add_i32 s4, s12, s8
	v_mul_lo_u32 v14, s16, v2
	s_add_i32 s4, s4, s38
	s_add_u32 s5, s20, s13
	s_addc_u32 s4, s21, s4
	s_ashr_i32 s6, s3, 31
	s_add_u32 s20, s5, s3
	s_addc_u32 s21, s4, s6
	s_lshl_b32 s3, s17, 3
	s_delay_alu instid0(SALU_CYCLE_1)
	v_dual_mov_b32 v33, 0 :: v_dual_add_nc_u32 v10, s3, v8
	v_lshlrev_b32_e32 v4, 2, v3
	v_ashrrev_i32_e32 v9, 31, v8
	v_ashrrev_i32_e32 v15, 31, v14
	v_dual_mov_b32 v3, 0xfeffffff :: v_dual_lshlrev_b32 v44, 2, v3
	v_add_nc_u32_e32 v12, s3, v10
	v_ashrrev_i32_e32 v11, 31, v10
	v_mad_u32_u24 v32, 0x90, v2, v4
	v_lshl_or_b32 v39, v2, 7, v4
	v_mad_u64_u32 v[4:5], null, v7, s2, v[0:1]
	v_add_nc_u32_e32 v16, s3, v12
	s_lshl_b32 s3, s16, 3
	v_ashrrev_i32_e32 v13, 31, v12
	v_add_nc_u32_e32 v18, s3, v14
	v_lshlrev_b64 v[5:6], 2, v[8:9]
	v_ashrrev_i32_e32 v17, 31, v16
	v_lshlrev_b64 v[7:8], 2, v[10:11]
	v_lshlrev_b64 v[9:10], 2, v[12:13]
	v_add_nc_u32_e32 v46, s3, v18
	v_ashrrev_i32_e32 v19, 31, v18
	v_lshlrev_b64 v[11:12], 2, v[16:17]
	v_lshlrev_b64 v[13:14], 2, v[14:15]
	v_add_nc_u32_e32 v34, 0x480, v32
	v_add_nc_u32_e32 v48, s3, v46
	v_ashrrev_i32_e32 v47, 31, v46
	v_lshlrev_b64 v[15:16], 2, v[18:19]
	v_dual_mov_b32 v26, 32 :: v_dual_add_nc_u32 v35, 0x900, v32
	s_delay_alu instid0(VALU_DEP_4) | instskip(NEXT) | instid1(VALU_DEP_4)
	v_ashrrev_i32_e32 v49, 31, v48
	v_lshlrev_b64 v[17:18], 2, v[46:47]
	v_add_nc_u32_e32 v36, 0xd80, v32
	v_mul_u32_u24_e32 v37, 0x90, v0
	v_dual_mov_b32 v24, 0 :: v_dual_add_nc_u32 v41, 0x400, v39
	v_lshlrev_b64 v[19:20], 2, v[48:49]
	v_add_nc_u32_e32 v42, 0x800, v39
	v_add_nc_u32_e32 v43, 0xc00, v39
	v_dual_mov_b32 v2, 0xfeffffff :: v_dual_add_nc_u32 v45, v40, v23
	v_xor_b32_e32 v31, 16, v25
	v_xor_b32_e32 v30, 8, v25
	v_xor_b32_e32 v29, 4, v25
	v_xor_b32_e32 v28, 2, v25
	v_xor_b32_e32 v27, 1, v25
	v_add_nc_u32_e32 v46, 0x400, v23
	v_add_nc_u32_e32 v47, 0x800, v23
	v_dual_mov_b32 v49, 0 :: v_dual_add_nc_u32 v48, 0xc00, v23
	s_add_u32 s12, s0, 0xd0
	s_addc_u32 s13, s1, 0
.LBB30_9:                               ; =>This Inner Loop Header: Depth=1
	s_mul_hi_i32 s3, s9, s17
	s_mul_i32 s2, s9, s17
	v_mov_b32_e32 v68, 0
	s_lshl_b64 s[2:3], s[2:3], 2
	v_dual_mov_b32 v69, 0 :: v_dual_add_nc_u32 v66, s9, v4
	s_add_u32 s4, s18, s2
	s_addc_u32 s5, s19, s3
	v_add_co_u32 v50, vcc_lo, s4, v7
	v_add_co_u32 v51, s2, s4, v9
	v_add_co_u32 v52, s3, s4, v11
	;; [unrolled: 1-line block ×3, first 2 shown]
	s_delay_alu instid0(VALU_DEP_1)
	v_add_co_ci_u32_e64 v55, s4, s5, v6, s4
	v_add_co_ci_u32_e32 v56, vcc_lo, s5, v8, vcc_lo
	v_add_co_ci_u32_e64 v57, vcc_lo, s5, v10, s2
	v_add_co_ci_u32_e64 v60, vcc_lo, s5, v12, s3
	v_add_co_u32 v54, vcc_lo, v50, v44
	v_add_co_u32 v50, s4, v53, v44
	v_add_co_u32 v58, s2, v51, v44
	v_add_co_ci_u32_e64 v51, s4, 0, v55, s4
	v_add_co_u32 v62, s3, v52, v44
	v_add_co_ci_u32_e32 v55, vcc_lo, 0, v56, vcc_lo
	v_add_co_ci_u32_e64 v59, vcc_lo, 0, v57, s2
	v_add_co_ci_u32_e64 v63, vcc_lo, 0, v60, s3
	s_clause 0x3
	global_load_b128 v[50:53], v[50:51], off
	global_load_b128 v[54:57], v[54:55], off
	;; [unrolled: 1-line block ×4, first 2 shown]
	v_ashrrev_i32_e32 v67, 31, v66
	s_mul_hi_i32 s3, s9, s16
	s_mul_i32 s2, s9, s16
	s_waitcnt vmcnt(3)
	ds_store_b128 v32, v[50:53]
	s_waitcnt vmcnt(2)
	ds_store_b128 v34, v[54:57]
	s_waitcnt vmcnt(1)
	ds_store_b128 v35, v[58:61]
	s_waitcnt vmcnt(0)
	ds_store_b128 v36, v[62:65]
	s_waitcnt lgkmcnt(0)
	s_barrier
	buffer_gl0_inv
	ds_load_b128 v[50:53], v37
	ds_load_b128 v[54:57], v38
	ds_load_b128 v[58:61], v38 offset:128
	s_waitcnt lgkmcnt(1)
	;;#ASMSTART
	v_dot2_f32_f16 v68, v50, v54, v68
	;;#ASMEND
	;;#ASMSTART
	v_dot2_f32_f16 v68, v51, v55, v68
	;;#ASMEND
	;;#ASMSTART
	v_dot2_f32_f16 v68, v52, v56, v68
	;;#ASMEND
	;;#ASMSTART
	v_dot2_f32_f16 v68, v53, v57, v68
	;;#ASMEND
	s_waitcnt lgkmcnt(0)
	;;#ASMSTART
	v_dot2_f32_f16 v69, v50, v58, v69
	;;#ASMEND
	;;#ASMSTART
	v_dot2_f32_f16 v69, v51, v59, v69
	;;#ASMEND
	;;#ASMSTART
	v_dot2_f32_f16 v69, v52, v60, v69
	;;#ASMEND
	;;#ASMSTART
	v_dot2_f32_f16 v69, v53, v61, v69
	;;#ASMEND
	ds_load_b128 v[50:53], v37 offset:16
	ds_load_b128 v[54:57], v38 offset:16
	ds_load_b128 v[58:61], v38 offset:144
	s_waitcnt lgkmcnt(1)
	;;#ASMSTART
	v_dot2_f32_f16 v68, v50, v54, v68
	;;#ASMEND
	;;#ASMSTART
	v_dot2_f32_f16 v68, v51, v55, v68
	;;#ASMEND
	;;#ASMSTART
	v_dot2_f32_f16 v68, v52, v56, v68
	;;#ASMEND
	;;#ASMSTART
	v_dot2_f32_f16 v68, v53, v57, v68
	;;#ASMEND
	s_waitcnt lgkmcnt(0)
	;;#ASMSTART
	v_dot2_f32_f16 v69, v50, v58, v69
	;;#ASMEND
	;;#ASMSTART
	v_dot2_f32_f16 v69, v51, v59, v69
	;;#ASMEND
	;;#ASMSTART
	v_dot2_f32_f16 v69, v52, v60, v69
	;;#ASMEND
	;;#ASMSTART
	v_dot2_f32_f16 v69, v53, v61, v69
	;;#ASMEND
	ds_load_b128 v[50:53], v37 offset:32
	ds_load_b128 v[54:57], v38 offset:32
	ds_load_b128 v[58:61], v38 offset:160
	s_waitcnt lgkmcnt(1)
	;;#ASMSTART
	v_dot2_f32_f16 v68, v50, v54, v68
	;;#ASMEND
	;;#ASMSTART
	v_dot2_f32_f16 v68, v51, v55, v68
	;;#ASMEND
	;;#ASMSTART
	v_dot2_f32_f16 v68, v52, v56, v68
	;;#ASMEND
	;;#ASMSTART
	v_dot2_f32_f16 v68, v53, v57, v68
	;;#ASMEND
	s_waitcnt lgkmcnt(0)
	;;#ASMSTART
	v_dot2_f32_f16 v69, v50, v58, v69
	;;#ASMEND
	;;#ASMSTART
	v_dot2_f32_f16 v69, v51, v59, v69
	;;#ASMEND
	;;#ASMSTART
	v_dot2_f32_f16 v69, v52, v60, v69
	;;#ASMEND
	;;#ASMSTART
	v_dot2_f32_f16 v69, v53, v61, v69
	;;#ASMEND
	ds_load_b128 v[50:53], v37 offset:48
	ds_load_b128 v[54:57], v38 offset:48
	ds_load_b128 v[58:61], v38 offset:176
	s_waitcnt lgkmcnt(1)
	;;#ASMSTART
	v_dot2_f32_f16 v68, v50, v54, v68
	;;#ASMEND
	;;#ASMSTART
	v_dot2_f32_f16 v68, v51, v55, v68
	;;#ASMEND
	;;#ASMSTART
	v_dot2_f32_f16 v68, v52, v56, v68
	;;#ASMEND
	;;#ASMSTART
	v_dot2_f32_f16 v68, v53, v57, v68
	;;#ASMEND
	s_waitcnt lgkmcnt(0)
	;;#ASMSTART
	v_dot2_f32_f16 v69, v50, v58, v69
	;;#ASMEND
	;;#ASMSTART
	v_dot2_f32_f16 v69, v51, v59, v69
	;;#ASMEND
	;;#ASMSTART
	v_dot2_f32_f16 v69, v52, v60, v69
	;;#ASMEND
	;;#ASMSTART
	v_dot2_f32_f16 v69, v53, v61, v69
	;;#ASMEND
	ds_load_b128 v[50:53], v37 offset:64
	ds_load_b128 v[54:57], v38 offset:64
	ds_load_b128 v[58:61], v38 offset:192
	s_waitcnt lgkmcnt(1)
	;;#ASMSTART
	v_dot2_f32_f16 v68, v50, v54, v68
	;;#ASMEND
	;;#ASMSTART
	v_dot2_f32_f16 v68, v51, v55, v68
	;;#ASMEND
	;;#ASMSTART
	v_dot2_f32_f16 v68, v52, v56, v68
	;;#ASMEND
	;;#ASMSTART
	v_dot2_f32_f16 v68, v53, v57, v68
	;;#ASMEND
	s_waitcnt lgkmcnt(0)
	;;#ASMSTART
	v_dot2_f32_f16 v69, v50, v58, v69
	;;#ASMEND
	;;#ASMSTART
	v_dot2_f32_f16 v69, v51, v59, v69
	;;#ASMEND
	;;#ASMSTART
	v_dot2_f32_f16 v69, v52, v60, v69
	;;#ASMEND
	;;#ASMSTART
	v_dot2_f32_f16 v69, v53, v61, v69
	;;#ASMEND
	ds_load_b128 v[50:53], v37 offset:80
	ds_load_b128 v[54:57], v38 offset:80
	ds_load_b128 v[58:61], v38 offset:208
	s_waitcnt lgkmcnt(1)
	;;#ASMSTART
	v_dot2_f32_f16 v68, v50, v54, v68
	;;#ASMEND
	;;#ASMSTART
	v_dot2_f32_f16 v68, v51, v55, v68
	;;#ASMEND
	;;#ASMSTART
	v_dot2_f32_f16 v68, v52, v56, v68
	;;#ASMEND
	;;#ASMSTART
	v_dot2_f32_f16 v68, v53, v57, v68
	;;#ASMEND
	s_waitcnt lgkmcnt(0)
	;;#ASMSTART
	v_dot2_f32_f16 v69, v50, v58, v69
	;;#ASMEND
	;;#ASMSTART
	v_dot2_f32_f16 v69, v51, v59, v69
	;;#ASMEND
	;;#ASMSTART
	v_dot2_f32_f16 v69, v52, v60, v69
	;;#ASMEND
	;;#ASMSTART
	v_dot2_f32_f16 v69, v53, v61, v69
	;;#ASMEND
	ds_load_b128 v[50:53], v37 offset:96
	ds_load_b128 v[54:57], v38 offset:96
	ds_load_b128 v[58:61], v38 offset:224
	s_waitcnt lgkmcnt(1)
	;;#ASMSTART
	v_dot2_f32_f16 v68, v50, v54, v68
	;;#ASMEND
	;;#ASMSTART
	v_dot2_f32_f16 v68, v51, v55, v68
	;;#ASMEND
	;;#ASMSTART
	v_dot2_f32_f16 v68, v52, v56, v68
	;;#ASMEND
	;;#ASMSTART
	v_dot2_f32_f16 v68, v53, v57, v68
	;;#ASMEND
	s_waitcnt lgkmcnt(0)
	;;#ASMSTART
	v_dot2_f32_f16 v69, v50, v58, v69
	;;#ASMEND
	;;#ASMSTART
	v_dot2_f32_f16 v69, v51, v59, v69
	;;#ASMEND
	;;#ASMSTART
	v_dot2_f32_f16 v69, v52, v60, v69
	;;#ASMEND
	;;#ASMSTART
	v_dot2_f32_f16 v69, v53, v61, v69
	;;#ASMEND
	ds_load_b128 v[50:53], v37 offset:112
	ds_load_b128 v[54:57], v38 offset:112
	ds_load_b128 v[58:61], v38 offset:240
	v_lshlrev_b64 v[66:67], 1, v[66:67]
	s_waitcnt lgkmcnt(1)
	;;#ASMSTART
	v_dot2_f32_f16 v68, v50, v54, v68
	;;#ASMEND
	s_delay_alu instid0(VALU_DEP_1) | instskip(NEXT) | instid1(VALU_DEP_2)
	v_add_co_u32 v66, vcc_lo, s36, v66
	v_add_co_ci_u32_e32 v67, vcc_lo, s37, v67, vcc_lo
	;;#ASMSTART
	v_dot2_f32_f16 v68, v51, v55, v68
	;;#ASMEND
	;;#ASMSTART
	v_dot2_f32_f16 v68, v52, v56, v68
	;;#ASMEND
	;; [unrolled: 3-line block ×3, first 2 shown]
	s_waitcnt lgkmcnt(0)
	;;#ASMSTART
	v_dot2_f32_f16 v69, v50, v58, v69
	;;#ASMEND
	;;#ASMSTART
	v_dot2_f32_f16 v69, v51, v59, v69
	;;#ASMEND
	;; [unrolled: 3-line block ×4, first 2 shown]
	flat_load_u16 v66, v[66:67]
	s_lshl_b64 s[2:3], s[2:3], 2
	s_waitcnt vmcnt(0) lgkmcnt(0)
	s_add_u32 s4, s20, s2
	s_addc_u32 s5, s21, s3
	v_add_co_u32 v50, vcc_lo, s4, v15
	v_add_co_u32 v51, s2, s4, v17
	v_add_co_u32 v52, s3, s4, v19
	;; [unrolled: 1-line block ×3, first 2 shown]
	s_delay_alu instid0(VALU_DEP_1)
	v_add_co_ci_u32_e64 v55, s4, s5, v14, s4
	v_add_co_ci_u32_e32 v56, vcc_lo, s5, v16, vcc_lo
	v_add_co_ci_u32_e64 v57, vcc_lo, s5, v18, s2
	v_add_co_ci_u32_e64 v60, vcc_lo, s5, v20, s3
	v_add_co_u32 v54, vcc_lo, v50, v44
	v_add_co_u32 v50, s4, v53, v44
	v_add_co_u32 v58, s2, v51, v44
	v_add_co_ci_u32_e64 v51, s4, 0, v55, s4
	v_add_co_u32 v62, s3, v52, v44
	v_add_co_ci_u32_e32 v55, vcc_lo, 0, v56, vcc_lo
	v_add_co_ci_u32_e64 v59, vcc_lo, 0, v57, s2
	v_add_co_ci_u32_e64 v63, vcc_lo, 0, v60, s3
	s_barrier
	buffer_gl0_inv
	s_clause 0x3
	global_load_b128 v[50:53], v[50:51], off
	global_load_b128 v[54:57], v[54:55], off
	;; [unrolled: 1-line block ×4, first 2 shown]
	v_cmp_gt_i32_e64 s4, 32, v28
	v_dual_mov_b32 v67, v3 :: v_dual_mov_b32 v70, v2
	v_cmp_gt_i32_e32 vcc_lo, 32, v31
	v_cmp_gt_i32_e64 s2, 32, v30
	v_cmp_gt_i32_e64 s3, 32, v29
	s_delay_alu instid0(VALU_DEP_4)
	v_max_f32_e32 v73, v67, v67
	v_cndmask_b32_e64 v71, v25, v28, s4
	v_max_f32_e32 v74, v70, v70
	v_cndmask_b32_e64 v3, v25, v30, s2
	v_mov_b32_e32 v106, v49
	v_cndmask_b32_e64 v49, v25, v29, s3
	v_cndmask_b32_e32 v2, v25, v31, vcc_lo
	v_lshlrev_b32_e32 v71, 2, v71
	v_cmp_gt_i32_e64 s5, 32, v27
	v_lshlrev_b32_e32 v3, 2, v3
	v_lshlrev_b32_e32 v49, 2, v49
	s_delay_alu instid0(VALU_DEP_3) | instskip(SKIP_1) | instid1(VALU_DEP_1)
	v_cndmask_b32_e64 v72, v25, v27, s5
	v_cvt_f32_f16_e32 v66, v66
	v_add_f32_e32 v68, v68, v66
	v_lshlrev_b32_e32 v2, 2, v2
	v_add_f32_e32 v66, v69, v66
	v_lshlrev_b32_e32 v72, 2, v72
	s_delay_alu instid0(VALU_DEP_4) | instskip(NEXT) | instid1(VALU_DEP_3)
	v_add_f32_e32 v69, 0x40051340, v68
	v_add_f32_e32 v75, 0x40051340, v66
	s_delay_alu instid0(VALU_DEP_2)
	v_max_f32_e32 v69, v74, v69
	ds_bpermute_b32 v74, v2, v69
	s_waitcnt lgkmcnt(0)
	v_dual_max_f32 v73, v73, v75 :: v_dual_max_f32 v74, v74, v74
	ds_bpermute_b32 v2, v2, v73
	s_waitcnt lgkmcnt(0)
	v_max_f32_e32 v2, v2, v2
	s_delay_alu instid0(VALU_DEP_1)
	v_max_f32_e32 v2, v73, v2
	v_max_f32_e32 v69, v69, v74
	ds_bpermute_b32 v73, v3, v69
	ds_bpermute_b32 v3, v3, v2
	s_waitcnt lgkmcnt(1)
	v_max_f32_e32 v73, v73, v73
	s_waitcnt lgkmcnt(0)
	v_max_f32_e32 v3, v3, v3
	s_delay_alu instid0(VALU_DEP_1)
	v_dual_max_f32 v2, v2, v3 :: v_dual_max_f32 v69, v69, v73
	ds_bpermute_b32 v3, v49, v69
	ds_bpermute_b32 v49, v49, v2
	s_waitcnt lgkmcnt(1)
	v_max_f32_e32 v3, v3, v3
	s_waitcnt lgkmcnt(0)
	v_max_f32_e32 v49, v49, v49
	s_delay_alu instid0(VALU_DEP_1)
	v_dual_max_f32 v3, v69, v3 :: v_dual_max_f32 v2, v2, v49
	ds_bpermute_b32 v49, v71, v3
	ds_bpermute_b32 v69, v71, v2
	s_waitcnt lgkmcnt(1)
	v_max_f32_e32 v49, v49, v49
	s_waitcnt lgkmcnt(0)
	v_max_f32_e32 v69, v69, v69
	s_delay_alu instid0(VALU_DEP_2) | instskip(NEXT) | instid1(VALU_DEP_2)
	v_max_f32_e32 v3, v3, v49
	v_max_f32_e32 v49, v2, v69
	ds_bpermute_b32 v2, v72, v3
	ds_bpermute_b32 v69, v72, v49
	s_waitcnt lgkmcnt(0)
	v_dual_max_f32 v2, v2, v2 :: v_dual_max_f32 v69, v69, v69
	s_delay_alu instid0(VALU_DEP_1) | instskip(NEXT) | instid1(VALU_DEP_1)
	v_max_f32_e32 v2, v3, v2
	v_sub_f32_e32 v68, v68, v2
	s_delay_alu instid0(VALU_DEP_1) | instskip(SKIP_2) | instid1(VALU_DEP_3)
	v_mul_f32_e32 v71, 0x3fb8aa3b, v68
	v_cmp_ngt_f32_e64 s2, 0xc2ce8ed0, v68
	v_cmp_nlt_f32_e64 s6, 0x42b17218, v68
	v_fma_f32 v77, 0x3fb8aa3b, v68, -v71
	v_rndne_f32_e32 v78, v71
	v_max_f32_e32 v3, v49, v69
	s_delay_alu instid0(VALU_DEP_2) | instskip(NEXT) | instid1(VALU_DEP_2)
	v_dual_fmac_f32 v77, 0x32a5705f, v68 :: v_dual_sub_f32 v68, v71, v78
	v_sub_f32_e32 v66, v66, v3
	v_sub_f32_e32 v49, v70, v2
	v_cvt_i32_f32_e32 v71, v78
	s_delay_alu instid0(VALU_DEP_4) | instskip(NEXT) | instid1(VALU_DEP_4)
	v_add_f32_e32 v68, v68, v77
	v_mul_f32_e32 v70, 0x3fb8aa3b, v66
	v_cmp_ngt_f32_e32 vcc_lo, 0xc2ce8ed0, v66
	v_cmp_nlt_f32_e64 s8, 0x42b17218, v66
	v_cmp_ngt_f32_e64 s4, 0xc2ce8ed0, v49
	v_cmp_nlt_f32_e64 s5, 0x42b17218, v49
	v_fma_f32 v75, 0x3fb8aa3b, v66, -v70
	v_rndne_f32_e32 v76, v70
	v_exp_f32_e32 v68, v68
	s_delay_alu instid0(VALU_DEP_1) | instskip(SKIP_2) | instid1(VALU_DEP_3)
	v_dual_fmac_f32 v75, 0x32a5705f, v66 :: v_dual_sub_f32 v66, v70, v76
	v_mul_f32_e32 v69, 0x3fb8aa3b, v49
	v_cvt_i32_f32_e32 v70, v76
	v_add_f32_e32 v66, v66, v75
	s_delay_alu instid0(VALU_DEP_3) | instskip(SKIP_1) | instid1(TRANS32_DEP_1)
	v_fma_f32 v73, 0x3fb8aa3b, v49, -v69
	v_rndne_f32_e32 v74, v69
	v_ldexp_f32 v68, v68, v71
	s_delay_alu instid0(VALU_DEP_4) | instskip(NEXT) | instid1(VALU_DEP_3)
	v_exp_f32_e32 v66, v66
	v_fmac_f32_e32 v73, 0x32a5705f, v49
	s_delay_alu instid0(VALU_DEP_3) | instskip(SKIP_2) | instid1(VALU_DEP_3)
	v_sub_f32_e32 v49, v69, v74
	v_cvt_i32_f32_e32 v69, v74
	v_cndmask_b32_e64 v68, 0, v68, s2
	v_add_f32_e32 v49, v49, v73
	s_delay_alu instid0(VALU_DEP_2) | instskip(NEXT) | instid1(TRANS32_DEP_1)
	v_cndmask_b32_e64 v108, 0x7f800000, v68, s6
	v_ldexp_f32 v66, v66, v70
	v_sub_f32_e32 v67, v67, v3
	s_delay_alu instid0(VALU_DEP_4) | instskip(NEXT) | instid1(VALU_DEP_2)
	v_exp_f32_e32 v49, v49
	v_cndmask_b32_e32 v66, 0, v66, vcc_lo
	s_delay_alu instid0(VALU_DEP_2) | instskip(SKIP_2) | instid1(VALU_DEP_4)
	v_mul_f32_e32 v72, 0x3fb8aa3b, v67
	v_cmp_ngt_f32_e64 s3, 0xc2ce8ed0, v67
	v_cmp_nlt_f32_e64 s7, 0x42b17218, v67
	v_cndmask_b32_e64 v107, 0x7f800000, v66, s8
	s_delay_alu instid0(VALU_DEP_4) | instskip(SKIP_1) | instid1(TRANS32_DEP_1)
	v_fma_f32 v79, 0x3fb8aa3b, v67, -v72
	v_rndne_f32_e32 v80, v72
	v_ldexp_f32 v49, v49, v69
	v_cvt_f16_f32_e32 v66, v108
	s_delay_alu instid0(VALU_DEP_4) | instskip(NEXT) | instid1(VALU_DEP_4)
	v_fmac_f32_e32 v79, 0x32a5705f, v67
	v_sub_f32_e32 v67, v72, v80
	v_cvt_i32_f32_e32 v72, v80
	v_cndmask_b32_e64 v49, 0, v49, s4
	s_delay_alu instid0(VALU_DEP_3) | instskip(NEXT) | instid1(VALU_DEP_2)
	v_add_f32_e32 v67, v67, v79
	v_cndmask_b32_e64 v109, 0x7f800000, v49, s5
	v_cvt_f16_f32_e32 v49, v107
	s_delay_alu instid0(VALU_DEP_3) | instskip(NEXT) | instid1(VALU_DEP_2)
	v_exp_f32_e32 v67, v67
	v_cvt_f16_f32_e32 v73, v109
	s_delay_alu instid0(VALU_DEP_2)
	v_pack_b32_f16 v49, v66, v49
	ds_store_b32 v45, v49
	s_waitcnt vmcnt(3)
	ds_store_b128 v39, v[50:53]
	s_waitcnt vmcnt(2)
	ds_store_b128 v41, v[54:57]
	s_waitcnt vmcnt(1)
	ds_store_b128 v42, v[58:61]
	s_waitcnt vmcnt(0)
	ds_store_b128 v43, v[62:65]
	s_waitcnt lgkmcnt(0)
	v_ldexp_f32 v67, v67, v72
	s_barrier
	buffer_gl0_inv
	v_fma_f32 v33, v33, v109, v108
	v_cndmask_b32_e64 v67, 0, v67, s3
	s_delay_alu instid0(VALU_DEP_1)
	v_cndmask_b32_e64 v110, 0x7f800000, v67, s7
	ds_load_2addr_b32 v[76:77], v23 offset1:32
	ds_load_b128 v[49:52], v40
	ds_load_b128 v[53:56], v40 offset:16
	ds_load_b128 v[57:60], v40 offset:32
	;; [unrolled: 1-line block ×3, first 2 shown]
	ds_load_2addr_b32 v[78:79], v23 offset0:64 offset1:96
	ds_load_2addr_b32 v[80:81], v23 offset0:128 offset1:160
	;; [unrolled: 1-line block ×3, first 2 shown]
	ds_load_2addr_b32 v[84:85], v46 offset1:32
	ds_load_2addr_b32 v[86:87], v46 offset0:64 offset1:96
	ds_load_2addr_b32 v[88:89], v46 offset0:128 offset1:160
	;; [unrolled: 1-line block ×3, first 2 shown]
	ds_load_2addr_b32 v[92:93], v47 offset1:32
	ds_load_2addr_b32 v[94:95], v47 offset0:64 offset1:96
	ds_load_2addr_b32 v[96:97], v47 offset0:128 offset1:160
	ds_load_b128 v[65:68], v40 offset:64
	ds_load_b128 v[69:72], v40 offset:80
	ds_load_2addr_b32 v[98:99], v47 offset0:192 offset1:224
	ds_load_2addr_b32 v[100:101], v48 offset1:32
	ds_load_2addr_b32 v[102:103], v48 offset0:64 offset1:96
	ds_load_2addr_b32 v[104:105], v48 offset0:128 offset1:160
	s_waitcnt lgkmcnt(19)
	v_pk_mul_f16 v75, v76, v49 op_sel_hi:[1,0]
	v_pk_mul_f16 v49, v76, v49 op_sel:[0,1]
	v_cvt_f16_f32_e32 v74, v110
	s_delay_alu instid0(VALU_DEP_3) | instskip(NEXT) | instid1(VALU_DEP_2)
	v_pk_fma_f16 v24, v73, v24, v75 op_sel_hi:[0,1,1]
	v_pk_fma_f16 v22, v22, v74, v49 op_sel_hi:[1,0,1]
	ds_load_b128 v[73:76], v40 offset:96
	v_pk_fma_f16 v24, v77, v50, v24 op_sel_hi:[1,0,1]
	v_pk_fma_f16 v22, v77, v50, v22 op_sel:[0,1,0]
	s_waitcnt lgkmcnt(16)
	s_delay_alu instid0(VALU_DEP_2) | instskip(NEXT) | instid1(VALU_DEP_2)
	v_pk_fma_f16 v24, v78, v51, v24 op_sel_hi:[1,0,1]
	v_pk_fma_f16 v22, v78, v51, v22 op_sel:[0,1,0]
	s_delay_alu instid0(VALU_DEP_2) | instskip(NEXT) | instid1(VALU_DEP_2)
	v_pk_fma_f16 v24, v79, v52, v24 op_sel_hi:[1,0,1]
	v_pk_fma_f16 v22, v79, v52, v22 op_sel:[0,1,0]
	ds_load_b128 v[49:52], v40 offset:112
	ds_load_2addr_b32 v[77:78], v48 offset0:192 offset1:224
	s_waitcnt lgkmcnt(17)
	v_pk_fma_f16 v24, v80, v53, v24 op_sel_hi:[1,0,1]
	s_waitcnt lgkmcnt(0)
	s_barrier
	v_pk_fma_f16 v22, v80, v53, v22 op_sel:[0,1,0]
	buffer_gl0_inv
	v_pk_fma_f16 v24, v81, v54, v24 op_sel_hi:[1,0,1]
	s_load_b32 s2, s[12:13], 0x4
	v_pk_fma_f16 v22, v81, v54, v22 op_sel:[0,1,0]
	s_delay_alu instid0(VALU_DEP_2) | instskip(NEXT) | instid1(VALU_DEP_2)
	v_pk_fma_f16 v24, v82, v55, v24 op_sel_hi:[1,0,1]
	v_pk_fma_f16 v22, v82, v55, v22 op_sel:[0,1,0]
	s_delay_alu instid0(VALU_DEP_2) | instskip(NEXT) | instid1(VALU_DEP_2)
	v_pk_fma_f16 v24, v83, v56, v24 op_sel_hi:[1,0,1]
	;; [unrolled: 3-line block ×3, first 2 shown]
	v_pk_fma_f16 v22, v84, v57, v22 op_sel:[0,1,0]
	s_delay_alu instid0(VALU_DEP_2) | instskip(SKIP_2) | instid1(VALU_DEP_2)
	v_pk_fma_f16 v24, v85, v58, v24 op_sel_hi:[1,0,1]
	s_waitcnt lgkmcnt(0)
	s_lshl_b32 s2, s2, 5
	v_pk_fma_f16 v22, v85, v58, v22 op_sel:[0,1,0]
	s_add_i32 s9, s2, s9
	v_pk_fma_f16 v24, v86, v59, v24 op_sel_hi:[1,0,1]
	s_cmp_ge_i32 s9, s34
	s_delay_alu instid0(VALU_DEP_2) | instskip(NEXT) | instid1(VALU_DEP_2)
	v_pk_fma_f16 v22, v86, v59, v22 op_sel:[0,1,0]
	v_pk_fma_f16 v24, v87, v60, v24 op_sel_hi:[1,0,1]
	s_delay_alu instid0(VALU_DEP_2) | instskip(NEXT) | instid1(VALU_DEP_2)
	v_pk_fma_f16 v22, v87, v60, v22 op_sel:[0,1,0]
	v_pk_fma_f16 v24, v88, v61, v24 op_sel_hi:[1,0,1]
	;; [unrolled: 3-line block ×18, first 2 shown]
	s_delay_alu instid0(VALU_DEP_2) | instskip(SKIP_1) | instid1(VALU_DEP_3)
	v_pk_fma_f16 v22, v104, v49, v22 op_sel:[0,1,0]
	v_mov_b32_e32 v49, v107
	v_pk_fma_f16 v24, v105, v50, v24 op_sel_hi:[1,0,1]
	s_delay_alu instid0(VALU_DEP_3) | instskip(NEXT) | instid1(VALU_DEP_3)
	v_pk_fma_f16 v22, v105, v50, v22 op_sel:[0,1,0]
	v_fmac_f32_e32 v49, v106, v110
	s_delay_alu instid0(VALU_DEP_3) | instskip(NEXT) | instid1(VALU_DEP_3)
	v_pk_fma_f16 v24, v77, v51, v24 op_sel_hi:[1,0,1]
	v_pk_fma_f16 v22, v77, v51, v22 op_sel:[0,1,0]
	s_delay_alu instid0(VALU_DEP_2) | instskip(NEXT) | instid1(VALU_DEP_2)
	v_pk_fma_f16 v24, v78, v52, v24 op_sel_hi:[1,0,1]
	v_pk_fma_f16 v22, v78, v52, v22 op_sel:[0,1,0]
	s_cbranch_scc0 .LBB30_9
; %bb.10:
	v_mov_b32_e32 v4, v25
.LBB30_11:
	v_cmp_lt_i32_e32 vcc_lo, v31, v26
	v_lshlrev_b32_e32 v10, 1, v0
	s_cmp_lg_u64 s[24:25], 0
	s_cselect_b32 s2, -1, 0
	v_cndmask_b32_e32 v5, v4, v31, vcc_lo
	v_cmp_lt_i32_e32 vcc_lo, v30, v26
	s_cmp_eq_u32 s14, 0
	s_cselect_b32 s3, -1, 0
	s_delay_alu instid0(VALU_DEP_2)
	v_lshlrev_b32_e32 v5, 2, v5
	s_and_b32 s2, s3, s2
	ds_bpermute_b32 v6, v5, v33
	s_waitcnt lgkmcnt(0)
	v_add_f32_e32 v6, v33, v6
	v_cndmask_b32_e32 v7, v4, v30, vcc_lo
	ds_bpermute_b32 v5, v5, v49
	v_cmp_lt_i32_e32 vcc_lo, v29, v26
	v_lshlrev_b32_e32 v7, 2, v7
	v_cndmask_b32_e32 v9, v4, v29, vcc_lo
	v_cmp_lt_i32_e32 vcc_lo, v28, v26
	ds_bpermute_b32 v8, v7, v6
	s_waitcnt lgkmcnt(0)
	v_dual_add_f32 v6, v6, v8 :: v_dual_lshlrev_b32 v9, 2, v9
	v_add_f32_e32 v5, v49, v5
	ds_bpermute_b32 v7, v7, v5
	s_waitcnt lgkmcnt(0)
	v_add_f32_e32 v5, v5, v7
	ds_bpermute_b32 v7, v9, v6
	ds_bpermute_b32 v8, v9, v5
	s_waitcnt lgkmcnt(1)
	v_dual_add_f32 v6, v6, v7 :: v_dual_cndmask_b32 v9, v4, v28
	v_cmp_lt_i32_e32 vcc_lo, v27, v26
	s_waitcnt lgkmcnt(0)
	v_add_f32_e32 v5, v5, v8
	s_delay_alu instid0(VALU_DEP_3)
	v_dual_cndmask_b32 v4, v4, v27 :: v_dual_lshlrev_b32 v9, 2, v9
	s_and_b32 vcc_lo, exec_lo, s2
	s_mov_b32 s2, 0
	ds_bpermute_b32 v7, v9, v6
	ds_bpermute_b32 v8, v9, v5
	v_lshlrev_b32_e32 v4, 2, v4
	s_waitcnt lgkmcnt(0)
	v_dual_add_f32 v6, v6, v7 :: v_dual_add_f32 v5, v5, v8
	ds_bpermute_b32 v7, v4, v6
	ds_bpermute_b32 v8, v4, v5
	s_waitcnt lgkmcnt(0)
	v_dual_add_f32 v4, v6, v7 :: v_dual_add_f32 v5, v5, v8
	v_add_nc_u32_e32 v8, s15, v21
	s_cbranch_vccnz .LBB30_13
; %bb.12:
	s_delay_alu instid0(VALU_DEP_2) | instskip(NEXT) | instid1(VALU_DEP_3)
	v_mov_b32_e32 v7, v5
	v_dual_mov_b32 v6, v4 :: v_dual_add_nc_u32 v9, s15, v21
	s_and_not1_b32 vcc_lo, exec_lo, s2
	s_cbranch_vccz .LBB30_14
	s_branch .LBB30_15
.LBB30_13:
                                        ; implicit-def: $vgpr9
                                        ; implicit-def: $vgpr6_vgpr7
.LBB30_14:
	s_delay_alu instid0(VALU_DEP_1) | instskip(SKIP_1) | instid1(VALU_DEP_2)
	v_ashrrev_i32_e32 v9, 31, v8
	v_max_f32_e32 v12, v3, v3
	v_lshlrev_b64 v[6:7], 2, v[8:9]
	v_max_f32_e32 v9, v2, v2
	s_delay_alu instid0(VALU_DEP_2) | instskip(NEXT) | instid1(VALU_DEP_3)
	v_add_co_u32 v6, vcc_lo, s24, v6
	v_add_co_ci_u32_e32 v7, vcc_lo, s25, v7, vcc_lo
	global_load_b64 v[6:7], v[6:7], off
	s_waitcnt vmcnt(0)
	v_max_f32_e32 v13, v7, v7
	s_delay_alu instid0(VALU_DEP_1) | instskip(NEXT) | instid1(VALU_DEP_1)
	v_dual_max_f32 v11, v6, v6 :: v_dual_max_f32 v12, v12, v13
	v_max_f32_e32 v11, v9, v11
	s_delay_alu instid0(VALU_DEP_1) | instskip(SKIP_1) | instid1(VALU_DEP_1)
	v_dual_sub_f32 v7, v7, v12 :: v_dual_sub_f32 v6, v6, v11
	v_sub_f32_e32 v3, v3, v12
	v_dual_mul_f32 v13, 0x3fb8aa3b, v6 :: v_dual_mul_f32 v14, 0x3fb8aa3b, v3
	s_delay_alu instid0(VALU_DEP_1) | instskip(NEXT) | instid1(VALU_DEP_2)
	v_fma_f32 v18, 0x3fb8aa3b, v6, -v13
	v_fma_f32 v20, 0x3fb8aa3b, v3, -v14
	v_rndne_f32_e32 v21, v14
	s_delay_alu instid0(VALU_DEP_3) | instskip(SKIP_1) | instid1(VALU_DEP_4)
	v_fmac_f32_e32 v18, 0x32a5705f, v6
	v_sub_f32_e32 v2, v2, v11
	v_fmac_f32_e32 v20, 0x32a5705f, v3
	s_delay_alu instid0(VALU_DEP_4) | instskip(SKIP_4) | instid1(VALU_DEP_4)
	v_sub_f32_e32 v14, v14, v21
	v_rndne_f32_e32 v19, v13
	v_mul_f32_e32 v15, 0x3fb8aa3b, v7
	v_mul_f32_e32 v9, 0x3fb8aa3b, v2
	v_cmp_ngt_f32_e32 vcc_lo, 0xc2ce8ed0, v2
	v_dual_add_f32 v14, v14, v20 :: v_dual_sub_f32 v13, v13, v19
	s_delay_alu instid0(VALU_DEP_4) | instskip(NEXT) | instid1(VALU_DEP_4)
	v_fma_f32 v23, 0x3fb8aa3b, v7, -v15
	v_fma_f32 v16, 0x3fb8aa3b, v2, -v9
	v_rndne_f32_e32 v17, v9
	v_rndne_f32_e32 v25, v15
	v_exp_f32_e32 v14, v14
	s_delay_alu instid0(VALU_DEP_3) | instskip(NEXT) | instid1(VALU_DEP_3)
	v_dual_fmac_f32 v23, 0x32a5705f, v7 :: v_dual_fmac_f32 v16, 0x32a5705f, v2
	v_sub_f32_e32 v9, v9, v17
	s_delay_alu instid0(VALU_DEP_3) | instskip(NEXT) | instid1(VALU_DEP_2)
	v_sub_f32_e32 v15, v15, v25
	v_add_f32_e32 v9, v9, v16
	v_cvt_i32_f32_e32 v16, v17
	v_cvt_i32_f32_e32 v17, v19
	;; [unrolled: 1-line block ×3, first 2 shown]
	v_add_f32_e32 v15, v15, v23
	v_exp_f32_e32 v9, v9
	s_delay_alu instid0(VALU_DEP_1) | instskip(SKIP_3) | instid1(VALU_DEP_2)
	v_exp_f32_e32 v15, v15
	s_waitcnt_depctr 0xfff
	v_ldexp_f32 v9, v9, v16
	v_ldexp_f32 v15, v15, v19
	v_cndmask_b32_e32 v9, 0, v9, vcc_lo
	v_add_f32_e32 v13, v13, v18
	v_cvt_i32_f32_e32 v18, v21
	v_cmp_ngt_f32_e32 vcc_lo, 0xc2ce8ed0, v6
	s_delay_alu instid0(VALU_DEP_3) | instskip(NEXT) | instid1(VALU_DEP_2)
	v_exp_f32_e32 v13, v13
	v_ldexp_f32 v14, v14, v18
	s_waitcnt_depctr 0xfff
	v_ldexp_f32 v13, v13, v17
	s_delay_alu instid0(VALU_DEP_1)
	v_cndmask_b32_e32 v13, 0, v13, vcc_lo
	v_cmp_ngt_f32_e32 vcc_lo, 0xc2ce8ed0, v3
	v_cndmask_b32_e32 v14, 0, v14, vcc_lo
	v_cmp_ngt_f32_e32 vcc_lo, 0xc2ce8ed0, v7
	v_cndmask_b32_e32 v15, 0, v15, vcc_lo
	v_cmp_nlt_f32_e32 vcc_lo, 0x42b17218, v2
	v_cndmask_b32_e32 v2, 0x7f800000, v9, vcc_lo
	v_cmp_nlt_f32_e32 vcc_lo, 0x42b17218, v6
	v_mov_b32_e32 v9, v8
	s_delay_alu instid0(VALU_DEP_3) | instskip(SKIP_2) | instid1(VALU_DEP_3)
	v_cvt_f16_f32_e32 v8, v2
	v_cndmask_b32_e32 v6, 0x7f800000, v13, vcc_lo
	v_cmp_nlt_f32_e32 vcc_lo, 0x42b17218, v3
	v_pk_mul_f16 v24, v24, v8 op_sel_hi:[1,0]
	s_delay_alu instid0(VALU_DEP_3) | instskip(SKIP_2) | instid1(VALU_DEP_3)
	v_fmac_f32_e32 v6, v4, v2
	v_cndmask_b32_e32 v3, 0x7f800000, v14, vcc_lo
	v_cmp_nlt_f32_e32 vcc_lo, 0x42b17218, v7
	v_mov_b32_e32 v4, v6
	s_delay_alu instid0(VALU_DEP_3) | instskip(SKIP_1) | instid1(VALU_DEP_2)
	v_cvt_f16_f32_e32 v13, v3
	v_cndmask_b32_e32 v7, 0x7f800000, v15, vcc_lo
	v_pk_mul_f16 v22, v22, v13 op_sel_hi:[1,0]
	s_delay_alu instid0(VALU_DEP_2) | instskip(SKIP_1) | instid1(VALU_DEP_2)
	v_dual_fmac_f32 v7, v5, v3 :: v_dual_mov_b32 v2, v11
	v_mov_b32_e32 v3, v12
	v_mov_b32_e32 v5, v7
.LBB30_15:
	s_load_b32 s1, s[0:1], 0xd4
	v_mov_b32_e32 v11, 1.0
	s_waitcnt lgkmcnt(0)
	s_cmp_lg_u32 s1, 1
	s_cselect_b32 s3, -1, 0
	s_cmp_eq_u32 s1, 1
	s_cselect_b32 s2, -1, 0
	s_and_b32 vcc_lo, exec_lo, s3
	s_cbranch_vccnz .LBB30_17
; %bb.16:
	v_div_scale_f32 v8, null, v4, v4, 1.0
	s_delay_alu instid0(VALU_DEP_1) | instskip(SKIP_2) | instid1(VALU_DEP_1)
	v_rcp_f32_e32 v11, v8
	s_waitcnt_depctr 0xfff
	v_fma_f32 v12, -v8, v11, 1.0
	v_fmac_f32_e32 v11, v12, v11
	v_div_scale_f32 v12, vcc_lo, 1.0, v4, 1.0
	s_delay_alu instid0(VALU_DEP_1) | instskip(NEXT) | instid1(VALU_DEP_1)
	v_mul_f32_e32 v13, v12, v11
	v_fma_f32 v14, -v8, v13, v12
	s_delay_alu instid0(VALU_DEP_1) | instskip(NEXT) | instid1(VALU_DEP_1)
	v_fmac_f32_e32 v13, v14, v11
	v_fma_f32 v8, -v8, v13, v12
	s_delay_alu instid0(VALU_DEP_1) | instskip(NEXT) | instid1(VALU_DEP_1)
	v_div_fmas_f32 v8, v8, v11, v13
	v_div_fixup_f32 v11, v8, v4, 1.0
.LBB30_17:
	v_mad_u64_u32 v[12:13], null, s33, s10, v[1:2]
	v_cvt_f32_f16_e32 v4, v24
	v_lshrrev_b32_e32 v1, 16, v24
	v_cmp_eq_u32_e32 vcc_lo, 0, v0
	s_delay_alu instid0(VALU_DEP_3) | instskip(SKIP_1) | instid1(VALU_DEP_4)
	v_mul_f32_e32 v0, v11, v4
	v_mad_u64_u32 v[13:14], null, v12, s11, v[9:10]
	v_cvt_f32_f16_e32 v1, v1
	s_delay_alu instid0(VALU_DEP_1) | instskip(NEXT) | instid1(VALU_DEP_3)
	v_mul_f32_e32 v1, v11, v1
	v_mad_u64_u32 v[8:9], null, s1, v13, s[14:15]
	v_mov_b32_e32 v13, 0
	s_delay_alu instid0(VALU_DEP_2) | instskip(NEXT) | instid1(VALU_DEP_1)
	v_lshl_add_u32 v12, v8, 6, v10
	v_lshlrev_b64 v[12:13], 2, v[12:13]
	s_delay_alu instid0(VALU_DEP_1) | instskip(NEXT) | instid1(VALU_DEP_1)
	v_add_co_u32 v11, s0, s28, v12
	v_add_co_ci_u32_e64 v12, s0, s29, v13, s0
	s_and_b32 s0, vcc_lo, s3
	global_store_b64 v[11:12], v[0:1], off
	s_and_saveexec_b32 s3, s0
	s_cbranch_execz .LBB30_19
; %bb.18:
	v_ashrrev_i32_e32 v9, 31, v8
	v_mov_b32_e32 v11, v2
	v_mov_b32_e32 v12, v6
	s_delay_alu instid0(VALU_DEP_3) | instskip(NEXT) | instid1(VALU_DEP_1)
	v_lshlrev_b64 v[0:1], 3, v[8:9]
	v_add_co_u32 v0, vcc_lo, s30, v0
	s_delay_alu instid0(VALU_DEP_2)
	v_add_co_ci_u32_e32 v1, vcc_lo, s31, v1, vcc_lo
	global_store_b64 v[0:1], v[11:12], off
.LBB30_19:
	s_or_b32 exec_lo, exec_lo, s3
	v_mov_b32_e32 v1, 1.0
	s_and_not1_b32 vcc_lo, exec_lo, s2
	s_cbranch_vccnz .LBB30_21
; %bb.20:
	v_div_scale_f32 v0, null, v5, v5, 1.0
	s_delay_alu instid0(VALU_DEP_1) | instskip(SKIP_2) | instid1(VALU_DEP_1)
	v_rcp_f32_e32 v1, v0
	s_waitcnt_depctr 0xfff
	v_fma_f32 v2, -v0, v1, 1.0
	v_fmac_f32_e32 v1, v2, v1
	v_div_scale_f32 v2, vcc_lo, 1.0, v5, 1.0
	s_delay_alu instid0(VALU_DEP_1) | instskip(NEXT) | instid1(VALU_DEP_1)
	v_mul_f32_e32 v4, v2, v1
	v_fma_f32 v6, -v0, v4, v2
	s_delay_alu instid0(VALU_DEP_1) | instskip(NEXT) | instid1(VALU_DEP_1)
	v_fmac_f32_e32 v4, v6, v1
	v_fma_f32 v0, -v0, v4, v2
	s_delay_alu instid0(VALU_DEP_1) | instskip(NEXT) | instid1(VALU_DEP_1)
	v_div_fmas_f32 v0, v0, v1, v4
	v_div_fixup_f32 v1, v0, v5, 1.0
.LBB30_21:
	v_dual_mov_b32 v5, 0 :: v_dual_add_nc_u32 v0, s1, v8
	v_lshrrev_b32_e32 v2, 16, v22
	v_cvt_f32_f16_e32 v6, v22
	s_delay_alu instid0(VALU_DEP_3) | instskip(NEXT) | instid1(VALU_DEP_3)
	v_lshl_add_u32 v4, v0, 6, v10
	v_cvt_f32_f16_e32 v2, v2
	s_delay_alu instid0(VALU_DEP_3) | instskip(NEXT) | instid1(VALU_DEP_3)
	v_mul_f32_e32 v8, v1, v6
	v_lshlrev_b64 v[4:5], 2, v[4:5]
	s_delay_alu instid0(VALU_DEP_3) | instskip(NEXT) | instid1(VALU_DEP_2)
	v_mul_f32_e32 v9, v1, v2
	v_add_co_u32 v1, vcc_lo, s28, v4
	s_delay_alu instid0(VALU_DEP_3)
	v_add_co_ci_u32_e32 v2, vcc_lo, s29, v5, vcc_lo
	global_store_b64 v[1:2], v[8:9], off
	s_and_saveexec_b32 s1, s0
	s_cbranch_execz .LBB30_23
; %bb.22:
	v_ashrrev_i32_e32 v1, 31, v0
	v_mov_b32_e32 v6, v3
	s_delay_alu instid0(VALU_DEP_2) | instskip(NEXT) | instid1(VALU_DEP_1)
	v_lshlrev_b64 v[0:1], 3, v[0:1]
	v_add_co_u32 v0, vcc_lo, s30, v0
	s_delay_alu instid0(VALU_DEP_2)
	v_add_co_ci_u32_e32 v1, vcc_lo, s31, v1, vcc_lo
	global_store_b64 v[0:1], v[6:7], off
.LBB30_23:
	s_nop 0
	s_sendmsg sendmsg(MSG_DEALLOC_VGPRS)
	s_endpgm
	.section	.rodata,"a",@progbits
	.p2align	6, 0x0
	.amdhsa_kernel _ZL15flash_attn_tileILi64ELi64ELi1ELi4ELb0EEvPKcS1_S1_S1_S1_PKiPfP15HIP_vector_typeIfLj2EEffffjfiS5_IjLj3EEiiiiiiiiiiiliiliiiiil
		.amdhsa_group_segment_fixed_size 5376
		.amdhsa_private_segment_fixed_size 0
		.amdhsa_kernarg_size 464
		.amdhsa_user_sgpr_count 13
		.amdhsa_user_sgpr_dispatch_ptr 0
		.amdhsa_user_sgpr_queue_ptr 0
		.amdhsa_user_sgpr_kernarg_segment_ptr 1
		.amdhsa_user_sgpr_dispatch_id 0
		.amdhsa_user_sgpr_private_segment_size 0
		.amdhsa_wavefront_size32 1
		.amdhsa_uses_dynamic_stack 0
		.amdhsa_enable_private_segment 0
		.amdhsa_system_sgpr_workgroup_id_x 1
		.amdhsa_system_sgpr_workgroup_id_y 1
		.amdhsa_system_sgpr_workgroup_id_z 1
		.amdhsa_system_sgpr_workgroup_info 0
		.amdhsa_system_vgpr_workitem_id 1
		.amdhsa_next_free_vgpr 111
		.amdhsa_next_free_sgpr 40
		.amdhsa_reserve_vcc 1
		.amdhsa_float_round_mode_32 0
		.amdhsa_float_round_mode_16_64 0
		.amdhsa_float_denorm_mode_32 3
		.amdhsa_float_denorm_mode_16_64 3
		.amdhsa_dx10_clamp 1
		.amdhsa_ieee_mode 1
		.amdhsa_fp16_overflow 0
		.amdhsa_workgroup_processor_mode 1
		.amdhsa_memory_ordered 1
		.amdhsa_forward_progress 0
		.amdhsa_shared_vgpr_count 0
		.amdhsa_exception_fp_ieee_invalid_op 0
		.amdhsa_exception_fp_denorm_src 0
		.amdhsa_exception_fp_ieee_div_zero 0
		.amdhsa_exception_fp_ieee_overflow 0
		.amdhsa_exception_fp_ieee_underflow 0
		.amdhsa_exception_fp_ieee_inexact 0
		.amdhsa_exception_int_div_zero 0
	.end_amdhsa_kernel
	.section	.text._ZL15flash_attn_tileILi64ELi64ELi1ELi4ELb0EEvPKcS1_S1_S1_S1_PKiPfP15HIP_vector_typeIfLj2EEffffjfiS5_IjLj3EEiiiiiiiiiiiliiliiiiil,"axG",@progbits,_ZL15flash_attn_tileILi64ELi64ELi1ELi4ELb0EEvPKcS1_S1_S1_S1_PKiPfP15HIP_vector_typeIfLj2EEffffjfiS5_IjLj3EEiiiiiiiiiiiliiliiiiil,comdat
.Lfunc_end30:
	.size	_ZL15flash_attn_tileILi64ELi64ELi1ELi4ELb0EEvPKcS1_S1_S1_S1_PKiPfP15HIP_vector_typeIfLj2EEffffjfiS5_IjLj3EEiiiiiiiiiiiliiliiiiil, .Lfunc_end30-_ZL15flash_attn_tileILi64ELi64ELi1ELi4ELb0EEvPKcS1_S1_S1_S1_PKiPfP15HIP_vector_typeIfLj2EEffffjfiS5_IjLj3EEiiiiiiiiiiiliiliiiiil
                                        ; -- End function
	.section	.AMDGPU.csdata,"",@progbits
; Kernel info:
; codeLenInByte = 7064
; NumSgprs: 42
; NumVgprs: 111
; ScratchSize: 0
; MemoryBound: 0
; FloatMode: 240
; IeeeMode: 1
; LDSByteSize: 5376 bytes/workgroup (compile time only)
; SGPRBlocks: 5
; VGPRBlocks: 13
; NumSGPRsForWavesPerEU: 42
; NumVGPRsForWavesPerEU: 111
; Occupancy: 12
; WaveLimiterHint : 1
; COMPUTE_PGM_RSRC2:SCRATCH_EN: 0
; COMPUTE_PGM_RSRC2:USER_SGPR: 13
; COMPUTE_PGM_RSRC2:TRAP_HANDLER: 0
; COMPUTE_PGM_RSRC2:TGID_X_EN: 1
; COMPUTE_PGM_RSRC2:TGID_Y_EN: 1
; COMPUTE_PGM_RSRC2:TGID_Z_EN: 1
; COMPUTE_PGM_RSRC2:TIDIG_COMP_CNT: 1
	.section	.text._ZL33flash_attn_stream_k_fixup_uniformILi64ELi1ELi4EEvPfPK15HIP_vector_typeIfLj2EEiiiiiiS1_IjLj3EES5_S5_,"axG",@progbits,_ZL33flash_attn_stream_k_fixup_uniformILi64ELi1ELi4EEvPfPK15HIP_vector_typeIfLj2EEiiiiiiS1_IjLj3EES5_S5_,comdat
	.globl	_ZL33flash_attn_stream_k_fixup_uniformILi64ELi1ELi4EEvPfPK15HIP_vector_typeIfLj2EEiiiiiiS1_IjLj3EES5_S5_ ; -- Begin function _ZL33flash_attn_stream_k_fixup_uniformILi64ELi1ELi4EEvPfPK15HIP_vector_typeIfLj2EEiiiiiiS1_IjLj3EES5_S5_
	.p2align	8
	.type	_ZL33flash_attn_stream_k_fixup_uniformILi64ELi1ELi4EEvPfPK15HIP_vector_typeIfLj2EEiiiiiiS1_IjLj3EES5_S5_,@function
_ZL33flash_attn_stream_k_fixup_uniformILi64ELi1ELi4EEvPfPK15HIP_vector_typeIfLj2EEiiiiiiS1_IjLj3EES5_S5_: ; @_ZL33flash_attn_stream_k_fixup_uniformILi64ELi1ELi4EEvPfPK15HIP_vector_typeIfLj2EEiiiiiiS1_IjLj3EES5_S5_
; %bb.0:
	s_clause 0x1
	s_load_b256 s[4:11], s[0:1], 0x1c
	s_load_b128 s[16:19], s[0:1], 0x3c
	s_waitcnt lgkmcnt(0)
	s_mul_hi_u32 s2, s7, s13
	s_delay_alu instid0(SALU_CYCLE_1) | instskip(NEXT) | instid1(SALU_CYCLE_1)
	s_add_i32 s2, s13, s2
	s_lshr_b32 s7, s2, s8
	s_delay_alu instid0(SALU_CYCLE_1) | instskip(SKIP_2) | instid1(SALU_CYCLE_1)
	s_mul_i32 s2, s7, s9
	s_load_b64 s[8:9], s[0:1], 0x10
	s_sub_i32 s2, s13, s2
	s_mul_hi_u32 s3, s2, s10
	s_delay_alu instid0(SALU_CYCLE_1) | instskip(NEXT) | instid1(SALU_CYCLE_1)
	s_add_i32 s3, s2, s3
	s_lshr_b32 s10, s3, s11
	s_delay_alu instid0(SALU_CYCLE_1) | instskip(NEXT) | instid1(SALU_CYCLE_1)
	s_mul_i32 s3, s10, s16
	s_sub_i32 s2, s2, s3
	s_delay_alu instid0(SALU_CYCLE_1) | instskip(NEXT) | instid1(SALU_CYCLE_1)
	s_mul_hi_u32 s3, s2, s17
	s_add_i32 s3, s2, s3
	s_delay_alu instid0(SALU_CYCLE_1) | instskip(NEXT) | instid1(SALU_CYCLE_1)
	s_lshr_b32 s3, s3, s18
	s_mul_i32 s11, s3, s19
	s_lshl_b32 s12, s3, 2
	s_sub_i32 s11, s2, s11
	s_delay_alu instid0(SALU_CYCLE_1) | instskip(SKIP_4) | instid1(SALU_CYCLE_1)
	s_add_i32 s11, s11, s14
	s_waitcnt lgkmcnt(0)
	s_cmp_lt_i32 s11, s8
	s_cselect_b32 s2, -1, 0
	s_add_i32 s12, s12, s15
	s_cmp_lt_i32 s12, s5
	s_cselect_b32 s3, -1, 0
	s_delay_alu instid0(SALU_CYCLE_1) | instskip(NEXT) | instid1(SALU_CYCLE_1)
	s_and_b32 s2, s2, s3
	s_and_not1_b32 vcc_lo, exec_lo, s2
	s_cbranch_vccnz .LBB31_6
; %bb.1:
	s_mul_i32 s7, s7, s8
	s_mul_i32 s10, s10, s5
	s_add_i32 s5, s11, s7
	s_load_b128 s[0:3], s[0:1], 0x0
	s_add_i32 s7, s12, s10
	s_mul_i32 s5, s5, s9
	s_delay_alu instid0(SALU_CYCLE_1) | instskip(SKIP_3) | instid1(VALU_DEP_1)
	s_add_i32 s7, s7, s5
	s_mul_i32 s5, s13, s6
	v_lshl_or_b32 v1, s7, 6, v0
	s_add_i32 s9, s5, s6
	v_ashrrev_i32_e32 v2, 31, v1
	s_delay_alu instid0(VALU_DEP_1) | instskip(SKIP_1) | instid1(VALU_DEP_1)
	v_lshlrev_b64 v[1:2], 2, v[1:2]
	s_waitcnt lgkmcnt(0)
	v_add_co_u32 v1, vcc_lo, s0, v1
	s_delay_alu instid0(VALU_DEP_2) | instskip(SKIP_1) | instid1(SALU_CYCLE_1)
	v_add_co_ci_u32_e32 v2, vcc_lo, s1, v2, vcc_lo
	s_add_i32 s0, s14, s9
	s_lshl_b32 s0, s0, 2
	global_load_b32 v5, v[1:2], off
	s_add_i32 s0, s0, s15
	s_delay_alu instid0(SALU_CYCLE_1) | instskip(NEXT) | instid1(SALU_CYCLE_1)
	s_add_i32 s0, s0, -4
	s_ashr_i32 s1, s0, 31
	s_delay_alu instid0(SALU_CYCLE_1) | instskip(NEXT) | instid1(SALU_CYCLE_1)
	s_lshl_b64 s[0:1], s[0:1], 3
	s_add_u32 s0, s2, s0
	s_addc_u32 s1, s3, s1
	s_add_i32 s7, s9, -2
	s_load_b32 s10, s[0:1], 0x4
	s_cmp_lt_i32 s7, s5
	s_cbranch_scc1 .LBB31_4
; %bb.2:
	s_lshl_b32 s16, s4, 4
	s_load_b32 s11, s[0:1], 0x0
	s_ashr_i32 s17, s16, 31
	s_delay_alu instid0(SALU_CYCLE_1) | instskip(NEXT) | instid1(SALU_CYCLE_1)
	s_lshl_b64 s[0:1], s[16:17], 2
	s_add_u32 s7, s2, s0
	s_addc_u32 s8, s3, s1
	s_add_i32 s13, s13, 1
	s_lshl_b32 s0, s15, 6
	s_lshl_b32 s1, s14, 8
	s_mul_i32 s6, s6, s13
	s_add_i32 s0, s0, s1
	s_lshl_b32 s1, s6, 8
	s_delay_alu instid0(SALU_CYCLE_1)
	s_add_i32 s0, s0, s1
	s_add_i32 s1, s14, s4
	v_or_b32_e32 v0, s0, v0
	s_add_i32 s1, s1, s9
	s_waitcnt lgkmcnt(0)
	v_mov_b32_e32 v6, s10
	s_lshl_b32 s0, s1, 2
	s_add_i32 s4, s9, -1
	v_dual_mov_b32 v0, s11 :: v_dual_add_nc_u32 v3, 0xfffffe00, v0
	s_add_i32 s0, s15, s0
	s_delay_alu instid0(SALU_CYCLE_1)
	s_add_i32 s0, s0, -8
.LBB31_3:                               ; =>This Inner Loop Header: Depth=1
	s_delay_alu instid0(VALU_DEP_1) | instskip(SKIP_1) | instid1(SALU_CYCLE_1)
	v_ashrrev_i32_e32 v4, 31, v3
	s_ashr_i32 s1, s0, 31
	s_lshl_b64 s[10:11], s[0:1], 3
	s_delay_alu instid0(SALU_CYCLE_1) | instskip(NEXT) | instid1(VALU_DEP_1)
	s_add_u32 s10, s2, s10
	v_lshlrev_b64 v[7:8], 2, v[3:4]
	s_addc_u32 s11, s3, s11
	s_add_i32 s4, s4, -1
	s_add_i32 s0, s0, -4
	s_cmp_le_i32 s4, s5
	s_load_b64 s[10:11], s[10:11], 0x0
	v_add_co_u32 v7, vcc_lo, s7, v7
	v_add_co_ci_u32_e32 v8, vcc_lo, s8, v8, vcc_lo
	global_load_b32 v4, v[7:8], off
	v_max_f32_e32 v7, v0, v0
	s_waitcnt lgkmcnt(0)
	v_max_f32_e64 v8, s10, s10
	s_delay_alu instid0(VALU_DEP_1) | instskip(NEXT) | instid1(VALU_DEP_1)
	v_max_f32_e32 v7, v7, v8
	v_sub_f32_e32 v8, s10, v7
	s_delay_alu instid0(VALU_DEP_1) | instskip(NEXT) | instid1(VALU_DEP_1)
	v_dual_sub_f32 v0, v0, v7 :: v_dual_mul_f32 v9, 0x3fb8aa3b, v8
	v_fma_f32 v10, 0x3fb8aa3b, v8, -v9
	v_rndne_f32_e32 v11, v9
	s_delay_alu instid0(VALU_DEP_3) | instskip(NEXT) | instid1(VALU_DEP_2)
	v_mul_f32_e32 v12, 0x3fb8aa3b, v0
	v_dual_fmac_f32 v10, 0x32a5705f, v8 :: v_dual_sub_f32 v9, v9, v11
	v_cvt_i32_f32_e32 v11, v11
	s_delay_alu instid0(VALU_DEP_3) | instskip(SKIP_1) | instid1(VALU_DEP_4)
	v_fma_f32 v13, 0x3fb8aa3b, v0, -v12
	v_rndne_f32_e32 v14, v12
	v_add_f32_e32 v9, v9, v10
	v_cmp_ngt_f32_e32 vcc_lo, 0xc2ce8ed0, v8
	s_delay_alu instid0(VALU_DEP_3) | instskip(NEXT) | instid1(VALU_DEP_3)
	v_sub_f32_e32 v10, v12, v14
	v_exp_f32_e32 v9, v9
	s_waitcnt_depctr 0xfff
	v_ldexp_f32 v9, v9, v11
	v_cvt_i32_f32_e32 v11, v14
	s_delay_alu instid0(VALU_DEP_2) | instskip(SKIP_1) | instid1(VALU_DEP_2)
	v_cndmask_b32_e32 v9, 0, v9, vcc_lo
	v_cmp_nlt_f32_e32 vcc_lo, 0x42b17218, v8
	v_cndmask_b32_e32 v9, 0x7f800000, v9, vcc_lo
	v_cmp_ngt_f32_e32 vcc_lo, 0xc2ce8ed0, v0
	v_fmac_f32_e32 v13, 0x32a5705f, v0
	s_delay_alu instid0(VALU_DEP_1) | instskip(NEXT) | instid1(VALU_DEP_1)
	v_add_f32_e32 v10, v10, v13
	v_exp_f32_e32 v10, v10
	s_waitcnt_depctr 0xfff
	v_ldexp_f32 v10, v10, v11
	s_delay_alu instid0(VALU_DEP_1)
	v_dual_mov_b32 v11, v6 :: v_dual_cndmask_b32 v10, 0, v10
	v_cmp_le_f32_e32 vcc_lo, 0xc1a00000, v8
	s_waitcnt vmcnt(1)
	v_dual_cndmask_b32 v8, 0, v9 :: v_dual_mov_b32 v9, v5
	v_cmp_nlt_f32_e32 vcc_lo, 0x42b17218, v0
	v_cndmask_b32_e32 v5, 0x7f800000, v10, vcc_lo
	s_delay_alu instid0(VALU_DEP_3) | instskip(SKIP_2) | instid1(VALU_DEP_3)
	v_mul_f32_e32 v10, s11, v8
	v_cmp_le_f32_e32 vcc_lo, 0xc1a00000, v0
	v_mov_b32_e32 v0, v7
	v_mov_b32_e32 v6, v10
	s_waitcnt vmcnt(0)
	v_dual_cndmask_b32 v12, 0, v5 :: v_dual_mul_f32 v5, v4, v8
	s_delay_alu instid0(VALU_DEP_1) | instskip(NEXT) | instid1(VALU_DEP_2)
	v_dual_fmac_f32 v6, v11, v12 :: v_dual_add_nc_u32 v3, 0xffffff00, v3
	v_fmac_f32_e32 v5, v9, v12
	s_cbranch_scc0 .LBB31_3
	s_branch .LBB31_5
.LBB31_4:
	s_waitcnt lgkmcnt(0)
	v_mov_b32_e32 v6, s10
.LBB31_5:
	s_waitcnt vmcnt(0)
	s_delay_alu instid0(VALU_DEP_1) | instskip(NEXT) | instid1(VALU_DEP_1)
	v_div_scale_f32 v0, null, v6, v6, v5
	v_rcp_f32_e32 v3, v0
	s_waitcnt_depctr 0xfff
	v_fma_f32 v4, -v0, v3, 1.0
	s_delay_alu instid0(VALU_DEP_1) | instskip(SKIP_1) | instid1(VALU_DEP_1)
	v_fmac_f32_e32 v3, v4, v3
	v_div_scale_f32 v4, vcc_lo, v5, v6, v5
	v_mul_f32_e32 v7, v4, v3
	s_delay_alu instid0(VALU_DEP_1) | instskip(NEXT) | instid1(VALU_DEP_1)
	v_fma_f32 v8, -v0, v7, v4
	v_fmac_f32_e32 v7, v8, v3
	s_delay_alu instid0(VALU_DEP_1) | instskip(NEXT) | instid1(VALU_DEP_1)
	v_fma_f32 v0, -v0, v7, v4
	v_div_fmas_f32 v0, v0, v3, v7
	s_delay_alu instid0(VALU_DEP_1)
	v_div_fixup_f32 v0, v0, v6, v5
	global_store_b32 v[1:2], v0, off
.LBB31_6:
	s_nop 0
	s_sendmsg sendmsg(MSG_DEALLOC_VGPRS)
	s_endpgm
	.section	.rodata,"a",@progbits
	.p2align	6, 0x0
	.amdhsa_kernel _ZL33flash_attn_stream_k_fixup_uniformILi64ELi1ELi4EEvPfPK15HIP_vector_typeIfLj2EEiiiiiiS1_IjLj3EES5_S5_
		.amdhsa_group_segment_fixed_size 0
		.amdhsa_private_segment_fixed_size 0
		.amdhsa_kernarg_size 76
		.amdhsa_user_sgpr_count 13
		.amdhsa_user_sgpr_dispatch_ptr 0
		.amdhsa_user_sgpr_queue_ptr 0
		.amdhsa_user_sgpr_kernarg_segment_ptr 1
		.amdhsa_user_sgpr_dispatch_id 0
		.amdhsa_user_sgpr_private_segment_size 0
		.amdhsa_wavefront_size32 1
		.amdhsa_uses_dynamic_stack 0
		.amdhsa_enable_private_segment 0
		.amdhsa_system_sgpr_workgroup_id_x 1
		.amdhsa_system_sgpr_workgroup_id_y 1
		.amdhsa_system_sgpr_workgroup_id_z 1
		.amdhsa_system_sgpr_workgroup_info 0
		.amdhsa_system_vgpr_workitem_id 0
		.amdhsa_next_free_vgpr 15
		.amdhsa_next_free_sgpr 20
		.amdhsa_reserve_vcc 1
		.amdhsa_float_round_mode_32 0
		.amdhsa_float_round_mode_16_64 0
		.amdhsa_float_denorm_mode_32 3
		.amdhsa_float_denorm_mode_16_64 3
		.amdhsa_dx10_clamp 1
		.amdhsa_ieee_mode 1
		.amdhsa_fp16_overflow 0
		.amdhsa_workgroup_processor_mode 1
		.amdhsa_memory_ordered 1
		.amdhsa_forward_progress 0
		.amdhsa_shared_vgpr_count 0
		.amdhsa_exception_fp_ieee_invalid_op 0
		.amdhsa_exception_fp_denorm_src 0
		.amdhsa_exception_fp_ieee_div_zero 0
		.amdhsa_exception_fp_ieee_overflow 0
		.amdhsa_exception_fp_ieee_underflow 0
		.amdhsa_exception_fp_ieee_inexact 0
		.amdhsa_exception_int_div_zero 0
	.end_amdhsa_kernel
	.section	.text._ZL33flash_attn_stream_k_fixup_uniformILi64ELi1ELi4EEvPfPK15HIP_vector_typeIfLj2EEiiiiiiS1_IjLj3EES5_S5_,"axG",@progbits,_ZL33flash_attn_stream_k_fixup_uniformILi64ELi1ELi4EEvPfPK15HIP_vector_typeIfLj2EEiiiiiiS1_IjLj3EES5_S5_,comdat
.Lfunc_end31:
	.size	_ZL33flash_attn_stream_k_fixup_uniformILi64ELi1ELi4EEvPfPK15HIP_vector_typeIfLj2EEiiiiiiS1_IjLj3EES5_S5_, .Lfunc_end31-_ZL33flash_attn_stream_k_fixup_uniformILi64ELi1ELi4EEvPfPK15HIP_vector_typeIfLj2EEiiiiiiS1_IjLj3EES5_S5_
                                        ; -- End function
	.section	.AMDGPU.csdata,"",@progbits
; Kernel info:
; codeLenInByte = 968
; NumSgprs: 22
; NumVgprs: 15
; ScratchSize: 0
; MemoryBound: 0
; FloatMode: 240
; IeeeMode: 1
; LDSByteSize: 0 bytes/workgroup (compile time only)
; SGPRBlocks: 2
; VGPRBlocks: 1
; NumSGPRsForWavesPerEU: 22
; NumVGPRsForWavesPerEU: 15
; Occupancy: 16
; WaveLimiterHint : 0
; COMPUTE_PGM_RSRC2:SCRATCH_EN: 0
; COMPUTE_PGM_RSRC2:USER_SGPR: 13
; COMPUTE_PGM_RSRC2:TRAP_HANDLER: 0
; COMPUTE_PGM_RSRC2:TGID_X_EN: 1
; COMPUTE_PGM_RSRC2:TGID_Y_EN: 1
; COMPUTE_PGM_RSRC2:TGID_Z_EN: 1
; COMPUTE_PGM_RSRC2:TIDIG_COMP_CNT: 0
	.section	.text._ZL33flash_attn_stream_k_fixup_generalILi64ELi1ELi4EEvPfPK15HIP_vector_typeIfLj2EEiiiiS1_IjLj3EES5_S5_S5_,"axG",@progbits,_ZL33flash_attn_stream_k_fixup_generalILi64ELi1ELi4EEvPfPK15HIP_vector_typeIfLj2EEiiiiS1_IjLj3EES5_S5_S5_,comdat
	.globl	_ZL33flash_attn_stream_k_fixup_generalILi64ELi1ELi4EEvPfPK15HIP_vector_typeIfLj2EEiiiiS1_IjLj3EES5_S5_S5_ ; -- Begin function _ZL33flash_attn_stream_k_fixup_generalILi64ELi1ELi4EEvPfPK15HIP_vector_typeIfLj2EEiiiiS1_IjLj3EES5_S5_S5_
	.p2align	8
	.type	_ZL33flash_attn_stream_k_fixup_generalILi64ELi1ELi4EEvPfPK15HIP_vector_typeIfLj2EEiiiiS1_IjLj3EES5_S5_S5_,@function
_ZL33flash_attn_stream_k_fixup_generalILi64ELi1ELi4EEvPfPK15HIP_vector_typeIfLj2EEiiiiS1_IjLj3EES5_S5_S5_: ; @_ZL33flash_attn_stream_k_fixup_generalILi64ELi1ELi4EEvPfPK15HIP_vector_typeIfLj2EEiiiiS1_IjLj3EES5_S5_S5_
; %bb.0:
	s_clause 0x1
	s_load_b128 s[4:7], s[0:1], 0x10
	s_load_b32 s20, s[0:1], 0x50
	s_mov_b32 s2, 0
	s_waitcnt lgkmcnt(0)
	s_mul_hi_i32 s3, s7, s13
	s_mul_i32 s12, s7, s13
	s_cmp_lg_u64 s[2:3], 0
	s_cbranch_scc0 .LBB32_21
; %bb.1:
	v_cvt_f32_ubyte0_e32 v1, 0
	v_cvt_f32_u32_e32 v2, s20
	s_sub_u32 s10, 0, s20
	s_subb_u32 s11, 0, 0
	s_delay_alu instid0(VALU_DEP_1) | instskip(NEXT) | instid1(VALU_DEP_1)
	v_fmamk_f32 v1, v1, 0x4f800000, v2
	v_rcp_f32_e32 v1, v1
	s_waitcnt_depctr 0xfff
	v_mul_f32_e32 v1, 0x5f7ffffc, v1
	s_delay_alu instid0(VALU_DEP_1) | instskip(NEXT) | instid1(VALU_DEP_1)
	v_mul_f32_e32 v2, 0x2f800000, v1
	v_trunc_f32_e32 v2, v2
	s_delay_alu instid0(VALU_DEP_1) | instskip(SKIP_1) | instid1(VALU_DEP_2)
	v_fmamk_f32 v1, v2, 0xcf800000, v1
	v_cvt_u32_f32_e32 v2, v2
	v_cvt_u32_f32_e32 v1, v1
	s_delay_alu instid0(VALU_DEP_2) | instskip(NEXT) | instid1(VALU_DEP_2)
	v_readfirstlane_b32 s8, v2
	v_readfirstlane_b32 s9, v1
	s_delay_alu instid0(VALU_DEP_2) | instskip(NEXT) | instid1(VALU_DEP_1)
	s_mul_i32 s16, s10, s8
	s_mul_hi_u32 s18, s10, s9
	s_mul_i32 s17, s11, s9
	s_add_i32 s16, s18, s16
	s_mul_i32 s19, s10, s9
	s_add_i32 s16, s16, s17
	s_mul_hi_u32 s18, s9, s19
	s_mul_hi_u32 s21, s8, s19
	s_mul_i32 s17, s8, s19
	s_mul_hi_u32 s19, s9, s16
	s_mul_i32 s9, s9, s16
	s_mul_hi_u32 s22, s8, s16
	s_add_u32 s9, s18, s9
	s_addc_u32 s18, 0, s19
	s_add_u32 s9, s9, s17
	s_mul_i32 s16, s8, s16
	s_addc_u32 s9, s18, s21
	s_addc_u32 s17, s22, 0
	s_add_u32 s9, s9, s16
	s_addc_u32 s16, 0, s17
	v_add_co_u32 v1, s9, v1, s9
	s_delay_alu instid0(VALU_DEP_1) | instskip(SKIP_1) | instid1(VALU_DEP_1)
	s_cmp_lg_u32 s9, 0
	s_addc_u32 s8, s8, s16
	v_readfirstlane_b32 s9, v1
	s_mul_i32 s16, s10, s8
	s_delay_alu instid0(VALU_DEP_1)
	s_mul_hi_u32 s17, s10, s9
	s_mul_i32 s11, s11, s9
	s_add_i32 s16, s17, s16
	s_mul_i32 s10, s10, s9
	s_add_i32 s16, s16, s11
	s_mul_hi_u32 s17, s8, s10
	s_mul_i32 s18, s8, s10
	s_mul_hi_u32 s10, s9, s10
	s_mul_hi_u32 s19, s9, s16
	s_mul_i32 s9, s9, s16
	s_mul_hi_u32 s11, s8, s16
	s_add_u32 s9, s10, s9
	s_addc_u32 s10, 0, s19
	s_add_u32 s9, s9, s18
	s_mul_i32 s16, s8, s16
	s_addc_u32 s9, s10, s17
	s_addc_u32 s10, s11, 0
	s_add_u32 s9, s9, s16
	s_addc_u32 s10, 0, s10
	v_add_co_u32 v1, s9, v1, s9
	s_delay_alu instid0(VALU_DEP_1) | instskip(SKIP_2) | instid1(SALU_CYCLE_1)
	s_cmp_lg_u32 s9, 0
	s_addc_u32 s16, s8, s10
	s_ashr_i32 s8, s3, 31
	s_add_u32 s10, s12, s8
	s_addc_u32 s11, s3, s8
	v_readfirstlane_b32 s3, v1
	s_mov_b32 s9, s8
	s_delay_alu instid0(SALU_CYCLE_1) | instskip(NEXT) | instid1(SALU_CYCLE_1)
	s_xor_b64 s[10:11], s[10:11], s[8:9]
	s_mul_i32 s18, s10, s16
	s_delay_alu instid0(VALU_DEP_1)
	s_mul_hi_u32 s19, s10, s3
	s_mul_hi_u32 s17, s10, s16
	;; [unrolled: 1-line block ×3, first 2 shown]
	s_mul_i32 s3, s11, s3
	s_add_u32 s18, s19, s18
	s_addc_u32 s17, 0, s17
	s_mul_hi_u32 s21, s11, s16
	s_add_u32 s3, s18, s3
	s_mul_i32 s16, s11, s16
	s_addc_u32 s3, s17, s22
	s_addc_u32 s17, s21, 0
	s_add_u32 s3, s3, s16
	s_addc_u32 s16, 0, s17
	s_mul_i32 s18, s20, s3
	s_add_u32 s17, s3, 1
	v_sub_co_u32 v1, s10, s10, s18
	s_mul_hi_u32 s18, s20, s3
	s_addc_u32 s19, s16, 0
	s_mul_i32 s21, s20, s16
	s_delay_alu instid0(VALU_DEP_1)
	v_sub_co_u32 v2, s22, v1, s20
	s_add_u32 s23, s3, 2
	s_addc_u32 s24, s16, 0
	s_add_i32 s18, s18, s21
	s_cmp_lg_u32 s10, 0
	v_readfirstlane_b32 s10, v2
	s_subb_u32 s11, s11, s18
	s_cmp_lg_u32 s22, 0
	s_subb_u32 s18, s11, 0
	s_delay_alu instid0(VALU_DEP_1) | instskip(SKIP_4) | instid1(SALU_CYCLE_1)
	s_cmp_ge_u32 s10, s20
	s_cselect_b32 s10, -1, 0
	s_cmp_eq_u32 s18, 0
	v_readfirstlane_b32 s18, v1
	s_cselect_b32 s10, s10, -1
	s_cmp_lg_u32 s10, 0
	s_cselect_b32 s10, s23, s17
	s_cselect_b32 s17, s24, s19
	s_cmp_ge_u32 s18, s20
	s_cselect_b32 s18, -1, 0
	s_cmp_eq_u32 s11, 0
	s_cselect_b32 s11, s18, -1
	s_delay_alu instid0(SALU_CYCLE_1) | instskip(SKIP_2) | instid1(SALU_CYCLE_1)
	s_cmp_lg_u32 s11, 0
	s_cselect_b32 s11, s17, s16
	s_cselect_b32 s10, s10, s3
	s_xor_b64 s[10:11], s[10:11], s[8:9]
	s_delay_alu instid0(SALU_CYCLE_1)
	s_sub_u32 s16, s10, s8
	s_load_b128 s[8:11], s[0:1], 0x44
	s_and_not1_b32 vcc_lo, exec_lo, s2
	s_cbranch_vccnz .LBB32_3
.LBB32_2:
	v_cvt_f32_u32_e32 v1, s20
	s_sub_i32 s3, 0, s20
	s_delay_alu instid0(VALU_DEP_1) | instskip(SKIP_2) | instid1(VALU_DEP_1)
	v_rcp_iflag_f32_e32 v1, v1
	s_waitcnt_depctr 0xfff
	v_mul_f32_e32 v1, 0x4f7ffffe, v1
	v_cvt_u32_f32_e32 v1, v1
	s_delay_alu instid0(VALU_DEP_1) | instskip(NEXT) | instid1(VALU_DEP_1)
	v_readfirstlane_b32 s2, v1
	s_mul_i32 s3, s3, s2
	s_delay_alu instid0(SALU_CYCLE_1) | instskip(NEXT) | instid1(SALU_CYCLE_1)
	s_mul_hi_u32 s3, s2, s3
	s_add_i32 s2, s2, s3
	s_delay_alu instid0(SALU_CYCLE_1) | instskip(NEXT) | instid1(SALU_CYCLE_1)
	s_mul_hi_u32 s2, s12, s2
	s_mul_i32 s3, s2, s20
	s_waitcnt lgkmcnt(0)
	s_add_i32 s11, s2, 1
	s_sub_i32 s3, s12, s3
	s_delay_alu instid0(SALU_CYCLE_1)
	s_sub_i32 s12, s3, s20
	s_cmp_ge_u32 s3, s20
	s_cselect_b32 s2, s11, s2
	s_cselect_b32 s3, s12, s3
	s_add_i32 s11, s2, 1
	s_cmp_ge_u32 s3, s20
	s_cselect_b32 s16, s11, s2
.LBB32_3:
	s_waitcnt lgkmcnt(0)
	s_add_i32 s11, s13, 1
	s_mov_b32 s2, 0
	s_mul_hi_i32 s3, s7, s11
	s_mul_i32 s11, s7, s11
	s_cmp_lg_u64 s[2:3], 0
	s_cbranch_scc0 .LBB32_22
; %bb.4:
	v_cvt_f32_ubyte0_e32 v1, 0
	v_cvt_f32_u32_e32 v2, s20
	s_sub_u32 s18, 0, s20
	s_subb_u32 s19, 0, 0
	s_delay_alu instid0(VALU_DEP_1) | instskip(NEXT) | instid1(VALU_DEP_1)
	v_fmamk_f32 v1, v1, 0x4f800000, v2
	v_rcp_f32_e32 v1, v1
	s_waitcnt_depctr 0xfff
	v_mul_f32_e32 v1, 0x5f7ffffc, v1
	s_delay_alu instid0(VALU_DEP_1) | instskip(NEXT) | instid1(VALU_DEP_1)
	v_mul_f32_e32 v2, 0x2f800000, v1
	v_trunc_f32_e32 v2, v2
	s_delay_alu instid0(VALU_DEP_1) | instskip(SKIP_1) | instid1(VALU_DEP_2)
	v_fmamk_f32 v1, v2, 0xcf800000, v1
	v_cvt_u32_f32_e32 v2, v2
	v_cvt_u32_f32_e32 v1, v1
	s_delay_alu instid0(VALU_DEP_2) | instskip(NEXT) | instid1(VALU_DEP_2)
	v_readfirstlane_b32 s12, v2
	v_readfirstlane_b32 s17, v1
	s_delay_alu instid0(VALU_DEP_2) | instskip(NEXT) | instid1(VALU_DEP_1)
	s_mul_i32 s21, s18, s12
	s_mul_hi_u32 s23, s18, s17
	s_mul_i32 s22, s19, s17
	s_add_i32 s21, s23, s21
	s_mul_i32 s24, s18, s17
	s_add_i32 s21, s21, s22
	s_mul_hi_u32 s23, s17, s24
	s_mul_hi_u32 s25, s12, s24
	s_mul_i32 s22, s12, s24
	s_mul_hi_u32 s24, s17, s21
	s_mul_i32 s17, s17, s21
	s_mul_hi_u32 s26, s12, s21
	s_add_u32 s17, s23, s17
	s_addc_u32 s23, 0, s24
	s_add_u32 s17, s17, s22
	s_mul_i32 s21, s12, s21
	s_addc_u32 s17, s23, s25
	s_addc_u32 s22, s26, 0
	s_add_u32 s17, s17, s21
	s_addc_u32 s21, 0, s22
	v_add_co_u32 v1, s17, v1, s17
	s_delay_alu instid0(VALU_DEP_1) | instskip(SKIP_1) | instid1(VALU_DEP_1)
	s_cmp_lg_u32 s17, 0
	s_addc_u32 s12, s12, s21
	v_readfirstlane_b32 s17, v1
	s_mul_i32 s21, s18, s12
	s_delay_alu instid0(VALU_DEP_1)
	s_mul_hi_u32 s22, s18, s17
	s_mul_i32 s19, s19, s17
	s_add_i32 s21, s22, s21
	s_mul_i32 s18, s18, s17
	s_add_i32 s21, s21, s19
	s_mul_hi_u32 s22, s12, s18
	s_mul_i32 s23, s12, s18
	s_mul_hi_u32 s18, s17, s18
	s_mul_hi_u32 s24, s17, s21
	s_mul_i32 s17, s17, s21
	s_mul_hi_u32 s19, s12, s21
	s_add_u32 s17, s18, s17
	s_addc_u32 s18, 0, s24
	s_add_u32 s17, s17, s23
	s_mul_i32 s21, s12, s21
	s_addc_u32 s17, s18, s22
	s_addc_u32 s18, s19, 0
	s_add_u32 s17, s17, s21
	s_addc_u32 s18, 0, s18
	v_add_co_u32 v1, s17, v1, s17
	s_delay_alu instid0(VALU_DEP_1) | instskip(SKIP_2) | instid1(SALU_CYCLE_1)
	s_cmp_lg_u32 s17, 0
	s_addc_u32 s12, s12, s18
	s_ashr_i32 s18, s3, 31
	s_add_u32 s22, s11, s18
	s_addc_u32 s23, s3, s18
	v_readfirstlane_b32 s3, v1
	s_mov_b32 s19, s18
	s_delay_alu instid0(SALU_CYCLE_1) | instskip(NEXT) | instid1(SALU_CYCLE_1)
	s_xor_b64 s[22:23], s[22:23], s[18:19]
	s_mul_i32 s21, s22, s12
	s_delay_alu instid0(VALU_DEP_1)
	s_mul_hi_u32 s24, s22, s3
	s_mul_hi_u32 s17, s22, s12
	;; [unrolled: 1-line block ×3, first 2 shown]
	s_mul_i32 s3, s23, s3
	s_add_u32 s21, s24, s21
	s_addc_u32 s17, 0, s17
	s_mul_hi_u32 s25, s23, s12
	s_add_u32 s3, s21, s3
	s_mul_i32 s12, s23, s12
	s_addc_u32 s3, s17, s26
	s_addc_u32 s17, s25, 0
	s_add_u32 s3, s3, s12
	s_addc_u32 s12, 0, s17
	s_mul_i32 s21, s20, s3
	s_add_u32 s17, s3, 1
	v_sub_co_u32 v1, s21, s22, s21
	s_mul_hi_u32 s22, s20, s3
	s_addc_u32 s24, s12, 0
	s_mul_i32 s25, s20, s12
	s_delay_alu instid0(VALU_DEP_1)
	v_sub_co_u32 v2, s26, v1, s20
	s_add_u32 s27, s3, 2
	s_addc_u32 s28, s12, 0
	s_add_i32 s22, s22, s25
	s_cmp_lg_u32 s21, 0
	v_readfirstlane_b32 s21, v2
	s_subb_u32 s22, s23, s22
	s_cmp_lg_u32 s26, 0
	s_subb_u32 s23, s22, 0
	s_delay_alu instid0(VALU_DEP_1) | instskip(SKIP_4) | instid1(SALU_CYCLE_1)
	s_cmp_ge_u32 s21, s20
	s_cselect_b32 s21, -1, 0
	s_cmp_eq_u32 s23, 0
	v_readfirstlane_b32 s23, v1
	s_cselect_b32 s21, s21, -1
	s_cmp_lg_u32 s21, 0
	s_cselect_b32 s17, s27, s17
	s_cselect_b32 s21, s28, s24
	s_cmp_ge_u32 s23, s20
	s_cselect_b32 s23, -1, 0
	s_cmp_eq_u32 s22, 0
	s_cselect_b32 s22, s23, -1
	s_delay_alu instid0(SALU_CYCLE_1) | instskip(SKIP_2) | instid1(SALU_CYCLE_1)
	s_cmp_lg_u32 s22, 0
	s_cselect_b32 s23, s21, s12
	s_cselect_b32 s22, s17, s3
	s_xor_b64 s[22:23], s[22:23], s[18:19]
	s_delay_alu instid0(SALU_CYCLE_1)
	s_sub_u32 s18, s22, s18
	s_and_not1_b32 vcc_lo, exec_lo, s2
	s_cbranch_vccnz .LBB32_6
.LBB32_5:
	v_cvt_f32_u32_e32 v1, s20
	s_sub_i32 s3, 0, s20
	s_delay_alu instid0(VALU_DEP_1) | instskip(SKIP_2) | instid1(VALU_DEP_1)
	v_rcp_iflag_f32_e32 v1, v1
	s_waitcnt_depctr 0xfff
	v_mul_f32_e32 v1, 0x4f7ffffe, v1
	v_cvt_u32_f32_e32 v1, v1
	s_delay_alu instid0(VALU_DEP_1) | instskip(NEXT) | instid1(VALU_DEP_1)
	v_readfirstlane_b32 s2, v1
	s_mul_i32 s3, s3, s2
	s_delay_alu instid0(SALU_CYCLE_1) | instskip(NEXT) | instid1(SALU_CYCLE_1)
	s_mul_hi_u32 s3, s2, s3
	s_add_i32 s2, s2, s3
	s_delay_alu instid0(SALU_CYCLE_1) | instskip(NEXT) | instid1(SALU_CYCLE_1)
	s_mul_hi_u32 s2, s11, s2
	s_mul_i32 s3, s2, s20
	s_delay_alu instid0(SALU_CYCLE_1)
	s_sub_i32 s3, s11, s3
	s_add_i32 s11, s2, 1
	s_sub_i32 s12, s3, s20
	s_cmp_ge_u32 s3, s20
	s_cselect_b32 s2, s11, s2
	s_cselect_b32 s3, s12, s3
	s_add_i32 s11, s2, 1
	s_cmp_ge_u32 s3, s20
	s_cselect_b32 s18, s11, s2
.LBB32_6:
	s_delay_alu instid0(SALU_CYCLE_1) | instskip(SKIP_3) | instid1(SALU_CYCLE_1)
	s_cmp_eq_u32 s16, s18
	s_mul_hi_u32 s2, s16, s8
	s_cselect_b32 s3, -1, 0
	s_add_i32 s2, s2, s16
	s_lshr_b32 s11, s2, s9
	s_delay_alu instid0(SALU_CYCLE_1) | instskip(NEXT) | instid1(SALU_CYCLE_1)
	s_mul_i32 s2, s11, s10
	s_cmp_eq_u32 s2, s16
	s_mul_hi_u32 s2, s18, s8
	s_cselect_b32 s12, -1, 0
	s_add_i32 s2, s2, s18
	s_delay_alu instid0(SALU_CYCLE_1) | instskip(NEXT) | instid1(SALU_CYCLE_1)
	s_lshr_b32 s2, s2, s9
	s_cmp_eq_u32 s11, s2
	s_mul_i32 s2, s2, s10
	s_cselect_b32 s17, -1, 0
	s_cmp_lg_u32 s2, s18
	s_cselect_b32 s2, -1, 0
	s_or_b32 s3, s3, s12
	s_and_b32 s2, s17, s2
	s_delay_alu instid0(SALU_CYCLE_1) | instskip(NEXT) | instid1(SALU_CYCLE_1)
	s_or_b32 s2, s3, s2
	s_and_b32 vcc_lo, exec_lo, s2
	s_cbranch_vccnz .LBB32_24
; %bb.7:
	s_load_b256 s[24:31], s[0:1], 0x20
	s_waitcnt lgkmcnt(0)
	s_mul_hi_u32 s2, s16, s24
	s_delay_alu instid0(SALU_CYCLE_1) | instskip(NEXT) | instid1(SALU_CYCLE_1)
	s_add_i32 s2, s2, s16
	s_lshr_b32 s17, s2, s25
	s_load_b32 s2, s[0:1], 0x40
	s_mul_i32 s3, s17, s26
	s_delay_alu instid0(SALU_CYCLE_1) | instskip(NEXT) | instid1(SALU_CYCLE_1)
	s_sub_i32 s3, s16, s3
	s_mul_hi_u32 s12, s3, s27
	s_delay_alu instid0(SALU_CYCLE_1) | instskip(NEXT) | instid1(SALU_CYCLE_1)
	s_add_i32 s12, s3, s12
	s_lshr_b32 s18, s12, s28
	s_delay_alu instid0(SALU_CYCLE_1) | instskip(NEXT) | instid1(SALU_CYCLE_1)
	s_mul_i32 s12, s18, s29
	s_sub_i32 s3, s3, s12
	s_delay_alu instid0(SALU_CYCLE_1) | instskip(NEXT) | instid1(SALU_CYCLE_1)
	s_mul_hi_u32 s12, s3, s30
	s_add_i32 s12, s3, s12
	s_delay_alu instid0(SALU_CYCLE_1)
	s_lshr_b32 s12, s12, s31
	s_waitcnt lgkmcnt(0)
	s_mul_i32 s2, s12, s2
	s_lshl_b32 s21, s12, 2
	s_sub_i32 s2, s3, s2
	s_mov_b32 s12, 0
	s_mul_hi_u32 s3, s2, s8
	s_delay_alu instid0(SALU_CYCLE_1) | instskip(NEXT) | instid1(SALU_CYCLE_1)
	s_add_i32 s2, s2, s3
	s_lshr_b32 s19, s2, s9
	s_delay_alu instid0(SALU_CYCLE_1) | instskip(NEXT) | instid1(SALU_CYCLE_1)
	s_add_i32 s19, s19, s14
	s_cmp_lt_i32 s19, s4
	s_cselect_b32 s2, -1, 0
	s_add_i32 s21, s21, s15
	s_delay_alu instid0(SALU_CYCLE_1) | instskip(SKIP_1) | instid1(SALU_CYCLE_1)
	s_cmp_lt_i32 s21, s6
	s_cselect_b32 s3, -1, 0
	s_and_b32 s2, s2, s3
	s_delay_alu instid0(SALU_CYCLE_1)
	s_and_not1_b32 vcc_lo, exec_lo, s2
	s_cbranch_vccnz .LBB32_24
; %bb.8:
	s_load_b128 s[0:3], s[0:1], 0x0
	s_lshl_b32 s22, s20, 4
	s_mov_b32 s23, s12
	s_mul_i32 s4, s17, s4
	s_lshl_b64 s[22:23], s[22:23], 2
	s_mul_i32 s18, s18, s6
	v_cvt_f32_ubyte0_e32 v4, 0
	v_cvt_f32_u32_e32 v5, s20
	s_waitcnt lgkmcnt(0)
	s_add_u32 s6, s2, s22
	s_addc_u32 s17, s3, s23
	s_add_i32 s4, s19, s4
	s_add_i32 s18, s21, s18
	s_mul_i32 s4, s4, s5
	s_delay_alu instid0(SALU_CYCLE_1) | instskip(NEXT) | instid1(SALU_CYCLE_1)
	s_add_i32 s18, s18, s4
	v_lshl_or_b32 v1, s18, 6, v0
	v_lshl_or_b32 v0, s15, 6, v0
	s_delay_alu instid0(VALU_DEP_2) | instskip(NEXT) | instid1(VALU_DEP_1)
	v_ashrrev_i32_e32 v2, 31, v1
	v_lshlrev_b64 v[1:2], 2, v[1:2]
	s_delay_alu instid0(VALU_DEP_1) | instskip(NEXT) | instid1(VALU_DEP_2)
	v_add_co_u32 v1, vcc_lo, s0, v1
	v_add_co_ci_u32_e32 v2, vcc_lo, s1, v2, vcc_lo
	s_add_i32 s0, s14, s13
	s_delay_alu instid0(SALU_CYCLE_1) | instskip(SKIP_2) | instid1(SALU_CYCLE_1)
	s_lshl_b32 s0, s0, 2
	global_load_b32 v3, v[1:2], off
	s_add_i32 s0, s0, s15
	s_ashr_i32 s1, s0, 31
	s_delay_alu instid0(SALU_CYCLE_1) | instskip(NEXT) | instid1(SALU_CYCLE_1)
	s_lshl_b64 s[0:1], s[0:1], 3
	s_add_u32 s0, s2, s0
	s_addc_u32 s1, s3, s1
	s_add_i32 s19, s13, -1
	s_load_b64 s[0:1], s[0:1], 0x0
	v_fmac_f32_e32 v5, 0x4f800000, v4
	s_sub_i32 s18, 0, s20
	s_waitcnt lgkmcnt(0)
	v_mov_b32_e32 v8, s0
	s_delay_alu instid0(VALU_DEP_2) | instskip(SKIP_2) | instid1(VALU_DEP_2)
	v_rcp_f32_e32 v4, v5
	v_cvt_f32_u32_e32 v5, s20
	v_mov_b32_e32 v7, s1
	v_rcp_iflag_f32_e32 v5, v5
	s_waitcnt_depctr 0xfff
	v_mul_f32_e32 v4, 0x5f7ffffc, v4
	s_delay_alu instid0(VALU_DEP_1) | instskip(SKIP_1) | instid1(VALU_DEP_2)
	v_mul_f32_e32 v6, 0x2f800000, v4
	v_mul_f32_e32 v9, 0x4f7ffffe, v5
	v_trunc_f32_e32 v6, v6
	s_delay_alu instid0(VALU_DEP_1) | instskip(SKIP_1) | instid1(VALU_DEP_4)
	v_fmac_f32_e32 v4, 0xcf800000, v6
	v_cvt_u32_f32_e32 v5, v6
	v_cvt_u32_f32_e32 v6, v9
	s_delay_alu instid0(VALU_DEP_3)
	v_cvt_u32_f32_e32 v4, v4
.LBB32_9:                               ; =>This Inner Loop Header: Depth=1
	s_mul_hi_i32 s13, s19, s7
	s_mul_i32 s4, s19, s7
	s_cmp_lg_u64 s[12:13], 0
	s_mov_b32 s5, -1
                                        ; implicit-def: $sgpr0_sgpr1
	s_cbranch_scc0 .LBB32_11
; %bb.10:                               ;   in Loop: Header=BB32_9 Depth=1
	v_readfirstlane_b32 s0, v4
	v_readfirstlane_b32 s1, v5
	s_sub_u32 s5, 0, s20
	s_subb_u32 s21, 0, 0
	s_delay_alu instid0(VALU_DEP_2) | instskip(NEXT) | instid1(VALU_DEP_1)
	s_mul_hi_u32 s22, s5, s0
	s_mul_i32 s23, s5, s1
	s_mul_i32 s24, s21, s0
	s_add_i32 s22, s22, s23
	s_mul_i32 s23, s5, s0
	s_add_i32 s22, s22, s24
	s_mul_hi_u32 s24, s0, s23
	s_mul_i32 s25, s0, s22
	s_mul_hi_u32 s0, s0, s22
	s_add_u32 s24, s24, s25
	s_mul_i32 s26, s1, s23
	s_addc_u32 s0, 0, s0
	s_mul_hi_u32 s23, s1, s23
	s_mul_hi_u32 s25, s1, s22
	s_add_u32 s24, s24, s26
	s_addc_u32 s0, s0, s23
	s_mul_i32 s22, s1, s22
	s_addc_u32 s23, s25, 0
	s_add_u32 s0, s0, s22
	s_addc_u32 s22, 0, s23
	v_add_co_u32 v9, s0, v4, s0
	s_delay_alu instid0(VALU_DEP_1) | instskip(SKIP_1) | instid1(VALU_DEP_1)
	s_cmp_lg_u32 s0, 0
	s_addc_u32 s1, s1, s22
	v_readfirstlane_b32 s0, v9
	s_mul_i32 s22, s5, s1
	s_delay_alu instid0(VALU_DEP_1)
	s_mul_hi_u32 s23, s5, s0
	s_mul_i32 s21, s21, s0
	s_add_i32 s22, s23, s22
	s_mul_i32 s5, s5, s0
	s_add_i32 s22, s22, s21
	s_mul_hi_u32 s21, s1, s5
	s_mul_i32 s24, s1, s5
	s_mul_i32 s25, s0, s22
	s_mul_hi_u32 s5, s0, s5
	s_mul_hi_u32 s0, s0, s22
	s_add_u32 s5, s5, s25
	s_addc_u32 s0, 0, s0
	s_mul_hi_u32 s23, s1, s22
	s_add_u32 s5, s5, s24
	s_addc_u32 s0, s0, s21
	s_mul_i32 s5, s1, s22
	s_addc_u32 s21, s23, 0
	s_add_u32 s0, s0, s5
	s_addc_u32 s5, 0, s21
	v_add_co_u32 v9, s0, v9, s0
	s_delay_alu instid0(VALU_DEP_1) | instskip(SKIP_2) | instid1(SALU_CYCLE_1)
	s_cmp_lg_u32 s0, 0
	s_addc_u32 s5, s1, s5
	s_ashr_i32 s0, s13, 31
	s_add_u32 s22, s4, s0
	s_addc_u32 s23, s13, s0
	v_readfirstlane_b32 s13, v9
	s_mov_b32 s1, s0
	s_delay_alu instid0(SALU_CYCLE_1) | instskip(NEXT) | instid1(SALU_CYCLE_1)
	s_xor_b64 s[22:23], s[22:23], s[0:1]
	s_mul_i32 s21, s22, s5
	s_delay_alu instid0(VALU_DEP_1)
	s_mul_hi_u32 s24, s22, s13
	s_mul_hi_u32 s25, s22, s5
	s_add_u32 s21, s24, s21
	s_mul_i32 s26, s23, s13
	s_addc_u32 s24, 0, s25
	s_mul_hi_u32 s13, s23, s13
	s_mul_hi_u32 s25, s23, s5
	s_add_u32 s21, s21, s26
	s_addc_u32 s13, s24, s13
	s_mul_i32 s5, s23, s5
	s_addc_u32 s21, s25, 0
	s_add_u32 s5, s13, s5
	s_addc_u32 s13, 0, s21
	s_mul_i32 s24, s20, s5
	s_add_u32 s21, s5, 1
	v_sub_co_u32 v9, s22, s22, s24
	s_addc_u32 s24, s13, 0
	s_mul_i32 s26, s20, s13
	s_mul_hi_u32 s28, s20, s5
	s_delay_alu instid0(VALU_DEP_1)
	v_sub_co_u32 v10, s27, v9, s20
	s_add_u32 s25, s5, 2
	s_addc_u32 s29, s13, 0
	s_add_i32 s28, s28, s26
	s_cmp_lg_u32 s22, 0
	v_readfirstlane_b32 s22, v10
	s_subb_u32 s23, s23, s28
	s_cmp_lg_u32 s27, 0
	s_subb_u32 s26, s23, 0
	s_delay_alu instid0(VALU_DEP_1) | instskip(SKIP_4) | instid1(SALU_CYCLE_1)
	s_cmp_ge_u32 s22, s20
	s_cselect_b32 s22, -1, 0
	s_cmp_eq_u32 s26, 0
	v_readfirstlane_b32 s26, v9
	s_cselect_b32 s22, s22, -1
	s_cmp_lg_u32 s22, 0
	s_cselect_b32 s21, s25, s21
	s_cselect_b32 s22, s29, s24
	s_cmp_ge_u32 s26, s20
	s_cselect_b32 s24, -1, 0
	s_cmp_eq_u32 s23, 0
	s_cselect_b32 s23, s24, -1
	s_delay_alu instid0(SALU_CYCLE_1) | instskip(SKIP_4) | instid1(SALU_CYCLE_1)
	s_cmp_lg_u32 s23, 0
	s_cselect_b32 s23, s22, s13
	s_cselect_b32 s22, s21, s5
	s_mov_b32 s5, 0
	s_xor_b64 s[22:23], s[22:23], s[0:1]
	s_sub_u32 s0, s22, s0
.LBB32_11:                              ;   in Loop: Header=BB32_9 Depth=1
	s_and_not1_b32 vcc_lo, exec_lo, s5
	s_cbranch_vccnz .LBB32_13
; %bb.12:                               ;   in Loop: Header=BB32_9 Depth=1
	v_readfirstlane_b32 s0, v6
	s_delay_alu instid0(VALU_DEP_1) | instskip(NEXT) | instid1(SALU_CYCLE_1)
	s_mul_i32 s1, s18, s0
	s_mul_hi_u32 s1, s0, s1
	s_delay_alu instid0(SALU_CYCLE_1) | instskip(NEXT) | instid1(SALU_CYCLE_1)
	s_add_i32 s0, s0, s1
	s_mul_hi_u32 s0, s4, s0
	s_delay_alu instid0(SALU_CYCLE_1) | instskip(NEXT) | instid1(SALU_CYCLE_1)
	s_mul_i32 s1, s0, s20
	s_sub_i32 s1, s4, s1
	s_add_i32 s4, s0, 1
	s_sub_i32 s5, s1, s20
	s_cmp_ge_u32 s1, s20
	s_cselect_b32 s0, s4, s0
	s_cselect_b32 s1, s5, s1
	s_add_i32 s4, s0, 1
	s_cmp_ge_u32 s1, s20
	s_cselect_b32 s0, s4, s0
.LBB32_13:                              ;   in Loop: Header=BB32_9 Depth=1
	s_delay_alu instid0(SALU_CYCLE_1)
	s_cmp_lg_u32 s16, s0
	s_cbranch_scc0 .LBB32_17
; %bb.14:                               ;   in Loop: Header=BB32_9 Depth=1
	s_add_i32 s22, s19, s14
	s_mov_b32 s5, s12
	s_add_i32 s1, s22, s20
	s_mov_b32 s21, s16
	s_lshl_b32 s1, s1, 2
	s_delay_alu instid0(SALU_CYCLE_1) | instskip(SKIP_2) | instid1(SALU_CYCLE_1)
	s_add_i32 s4, s1, s15
	s_mul_hi_u32 s1, s0, s8
	s_lshl_b64 s[4:5], s[4:5], 3
	s_add_u32 s4, s2, s4
	s_addc_u32 s5, s3, s5
	s_add_i32 s1, s1, s0
	s_delay_alu instid0(SALU_CYCLE_1) | instskip(NEXT) | instid1(SALU_CYCLE_1)
	s_lshr_b32 s1, s1, s9
	s_mul_i32 s13, s1, s10
	s_delay_alu instid0(SALU_CYCLE_1) | instskip(SKIP_3) | instid1(SALU_CYCLE_1)
	s_cmp_eq_u32 s13, s0
	s_cselect_b32 s13, -1, 0
	s_cmp_lt_u32 s1, s11
	s_cselect_b32 s1, -1, 0
	s_or_b32 s1, s1, s13
	s_mov_b32 s13, -1
	s_and_b32 vcc_lo, exec_lo, s1
	s_mov_b32 s1, s19
	s_cbranch_vccnz .LBB32_16
; %bb.15:                               ;   in Loop: Header=BB32_9 Depth=1
	s_add_i32 s1, s19, -1
	s_mov_b32 s13, 0
	s_mov_b32 s21, s0
.LBB32_16:                              ;   in Loop: Header=BB32_9 Depth=1
	v_lshl_add_u32 v9, s22, 8, v0
	s_load_b64 s[4:5], s[4:5], 0x0
	s_delay_alu instid0(VALU_DEP_1) | instskip(NEXT) | instid1(VALU_DEP_1)
	v_ashrrev_i32_e32 v10, 31, v9
	v_lshlrev_b64 v[9:10], 2, v[9:10]
	s_delay_alu instid0(VALU_DEP_1) | instskip(NEXT) | instid1(VALU_DEP_2)
	v_add_co_u32 v9, vcc_lo, s6, v9
	v_add_co_ci_u32_e32 v10, vcc_lo, s17, v10, vcc_lo
	s_waitcnt lgkmcnt(0)
	v_max_f32_e64 v11, s4, s4
	global_load_b32 v10, v[9:10], off
	v_max_f32_e32 v9, v8, v8
	s_delay_alu instid0(VALU_DEP_1) | instskip(NEXT) | instid1(VALU_DEP_1)
	v_max_f32_e32 v9, v9, v11
	v_sub_f32_e32 v12, v8, v9
	s_delay_alu instid0(VALU_DEP_1) | instskip(NEXT) | instid1(VALU_DEP_1)
	v_dual_mul_f32 v14, 0x3fb8aa3b, v12 :: v_dual_sub_f32 v11, s4, v9
	v_rndne_f32_e32 v18, v14
	s_delay_alu instid0(VALU_DEP_2) | instskip(SKIP_2) | instid1(VALU_DEP_4)
	v_mul_f32_e32 v13, 0x3fb8aa3b, v11
	v_fma_f32 v17, 0x3fb8aa3b, v12, -v14
	v_cmp_ngt_f32_e32 vcc_lo, 0xc2ce8ed0, v11
	v_sub_f32_e32 v14, v14, v18
	s_delay_alu instid0(VALU_DEP_4) | instskip(SKIP_2) | instid1(VALU_DEP_3)
	v_fma_f32 v15, 0x3fb8aa3b, v11, -v13
	v_rndne_f32_e32 v16, v13
	v_fmac_f32_e32 v17, 0x32a5705f, v12
	v_fmac_f32_e32 v15, 0x32a5705f, v11
	s_delay_alu instid0(VALU_DEP_2) | instskip(NEXT) | instid1(VALU_DEP_1)
	v_dual_sub_f32 v13, v13, v16 :: v_dual_add_f32 v14, v14, v17
	v_add_f32_e32 v13, v13, v15
	s_delay_alu instid0(VALU_DEP_2) | instskip(SKIP_2) | instid1(VALU_DEP_3)
	v_exp_f32_e32 v14, v14
	v_cvt_i32_f32_e32 v15, v16
	v_cvt_i32_f32_e32 v16, v18
	v_exp_f32_e32 v13, v13
	s_waitcnt_depctr 0xfff
	v_ldexp_f32 v14, v14, v16
	v_ldexp_f32 v13, v13, v15
	s_delay_alu instid0(VALU_DEP_1) | instskip(SKIP_1) | instid1(VALU_DEP_4)
	v_cndmask_b32_e32 v13, 0, v13, vcc_lo
	v_cmp_ngt_f32_e32 vcc_lo, 0xc2ce8ed0, v12
	v_cndmask_b32_e32 v14, 0, v14, vcc_lo
	v_cmp_nlt_f32_e32 vcc_lo, 0x42b17218, v11
	s_delay_alu instid0(VALU_DEP_4) | instskip(SKIP_1) | instid1(VALU_DEP_4)
	v_cndmask_b32_e32 v13, 0x7f800000, v13, vcc_lo
	v_cmp_nlt_f32_e32 vcc_lo, 0x42b17218, v12
	v_cndmask_b32_e32 v14, 0x7f800000, v14, vcc_lo
	v_cmp_le_f32_e32 vcc_lo, 0xc1a00000, v11
	s_delay_alu instid0(VALU_DEP_4) | instskip(SKIP_1) | instid1(VALU_DEP_4)
	v_cndmask_b32_e32 v11, 0, v13, vcc_lo
	v_cmp_le_f32_e32 vcc_lo, 0xc1a00000, v12
	v_cndmask_b32_e32 v12, 0, v14, vcc_lo
	s_waitcnt vmcnt(0)
	s_delay_alu instid0(VALU_DEP_3) | instskip(NEXT) | instid1(VALU_DEP_1)
	v_mul_f32_e32 v10, v10, v11
	v_dual_mul_f32 v11, s5, v11 :: v_dual_fmac_f32 v10, v3, v12
	s_delay_alu instid0(VALU_DEP_1)
	v_fmac_f32_e32 v11, v7, v12
	s_cbranch_execz .LBB32_18
	s_branch .LBB32_19
.LBB32_17:                              ;   in Loop: Header=BB32_9 Depth=1
                                        ; implicit-def: $sgpr13
                                        ; implicit-def: $vgpr10
                                        ; implicit-def: $vgpr9
                                        ; implicit-def: $vgpr11
                                        ; implicit-def: $sgpr1
                                        ; implicit-def: $sgpr21
.LBB32_18:                              ;   in Loop: Header=BB32_9 Depth=1
	v_mov_b32_e32 v11, v7
	s_waitcnt vmcnt(0)
	v_dual_mov_b32 v9, v8 :: v_dual_mov_b32 v10, v3
	s_add_i32 s1, s19, -1
	s_mov_b32 s13, 0
	s_mov_b32 s21, s16
.LBB32_19:                              ;   in Loop: Header=BB32_9 Depth=1
	s_and_not1_b32 vcc_lo, exec_lo, s13
	s_cbranch_vccz .LBB32_23
; %bb.20:                               ;   in Loop: Header=BB32_9 Depth=1
	v_dual_mov_b32 v7, v11 :: v_dual_mov_b32 v8, v9
	s_waitcnt vmcnt(0)
	v_mov_b32_e32 v3, v10
	s_mov_b32 s16, s21
	s_mov_b32 s19, s1
	s_branch .LBB32_9
.LBB32_21:
                                        ; implicit-def: $sgpr16_sgpr17
	s_load_b128 s[8:11], s[0:1], 0x44
	s_branch .LBB32_2
.LBB32_22:
                                        ; implicit-def: $sgpr18_sgpr19
	s_branch .LBB32_5
.LBB32_23:
	v_div_scale_f32 v0, null, v11, v11, v10
	s_waitcnt vmcnt(0)
	s_delay_alu instid0(VALU_DEP_1) | instskip(SKIP_2) | instid1(VALU_DEP_1)
	v_rcp_f32_e32 v3, v0
	s_waitcnt_depctr 0xfff
	v_fma_f32 v4, -v0, v3, 1.0
	v_fmac_f32_e32 v3, v4, v3
	v_div_scale_f32 v4, vcc_lo, v10, v11, v10
	s_delay_alu instid0(VALU_DEP_1) | instskip(NEXT) | instid1(VALU_DEP_1)
	v_mul_f32_e32 v5, v4, v3
	v_fma_f32 v6, -v0, v5, v4
	s_delay_alu instid0(VALU_DEP_1) | instskip(NEXT) | instid1(VALU_DEP_1)
	v_fmac_f32_e32 v5, v6, v3
	v_fma_f32 v0, -v0, v5, v4
	s_delay_alu instid0(VALU_DEP_1) | instskip(NEXT) | instid1(VALU_DEP_1)
	v_div_fmas_f32 v0, v0, v3, v5
	v_div_fixup_f32 v0, v0, v11, v10
	global_store_b32 v[1:2], v0, off
.LBB32_24:
	s_nop 0
	s_sendmsg sendmsg(MSG_DEALLOC_VGPRS)
	s_endpgm
	.section	.rodata,"a",@progbits
	.p2align	6, 0x0
	.amdhsa_kernel _ZL33flash_attn_stream_k_fixup_generalILi64ELi1ELi4EEvPfPK15HIP_vector_typeIfLj2EEiiiiS1_IjLj3EES5_S5_S5_
		.amdhsa_group_segment_fixed_size 0
		.amdhsa_private_segment_fixed_size 0
		.amdhsa_kernarg_size 336
		.amdhsa_user_sgpr_count 13
		.amdhsa_user_sgpr_dispatch_ptr 0
		.amdhsa_user_sgpr_queue_ptr 0
		.amdhsa_user_sgpr_kernarg_segment_ptr 1
		.amdhsa_user_sgpr_dispatch_id 0
		.amdhsa_user_sgpr_private_segment_size 0
		.amdhsa_wavefront_size32 1
		.amdhsa_uses_dynamic_stack 0
		.amdhsa_enable_private_segment 0
		.amdhsa_system_sgpr_workgroup_id_x 1
		.amdhsa_system_sgpr_workgroup_id_y 1
		.amdhsa_system_sgpr_workgroup_id_z 1
		.amdhsa_system_sgpr_workgroup_info 0
		.amdhsa_system_vgpr_workitem_id 0
		.amdhsa_next_free_vgpr 19
		.amdhsa_next_free_sgpr 32
		.amdhsa_reserve_vcc 1
		.amdhsa_float_round_mode_32 0
		.amdhsa_float_round_mode_16_64 0
		.amdhsa_float_denorm_mode_32 3
		.amdhsa_float_denorm_mode_16_64 3
		.amdhsa_dx10_clamp 1
		.amdhsa_ieee_mode 1
		.amdhsa_fp16_overflow 0
		.amdhsa_workgroup_processor_mode 1
		.amdhsa_memory_ordered 1
		.amdhsa_forward_progress 0
		.amdhsa_shared_vgpr_count 0
		.amdhsa_exception_fp_ieee_invalid_op 0
		.amdhsa_exception_fp_denorm_src 0
		.amdhsa_exception_fp_ieee_div_zero 0
		.amdhsa_exception_fp_ieee_overflow 0
		.amdhsa_exception_fp_ieee_underflow 0
		.amdhsa_exception_fp_ieee_inexact 0
		.amdhsa_exception_int_div_zero 0
	.end_amdhsa_kernel
	.section	.text._ZL33flash_attn_stream_k_fixup_generalILi64ELi1ELi4EEvPfPK15HIP_vector_typeIfLj2EEiiiiS1_IjLj3EES5_S5_S5_,"axG",@progbits,_ZL33flash_attn_stream_k_fixup_generalILi64ELi1ELi4EEvPfPK15HIP_vector_typeIfLj2EEiiiiS1_IjLj3EES5_S5_S5_,comdat
.Lfunc_end32:
	.size	_ZL33flash_attn_stream_k_fixup_generalILi64ELi1ELi4EEvPfPK15HIP_vector_typeIfLj2EEiiiiS1_IjLj3EES5_S5_S5_, .Lfunc_end32-_ZL33flash_attn_stream_k_fixup_generalILi64ELi1ELi4EEvPfPK15HIP_vector_typeIfLj2EEiiiiS1_IjLj3EES5_S5_S5_
                                        ; -- End function
	.section	.AMDGPU.csdata,"",@progbits
; Kernel info:
; codeLenInByte = 3200
; NumSgprs: 34
; NumVgprs: 19
; ScratchSize: 0
; MemoryBound: 0
; FloatMode: 240
; IeeeMode: 1
; LDSByteSize: 0 bytes/workgroup (compile time only)
; SGPRBlocks: 4
; VGPRBlocks: 2
; NumSGPRsForWavesPerEU: 34
; NumVGPRsForWavesPerEU: 19
; Occupancy: 16
; WaveLimiterHint : 0
; COMPUTE_PGM_RSRC2:SCRATCH_EN: 0
; COMPUTE_PGM_RSRC2:USER_SGPR: 13
; COMPUTE_PGM_RSRC2:TRAP_HANDLER: 0
; COMPUTE_PGM_RSRC2:TGID_X_EN: 1
; COMPUTE_PGM_RSRC2:TGID_Y_EN: 1
; COMPUTE_PGM_RSRC2:TGID_Z_EN: 1
; COMPUTE_PGM_RSRC2:TIDIG_COMP_CNT: 0
	.section	.text._ZL15flash_attn_tileILi64ELi64ELi32ELi2ELb0EEvPKcS1_S1_S1_S1_PKiPfP15HIP_vector_typeIfLj2EEffffjfiS5_IjLj3EEiiiiiiiiiiiliiliiiiil,"axG",@progbits,_ZL15flash_attn_tileILi64ELi64ELi32ELi2ELb0EEvPKcS1_S1_S1_S1_PKiPfP15HIP_vector_typeIfLj2EEffffjfiS5_IjLj3EEiiiiiiiiiiiliiliiiiil,comdat
	.globl	_ZL15flash_attn_tileILi64ELi64ELi32ELi2ELb0EEvPKcS1_S1_S1_S1_PKiPfP15HIP_vector_typeIfLj2EEffffjfiS5_IjLj3EEiiiiiiiiiiiliiliiiiil ; -- Begin function _ZL15flash_attn_tileILi64ELi64ELi32ELi2ELb0EEvPKcS1_S1_S1_S1_PKiPfP15HIP_vector_typeIfLj2EEffffjfiS5_IjLj3EEiiiiiiiiiiiliiliiiiil
	.p2align	8
	.type	_ZL15flash_attn_tileILi64ELi64ELi32ELi2ELb0EEvPKcS1_S1_S1_S1_PKiPfP15HIP_vector_typeIfLj2EEffffjfiS5_IjLj3EEiiiiiiiiiiiliiliiiiil,@function
_ZL15flash_attn_tileILi64ELi64ELi32ELi2ELb0EEvPKcS1_S1_S1_S1_PKiPfP15HIP_vector_typeIfLj2EEffffjfiS5_IjLj3EEiiiiiiiiiiiliiliiiiil: ; @_ZL15flash_attn_tileILi64ELi64ELi32ELi2ELb0EEvPKcS1_S1_S1_S1_PKiPfP15HIP_vector_typeIfLj2EEffffjfiS5_IjLj3EEiiiiiiiiiiiliiliiiiil
; %bb.0:
	s_clause 0x3
	s_load_b128 s[4:7], s[0:1], 0x5c
	s_load_b64 s[34:35], s[0:1], 0x80
	s_load_b512 s[16:31], s[0:1], 0x0
	s_load_b64 s[54:55], s[0:1], 0xb8
	s_mov_b64 s[52:53], 0
	s_waitcnt lgkmcnt(0)
	s_lshr_b32 s2, s7, 31
	s_delay_alu instid0(SALU_CYCLE_1) | instskip(NEXT) | instid1(SALU_CYCLE_1)
	s_add_i32 s2, s7, s2
	s_ashr_i32 s2, s2, 1
	s_delay_alu instid0(SALU_CYCLE_1) | instskip(SKIP_1) | instid1(VALU_DEP_1)
	v_cvt_f32_u32_e32 v1, s2
	s_sub_i32 s8, 0, s2
	v_rcp_iflag_f32_e32 v1, v1
	s_waitcnt_depctr 0xfff
	v_mul_f32_e32 v1, 0x4f7ffffe, v1
	s_delay_alu instid0(VALU_DEP_1) | instskip(NEXT) | instid1(VALU_DEP_1)
	v_cvt_u32_f32_e32 v1, v1
	v_readfirstlane_b32 s3, v1
	s_delay_alu instid0(VALU_DEP_1) | instskip(NEXT) | instid1(SALU_CYCLE_1)
	s_mul_i32 s8, s8, s3
	s_mul_hi_u32 s8, s3, s8
	s_delay_alu instid0(SALU_CYCLE_1) | instskip(NEXT) | instid1(SALU_CYCLE_1)
	s_add_i32 s3, s3, s8
	s_mul_hi_u32 s3, s15, s3
	s_delay_alu instid0(SALU_CYCLE_1) | instskip(SKIP_2) | instid1(SALU_CYCLE_1)
	s_mul_i32 s8, s3, s2
	s_add_i32 s9, s3, 1
	s_sub_i32 s8, s15, s8
	s_sub_i32 s10, s8, s2
	s_cmp_ge_u32 s8, s2
	s_cselect_b32 s3, s9, s3
	s_cselect_b32 s8, s10, s8
	s_add_i32 s9, s3, 1
	s_cmp_ge_u32 s8, s2
	s_cselect_b32 s12, s9, s3
	s_abs_i32 s3, s35
	s_abs_i32 s11, s7
	v_cvt_f32_u32_e32 v1, s3
	s_sub_i32 s8, 0, s3
	s_lshl_b32 s9, s15, 1
	s_mul_i32 s10, s12, s7
	s_delay_alu instid0(VALU_DEP_1) | instskip(SKIP_2) | instid1(VALU_DEP_1)
	v_rcp_iflag_f32_e32 v1, v1
	s_waitcnt_depctr 0xfff
	v_mul_f32_e32 v1, 0x4f7ffffe, v1
	v_cvt_u32_f32_e32 v1, v1
	s_delay_alu instid0(VALU_DEP_1) | instskip(NEXT) | instid1(VALU_DEP_1)
	v_readfirstlane_b32 s2, v1
	s_mul_i32 s8, s8, s2
	s_delay_alu instid0(SALU_CYCLE_1) | instskip(NEXT) | instid1(SALU_CYCLE_1)
	s_mul_hi_u32 s8, s2, s8
	s_add_i32 s8, s2, s8
	s_sub_i32 s2, s9, s10
	s_mul_hi_u32 s8, s11, s8
	s_xor_b32 s9, s7, s35
	s_mul_i32 s10, s8, s3
	s_ashr_i32 s9, s9, 31
	s_sub_i32 s10, s11, s10
	s_add_i32 s11, s8, 1
	s_sub_i32 s15, s10, s3
	s_cmp_ge_u32 s10, s3
	s_cselect_b32 s8, s11, s8
	s_cselect_b32 s10, s15, s10
	s_add_i32 s11, s8, 1
	s_cmp_ge_u32 s10, s3
	s_cselect_b32 s3, s11, s8
	s_delay_alu instid0(SALU_CYCLE_1) | instskip(NEXT) | instid1(SALU_CYCLE_1)
	s_xor_b32 s3, s3, s9
	s_sub_i32 s35, s3, s9
	s_delay_alu instid0(SALU_CYCLE_1) | instskip(SKIP_2) | instid1(VALU_DEP_1)
	s_abs_i32 s33, s35
	s_cmp_eq_u64 s[22:23], 0
	v_cvt_f32_u32_e32 v1, s33
	v_rcp_iflag_f32_e32 v1, v1
	s_waitcnt_depctr 0xfff
	v_mul_f32_e32 v1, 0x4f7ffffe, v1
	s_delay_alu instid0(VALU_DEP_1) | instskip(NEXT) | instid1(VALU_DEP_1)
	v_cvt_u32_f32_e32 v1, v1
	v_readfirstlane_b32 s56, v1
	s_cbranch_scc1 .LBB33_2
; %bb.1:
	s_abs_i32 s3, s54
	s_abs_i32 s10, s12
	v_cvt_f32_u32_e32 v1, s3
	s_sub_i32 s9, 0, s3
	s_delay_alu instid0(VALU_DEP_1) | instskip(SKIP_2) | instid1(VALU_DEP_1)
	v_rcp_iflag_f32_e32 v1, v1
	s_waitcnt_depctr 0xfff
	v_mul_f32_e32 v1, 0x4f7ffffe, v1
	v_cvt_u32_f32_e32 v1, v1
	s_delay_alu instid0(VALU_DEP_1) | instskip(NEXT) | instid1(VALU_DEP_1)
	v_readfirstlane_b32 s8, v1
	s_mul_i32 s9, s9, s8
	s_delay_alu instid0(SALU_CYCLE_1) | instskip(NEXT) | instid1(SALU_CYCLE_1)
	s_mul_hi_u32 s9, s8, s9
	s_add_i32 s11, s8, s9
	s_load_b64 s[8:9], s[0:1], 0xc8
	s_mul_hi_u32 s11, s10, s11
	s_delay_alu instid0(SALU_CYCLE_1) | instskip(NEXT) | instid1(SALU_CYCLE_1)
	s_mul_i32 s11, s11, s3
	s_sub_i32 s10, s10, s11
	s_ashr_i32 s11, s12, 31
	s_sub_i32 s15, s10, s3
	s_cmp_ge_u32 s10, s3
	s_cselect_b32 s10, s15, s10
	s_delay_alu instid0(SALU_CYCLE_1) | instskip(SKIP_2) | instid1(SALU_CYCLE_1)
	s_sub_i32 s15, s10, s3
	s_cmp_ge_u32 s10, s3
	s_cselect_b32 s3, s15, s10
	s_xor_b32 s3, s3, s11
	s_delay_alu instid0(SALU_CYCLE_1)
	s_sub_i32 s3, s3, s11
	s_waitcnt lgkmcnt(0)
	s_mul_i32 s9, s3, s9
	s_mul_hi_u32 s10, s3, s8
	s_ashr_i32 s11, s3, 31
	s_add_i32 s9, s10, s9
	s_mul_i32 s11, s11, s8
	s_mul_i32 s3, s3, s8
	s_add_i32 s9, s9, s11
	s_add_u32 s52, s22, s3
	s_addc_u32 s53, s23, s9
.LBB33_2:
	v_bfe_u32 v16, v0, 10, 10
	s_lshl_b32 s15, s13, 5
	s_load_b128 s[8:11], s[0:1], 0x70
	v_and_b32_e32 v90, 0x3ff, v0
	s_delay_alu instid0(VALU_DEP_2) | instskip(SKIP_1) | instid1(VALU_DEP_3)
	v_lshlrev_b32_e32 v3, 4, v16
	v_lshlrev_b32_e32 v88, 3, v16
	v_lshlrev_b32_e32 v44, 3, v90
	s_delay_alu instid0(VALU_DEP_3) | instskip(SKIP_1) | instid1(VALU_DEP_2)
	v_or_b32_e32 v1, 2, v3
	v_or_b32_e32 v2, 3, v3
	v_lshrrev_b32_e32 v85, 1, v1
	s_delay_alu instid0(VALU_DEP_2) | instskip(SKIP_1) | instid1(VALU_DEP_3)
	v_lshrrev_b32_e32 v84, 1, v2
	v_lshlrev_b32_e32 v2, 5, v2
	v_add_nc_u32_e32 v87, s15, v85
	s_delay_alu instid0(VALU_DEP_3)
	v_add_nc_u32_e32 v86, s15, v84
	s_waitcnt lgkmcnt(0)
	s_mul_i32 s3, s12, s10
	s_mul_i32 s10, s2, s9
	s_ashr_i32 s11, s3, 31
	v_mul_hi_u32 v6, v87, s4
	v_mul_hi_u32 v7, v86, s4
	s_add_u32 s3, s16, s3
	s_addc_u32 s11, s17, s11
	s_ashr_i32 s16, s10, 31
	s_add_u32 s3, s3, s10
	s_addc_u32 s10, s11, s16
	s_ashr_i32 s11, s8, 31
	v_add_nc_u32_e32 v6, v87, v6
	v_alignbit_b32 v40, s11, s8, 2
	v_add_nc_u32_e32 v7, v86, v7
	s_lshr_b32 s11, s11, 2
	s_and_b32 s8, s9, -4
	v_lshrrev_b32_e32 v6, s5, v6
	s_ashr_i32 s9, s9, 31
	v_lshrrev_b32_e32 v0, s5, v7
	s_add_u32 s8, s3, s8
	s_addc_u32 s9, s10, s9
	v_mul_lo_u32 v8, v6, s6
	s_cmp_eq_u64 s[26:27], 0
	v_mul_lo_u32 v13, v0, s6
	s_delay_alu instid0(VALU_DEP_2) | instskip(NEXT) | instid1(VALU_DEP_2)
	v_sub_nc_u32_e32 v12, v87, v8
	v_sub_nc_u32_e32 v18, v86, v13
	s_delay_alu instid0(VALU_DEP_2) | instskip(SKIP_1) | instid1(VALU_DEP_1)
	v_mad_u64_u32 v[7:8], null, v40, v12, 0
	v_add_nc_u32_e32 v89, s15, v88
	v_mul_hi_u32 v5, v89, s4
	s_delay_alu instid0(VALU_DEP_1) | instskip(NEXT) | instid1(VALU_DEP_1)
	v_add_nc_u32_e32 v5, v89, v5
	v_lshrrev_b32_e32 v5, s5, v5
	s_delay_alu instid0(VALU_DEP_1) | instskip(NEXT) | instid1(VALU_DEP_1)
	v_mul_lo_u32 v5, v5, s6
	v_sub_nc_u32_e32 v17, v89, v5
	s_delay_alu instid0(VALU_DEP_1) | instskip(NEXT) | instid1(VALU_DEP_1)
	v_mad_u64_u32 v[5:6], null, v40, v17, 0
	v_mov_b32_e32 v0, v6
	v_or_b32_e32 v4, 4, v3
	v_or_b32_e32 v45, 5, v3
	;; [unrolled: 1-line block ×4, first 2 shown]
	v_mad_u64_u32 v[9:10], null, s11, v17, v[0:1]
	v_lshrrev_b32_e32 v81, 1, v4
	v_mov_b32_e32 v0, v8
	v_lshrrev_b32_e32 v79, 1, v45
	v_lshrrev_b32_e32 v78, 1, v46
	;; [unrolled: 1-line block ×3, first 2 shown]
	v_dual_mov_b32 v6, v9 :: v_dual_add_nc_u32 v83, s15, v81
	v_mad_u64_u32 v[8:9], null, s11, v12, v[0:1]
	v_add_nc_u32_e32 v82, s15, v79
	s_delay_alu instid0(VALU_DEP_3) | instskip(NEXT) | instid1(VALU_DEP_4)
	v_mul_hi_u32 v11, v83, s4
	v_lshlrev_b64 v[5:6], 2, v[5:6]
	v_add_nc_u32_e32 v80, s15, v78
	v_add_nc_u32_e32 v77, s15, v75
	v_or_b32_e32 v48, 8, v3
	v_lshlrev_b64 v[7:8], 2, v[7:8]
	v_or_b32_e32 v49, 9, v3
	v_or_b32_e32 v50, 10, v3
	v_add_nc_u32_e32 v13, v83, v11
	v_mad_u64_u32 v[10:11], null, v40, v18, 0
	v_lshrrev_b32_e32 v74, 1, v48
	v_lshrrev_b32_e32 v71, 1, v49
	s_delay_alu instid0(VALU_DEP_4)
	v_lshrrev_b32_e32 v0, s5, v13
	v_lshrrev_b32_e32 v70, 1, v50
	v_or_b32_e32 v51, 11, v3
	v_add_nc_u32_e32 v76, s15, v74
	v_or_b32_e32 v52, 12, v3
	v_mul_lo_u32 v9, v0, s6
	v_mov_b32_e32 v0, v11
	v_add_co_u32 v11, vcc_lo, s3, v5
	v_add_co_ci_u32_e32 v12, vcc_lo, s10, v6, vcc_lo
	v_add_co_u32 v13, vcc_lo, s8, v5
	v_add_co_ci_u32_e32 v14, vcc_lo, s9, v6, vcc_lo
	s_delay_alu instid0(VALU_DEP_4) | instskip(NEXT) | instid1(VALU_DEP_4)
	v_add_co_u32 v5, vcc_lo, v11, v44
	v_add_co_ci_u32_e32 v6, vcc_lo, 0, v12, vcc_lo
	s_delay_alu instid0(VALU_DEP_4) | instskip(NEXT) | instid1(VALU_DEP_4)
	v_add_co_u32 v12, vcc_lo, v13, v44
	v_add_co_ci_u32_e32 v13, vcc_lo, 0, v14, vcc_lo
	v_mad_u64_u32 v[14:15], null, s11, v18, v[0:1]
	v_mul_hi_u32 v0, v82, s4
	v_sub_nc_u32_e32 v18, v83, v9
	v_add_co_u32 v9, vcc_lo, s3, v7
	v_add_co_ci_u32_e32 v15, vcc_lo, s10, v8, vcc_lo
	v_mov_b32_e32 v11, v14
	s_delay_alu instid0(VALU_DEP_4) | instskip(SKIP_2) | instid1(VALU_DEP_4)
	v_mad_u64_u32 v[7:8], null, v40, v18, 0
	v_add_nc_u32_e32 v0, v82, v0
	v_add_co_u32 v14, vcc_lo, v9, v44
	v_lshlrev_b64 v[9:10], 2, v[10:11]
	v_mul_hi_u32 v11, v80, s4
	s_delay_alu instid0(VALU_DEP_4) | instskip(SKIP_3) | instid1(VALU_DEP_4)
	v_lshrrev_b32_e32 v19, s5, v0
	v_mov_b32_e32 v0, v8
	v_add_co_ci_u32_e32 v15, vcc_lo, 0, v15, vcc_lo
	v_add_co_u32 v20, vcc_lo, s8, v9
	v_mul_lo_u32 v19, v19, s6
	v_add_nc_u32_e32 v11, v80, v11
	v_mad_u64_u32 v[8:9], null, s11, v18, v[0:1]
	v_add_co_ci_u32_e32 v10, vcc_lo, s9, v10, vcc_lo
	s_delay_alu instid0(VALU_DEP_3) | instskip(SKIP_3) | instid1(VALU_DEP_4)
	v_lshrrev_b32_e32 v0, s5, v11
	v_mul_hi_u32 v11, v77, s4
	v_sub_nc_u32_e32 v21, v82, v19
	v_add_co_u32 v9, vcc_lo, v20, v44
	v_mul_lo_u32 v20, v0, s6
	v_add_co_ci_u32_e32 v10, vcc_lo, 0, v10, vcc_lo
	s_delay_alu instid0(VALU_DEP_4)
	v_mad_u64_u32 v[18:19], null, v40, v21, 0
	v_add_nc_u32_e32 v22, v77, v11
	s_clause 0x3
	global_load_b64 v[5:6], v[5:6], off
	global_load_b64 v[11:12], v[12:13], off
	;; [unrolled: 1-line block ×4, first 2 shown]
	v_lshlrev_b64 v[7:8], 2, v[7:8]
	v_sub_nc_u32_e32 v26, v80, v20
	v_add_nc_u32_e32 v72, s15, v70
	v_lshrrev_b32_e32 v15, s5, v22
	v_mov_b32_e32 v0, v19
	v_lshrrev_b32_e32 v67, 1, v51
	v_lshrrev_b32_e32 v66, 1, v52
	v_mul_hi_u32 v29, v72, s4
	v_or_b32_e32 v53, 13, v3
	v_mad_u64_u32 v[19:20], null, s11, v21, v[0:1]
	v_mul_lo_u32 v0, v15, s6
	v_mad_u64_u32 v[20:21], null, v40, v26, 0
	v_add_co_u32 v15, vcc_lo, s3, v7
	v_add_co_ci_u32_e32 v23, vcc_lo, s10, v8, vcc_lo
	v_lshlrev_b64 v[18:19], 2, v[18:19]
	v_sub_nc_u32_e32 v27, v77, v0
	v_mov_b32_e32 v0, v21
	v_mul_hi_u32 v21, v76, s4
	v_add_co_u32 v22, vcc_lo, v15, v44
	s_delay_alu instid0(VALU_DEP_4) | instskip(NEXT) | instid1(VALU_DEP_4)
	v_mad_u64_u32 v[7:8], null, v40, v27, 0
	v_mad_u64_u32 v[24:25], null, s11, v26, v[0:1]
	v_add_co_ci_u32_e32 v23, vcc_lo, 0, v23, vcc_lo
	v_add_co_u32 v25, vcc_lo, s8, v18
	s_delay_alu instid0(VALU_DEP_4) | instskip(SKIP_3) | instid1(VALU_DEP_4)
	v_mov_b32_e32 v0, v8
	v_add_nc_u32_e32 v8, v76, v21
	v_add_co_ci_u32_e32 v26, vcc_lo, s9, v19, vcc_lo
	v_mov_b32_e32 v21, v24
	v_mad_u64_u32 v[18:19], null, s11, v27, v[0:1]
	s_delay_alu instid0(VALU_DEP_4) | instskip(SKIP_1) | instid1(VALU_DEP_4)
	v_lshrrev_b32_e32 v0, s5, v8
	v_add_co_u32 v24, vcc_lo, v25, v44
	v_lshlrev_b64 v[19:20], 2, v[20:21]
	v_add_co_ci_u32_e32 v25, vcc_lo, 0, v26, vcc_lo
	s_delay_alu instid0(VALU_DEP_4) | instskip(SKIP_1) | instid1(VALU_DEP_4)
	v_mul_lo_u32 v0, v0, s6
	v_dual_mov_b32 v8, v18 :: v_dual_add_nc_u32 v69, s15, v67
	v_add_co_u32 v21, vcc_lo, s3, v19
	v_add_co_ci_u32_e32 v26, vcc_lo, s10, v20, vcc_lo
	s_delay_alu instid0(VALU_DEP_3) | instskip(SKIP_1) | instid1(VALU_DEP_4)
	v_lshlrev_b64 v[7:8], 2, v[7:8]
	v_sub_nc_u32_e32 v28, v76, v0
	v_add_co_u32 v20, vcc_lo, v21, v44
	s_delay_alu instid0(VALU_DEP_4) | instskip(NEXT) | instid1(VALU_DEP_3)
	v_add_co_ci_u32_e32 v21, vcc_lo, 0, v26, vcc_lo
	v_mad_u64_u32 v[18:19], null, v40, v28, 0
	v_add_nc_u32_e32 v73, s15, v71
	v_add_co_u32 v30, vcc_lo, s8, v7
	v_add_co_ci_u32_e32 v31, vcc_lo, s9, v8, vcc_lo
	s_delay_alu instid0(VALU_DEP_3)
	v_mul_hi_u32 v15, v73, s4
	v_add_nc_u32_e32 v68, s15, v66
	v_lshrrev_b32_e32 v64, 1, v53
	v_or_b32_e32 v54, 14, v3
	v_or_b32_e32 v3, 15, v3
	v_add_nc_u32_e32 v15, v73, v15
	s_delay_alu instid0(VALU_DEP_3) | instskip(NEXT) | instid1(VALU_DEP_3)
	v_lshrrev_b32_e32 v62, 1, v54
	v_lshrrev_b32_e32 v60, 1, v3
	v_lshlrev_b32_e32 v3, 5, v3
	s_delay_alu instid0(VALU_DEP_4) | instskip(NEXT) | instid1(VALU_DEP_4)
	v_lshrrev_b32_e32 v15, s5, v15
	v_add_nc_u32_e32 v63, s15, v62
	s_delay_alu instid0(VALU_DEP_2) | instskip(NEXT) | instid1(VALU_DEP_2)
	v_mul_lo_u32 v0, v15, s6
	v_mul_hi_u32 v35, v63, s4
	s_delay_alu instid0(VALU_DEP_2) | instskip(SKIP_1) | instid1(VALU_DEP_2)
	v_sub_nc_u32_e32 v15, v73, v0
	v_dual_mov_b32 v0, v19 :: v_dual_add_nc_u32 v19, v72, v29
	v_mad_u64_u32 v[7:8], null, v40, v15, 0
	s_delay_alu instid0(VALU_DEP_2) | instskip(SKIP_2) | instid1(VALU_DEP_4)
	v_mad_u64_u32 v[26:27], null, s11, v28, v[0:1]
	v_add_co_u32 v27, vcc_lo, v30, v44
	v_add_co_ci_u32_e32 v28, vcc_lo, 0, v31, vcc_lo
	v_mov_b32_e32 v0, v8
	v_lshrrev_b32_e32 v8, s5, v19
	v_mov_b32_e32 v19, v26
	s_clause 0x3
	global_load_b64 v[22:23], v[22:23], off
	global_load_b64 v[24:25], v[24:25], off
	;; [unrolled: 1-line block ×4, first 2 shown]
	v_mad_u64_u32 v[29:30], null, s11, v15, v[0:1]
	v_mul_lo_u32 v0, v8, s6
	v_mul_hi_u32 v15, v69, s4
	v_lshlrev_b64 v[18:19], 2, v[18:19]
	s_delay_alu instid0(VALU_DEP_4) | instskip(NEXT) | instid1(VALU_DEP_4)
	v_mov_b32_e32 v8, v29
	v_sub_nc_u32_e32 v30, v72, v0
	s_delay_alu instid0(VALU_DEP_4) | instskip(NEXT) | instid1(VALU_DEP_4)
	v_add_nc_u32_e32 v0, v69, v15
	v_add_co_u32 v15, vcc_lo, s3, v18
	v_add_co_ci_u32_e32 v29, vcc_lo, s10, v19, vcc_lo
	s_delay_alu instid0(VALU_DEP_4) | instskip(NEXT) | instid1(VALU_DEP_4)
	v_mad_u64_u32 v[18:19], null, v40, v30, 0
	v_lshrrev_b32_e32 v31, s5, v0
	v_lshlrev_b64 v[7:8], 2, v[7:8]
	v_add_co_u32 v28, vcc_lo, v15, v44
	v_add_co_ci_u32_e32 v29, vcc_lo, 0, v29, vcc_lo
	s_delay_alu instid0(VALU_DEP_4) | instskip(SKIP_3) | instid1(VALU_DEP_3)
	v_mul_lo_u32 v15, v31, s6
	v_mov_b32_e32 v0, v19
	v_add_co_u32 v19, vcc_lo, s8, v7
	v_add_co_ci_u32_e32 v31, vcc_lo, s9, v8, vcc_lo
	v_mad_u64_u32 v[7:8], null, s11, v30, v[0:1]
	v_sub_nc_u32_e32 v15, v69, v15
	v_mul_hi_u32 v0, v68, s4
	v_add_co_u32 v30, vcc_lo, v19, v44
	v_add_co_ci_u32_e32 v31, vcc_lo, 0, v31, vcc_lo
	s_delay_alu instid0(VALU_DEP_4)
	v_mad_u64_u32 v[32:33], null, v40, v15, 0
	v_add_nc_u32_e32 v65, s15, v64
	v_dual_mov_b32 v19, v7 :: v_dual_add_nc_u32 v8, v68, v0
	s_clause 0x1
	global_load_b64 v[28:29], v[28:29], off
	global_load_b64 v[30:31], v[30:31], off
	v_add_lshl_u32 v2, v2, v90, 2
	v_add_lshl_u32 v3, v3, v90, 2
	v_mov_b32_e32 v0, v33
	v_mul_hi_u32 v34, v65, s4
	v_lshrrev_b32_e32 v33, s5, v8
	v_lshlrev_b64 v[7:8], 2, v[18:19]
	v_lshlrev_b32_e32 v91, 2, v90
	v_mad_u64_u32 v[18:19], null, s11, v15, v[0:1]
	s_delay_alu instid0(VALU_DEP_4)
	v_mul_lo_u32 v0, v33, s6
	v_add_nc_u32_e32 v15, v65, v34
	v_add_co_u32 v19, vcc_lo, s3, v7
	v_add_co_ci_u32_e32 v34, vcc_lo, s10, v8, vcc_lo
	v_mov_b32_e32 v33, v18
	v_sub_nc_u32_e32 v38, v68, v0
	v_lshrrev_b32_e32 v0, s5, v15
	v_add_nc_u32_e32 v15, v63, v35
	v_add_co_u32 v18, vcc_lo, v19, v44
	s_delay_alu instid0(VALU_DEP_4) | instskip(NEXT) | instid1(VALU_DEP_4)
	v_mad_u64_u32 v[7:8], null, v40, v38, 0
	v_mul_lo_u32 v0, v0, s6
	v_add_co_ci_u32_e32 v19, vcc_lo, 0, v34, vcc_lo
	v_lshlrev_b64 v[32:33], 2, v[32:33]
	v_lshl_or_b32 v4, v4, 7, v91
	s_delay_alu instid0(VALU_DEP_4) | instskip(SKIP_2) | instid1(VALU_DEP_2)
	v_sub_nc_u32_e32 v39, v65, v0
	v_mov_b32_e32 v0, v8
	v_lshrrev_b32_e32 v8, s5, v15
	v_mad_u64_u32 v[36:37], null, s11, v38, v[0:1]
	v_add_nc_u32_e32 v61, s15, v60
	s_delay_alu instid0(VALU_DEP_3) | instskip(SKIP_4) | instid1(VALU_DEP_4)
	v_mul_lo_u32 v37, v8, s6
	v_add_co_u32 v38, vcc_lo, s8, v32
	v_add_co_ci_u32_e32 v41, vcc_lo, s9, v33, vcc_lo
	v_mov_b32_e32 v8, v36
	v_mul_hi_u32 v35, v61, s4
	v_add_co_u32 v38, vcc_lo, v38, v44
	s_delay_alu instid0(VALU_DEP_3) | instskip(NEXT) | instid1(VALU_DEP_3)
	v_lshlrev_b64 v[7:8], 2, v[7:8]
	v_add_nc_u32_e32 v15, v61, v35
	v_mad_u64_u32 v[34:35], null, v40, v39, 0
	s_delay_alu instid0(VALU_DEP_2) | instskip(NEXT) | instid1(VALU_DEP_2)
	v_lshrrev_b32_e32 v15, s5, v15
	v_mov_b32_e32 v0, v35
	s_delay_alu instid0(VALU_DEP_2) | instskip(SKIP_1) | instid1(VALU_DEP_3)
	v_mul_lo_u32 v15, v15, s6
	v_sub_nc_u32_e32 v42, v63, v37
	v_mad_u64_u32 v[32:33], null, s11, v39, v[0:1]
	s_delay_alu instid0(VALU_DEP_2) | instskip(NEXT) | instid1(VALU_DEP_4)
	v_mad_u64_u32 v[36:37], null, v40, v42, 0
	v_sub_nc_u32_e32 v15, v61, v15
	v_add_co_ci_u32_e32 v39, vcc_lo, 0, v41, vcc_lo
	s_delay_alu instid0(VALU_DEP_4) | instskip(NEXT) | instid1(VALU_DEP_3)
	v_mov_b32_e32 v35, v32
	v_mad_u64_u32 v[32:33], null, v40, v15, 0
	v_mov_b32_e32 v0, v37
	v_add_co_u32 v37, vcc_lo, s3, v7
	v_add_co_ci_u32_e32 v41, vcc_lo, s10, v8, vcc_lo
	v_lshlrev_b64 v[7:8], 2, v[34:35]
	s_delay_alu instid0(VALU_DEP_4) | instskip(SKIP_3) | instid1(VALU_DEP_3)
	v_mad_u64_u32 v[34:35], null, s11, v42, v[0:1]
	v_mov_b32_e32 v0, v33
	v_add_co_u32 v40, vcc_lo, v37, v44
	v_add_co_ci_u32_e32 v41, vcc_lo, 0, v41, vcc_lo
	v_mad_u64_u32 v[42:43], null, s11, v15, v[0:1]
	v_mov_b32_e32 v37, v34
	v_add_co_u32 v0, vcc_lo, s8, v7
	v_add_co_ci_u32_e32 v8, vcc_lo, s9, v8, vcc_lo
	s_delay_alu instid0(VALU_DEP_3) | instskip(SKIP_1) | instid1(VALU_DEP_4)
	v_lshlrev_b64 v[34:35], 2, v[36:37]
	v_mov_b32_e32 v33, v42
	v_add_co_u32 v7, vcc_lo, v0, v44
	s_delay_alu instid0(VALU_DEP_4) | instskip(NEXT) | instid1(VALU_DEP_3)
	v_add_co_ci_u32_e32 v8, vcc_lo, 0, v8, vcc_lo
	v_lshlrev_b64 v[32:33], 2, v[32:33]
	v_add_co_u32 v0, vcc_lo, s3, v34
	v_add_co_ci_u32_e32 v15, vcc_lo, s10, v35, vcc_lo
	s_clause 0x3
	global_load_b64 v[18:19], v[18:19], off
	global_load_b64 v[36:37], v[38:39], off
	;; [unrolled: 1-line block ×4, first 2 shown]
	v_add_co_u32 v34, vcc_lo, s8, v32
	v_add_co_ci_u32_e32 v35, vcc_lo, s9, v33, vcc_lo
	v_add_co_u32 v32, vcc_lo, v0, v44
	v_add_co_ci_u32_e32 v33, vcc_lo, 0, v15, vcc_lo
	s_delay_alu instid0(VALU_DEP_4) | instskip(NEXT) | instid1(VALU_DEP_4)
	v_add_co_u32 v34, vcc_lo, v34, v44
	v_add_co_ci_u32_e32 v35, vcc_lo, 0, v35, vcc_lo
	s_clause 0x1
	global_load_b64 v[32:33], v[32:33], off
	global_load_b64 v[34:35], v[34:35], off
	s_load_b32 s3, s[0:1], 0x40
	v_lshl_or_b32 v0, v16, 11, v91
	v_lshlrev_b32_e32 v1, 5, v1
	v_lshlrev_b32_e32 v15, 5, v45
	;; [unrolled: 1-line block ×4, first 2 shown]
	v_add_nc_u32_e32 v0, 0x4400, v0
	v_lshlrev_b32_e32 v42, 5, v49
	v_add_lshl_u32 v1, v1, v90, 2
	s_waitcnt vmcnt(15) lgkmcnt(0)
	v_fma_mixlo_f16 v5, v5, s3, 0
	s_waitcnt vmcnt(14)
	v_fma_mixlo_f16 v11, v11, s3, 0
	s_delay_alu instid0(VALU_DEP_2) | instskip(NEXT) | instid1(VALU_DEP_2)
	v_fma_mixhi_f16 v5, v6, s3, 0
	v_fma_mixhi_f16 v11, v12, s3, 0
	v_add_lshl_u32 v6, v15, v90, 2
	v_add_lshl_u32 v12, v40, v90, 2
	;; [unrolled: 1-line block ×3, first 2 shown]
	ds_store_2addr_b32 v0, v5, v11 offset1:32
	s_waitcnt vmcnt(13)
	v_fma_mixlo_f16 v0, v13, s3, 0
	s_waitcnt vmcnt(12)
	v_fma_mixlo_f16 v5, v9, s3, 0
	s_delay_alu instid0(VALU_DEP_2) | instskip(NEXT) | instid1(VALU_DEP_2)
	v_fma_mixhi_f16 v0, v14, s3, 0
	v_fma_mixhi_f16 v5, v10, s3, 0
	v_lshl_or_b32 v10, v48, 7, v91
	v_add_lshl_u32 v14, v42, v90, 2
	s_waitcnt vmcnt(11)
	v_fma_mixlo_f16 v9, v22, s3, 0
	s_waitcnt vmcnt(10)
	v_fma_mixlo_f16 v11, v24, s3, 0
	;; [unrolled: 2-line block ×4, first 2 shown]
	v_fma_mixhi_f16 v9, v23, s3, 0
	v_fma_mixhi_f16 v11, v25, s3, 0
	v_fma_mixhi_f16 v13, v21, s3, 0
	s_delay_alu instid0(VALU_DEP_4) | instskip(SKIP_4) | instid1(VALU_DEP_2)
	v_fma_mixhi_f16 v20, v27, s3, 0
	s_waitcnt vmcnt(7)
	v_fma_mixlo_f16 v22, v28, s3, 0
	s_waitcnt vmcnt(6)
	v_fma_mixlo_f16 v24, v30, s3, 0
	v_fma_mixhi_f16 v22, v29, s3, 0
	s_delay_alu instid0(VALU_DEP_2)
	v_fma_mixhi_f16 v24, v31, s3, 0
	ds_store_b32 v1, v0 offset:17408
	ds_store_b32 v2, v5 offset:17408
	;; [unrolled: 1-line block ×8, first 2 shown]
	v_lshlrev_b32_e32 v0, 5, v50
	v_lshlrev_b32_e32 v2, 5, v51
	;; [unrolled: 1-line block ×3, first 2 shown]
	v_lshl_or_b32 v6, v52, 7, v91
	s_delay_alu instid0(VALU_DEP_4) | instskip(NEXT) | instid1(VALU_DEP_4)
	v_add_lshl_u32 v0, v0, v90, 2
	v_add_lshl_u32 v2, v2, v90, 2
	s_delay_alu instid0(VALU_DEP_4)
	v_add_lshl_u32 v9, v9, v90, 2
	s_waitcnt vmcnt(5)
	v_fma_mixlo_f16 v18, v18, s3, 0
	s_waitcnt vmcnt(4)
	v_fma_mixlo_f16 v1, v36, s3, 0
	;; [unrolled: 2-line block ×4, first 2 shown]
	v_lshlrev_b32_e32 v7, 5, v53
	v_fma_mixhi_f16 v18, v19, s3, 0
	v_fma_mixhi_f16 v1, v37, s3, 0
	;; [unrolled: 1-line block ×4, first 2 shown]
	v_add_lshl_u32 v7, v7, v90, 2
	s_waitcnt vmcnt(1)
	v_fma_mixlo_f16 v8, v32, s3, 0
	s_waitcnt vmcnt(0)
	v_fma_mixlo_f16 v10, v34, s3, 0
	s_delay_alu instid0(VALU_DEP_2) | instskip(NEXT) | instid1(VALU_DEP_2)
	v_fma_mixhi_f16 v8, v33, s3, 0
	v_fma_mixhi_f16 v10, v35, s3, 0
	ds_store_b32 v0, v18 offset:17408
	ds_store_b32 v2, v1 offset:17408
	;; [unrolled: 1-line block ×6, first 2 shown]
	s_waitcnt lgkmcnt(0)
	s_barrier
	buffer_gl0_inv
	s_cbranch_scc1 .LBB33_4
; %bb.3:
	s_load_b32 s3, s[0:1], 0xd0
	s_mov_b32 s9, 0
	s_waitcnt lgkmcnt(0)
	s_mul_i32 s3, s3, s12
	s_delay_alu instid0(SALU_CYCLE_1) | instskip(NEXT) | instid1(SALU_CYCLE_1)
	s_add_i32 s8, s3, s13
	s_lshl_b64 s[8:9], s[8:9], 2
	s_delay_alu instid0(SALU_CYCLE_1)
	s_add_u32 s8, s26, s8
	s_addc_u32 s9, s27, s9
	s_load_b32 s34, s[8:9], 0x0
.LBB33_4:
	v_mbcnt_lo_u32_b32 v92, -1, 0
	s_lshl_b32 s3, s14, 6
	s_waitcnt lgkmcnt(0)
	s_cmp_lt_i32 s3, s34
	s_cbranch_scc1 .LBB33_6
; %bb.5:
	v_mbcnt_lo_u32_b32 v33, -1, 0
	v_mov_b32_e32 v94, 32
	s_mov_b32 s36, 0xfeffffff
	s_mov_b32 s8, 0
	;; [unrolled: 1-line block ×3, first 2 shown]
	v_xor_b32_e32 v98, 16, v33
	v_xor_b32_e32 v99, 8, v33
	;; [unrolled: 1-line block ×5, first 2 shown]
	s_mov_b32 s38, s36
	s_mov_b32 s39, s36
	;; [unrolled: 1-line block ×14, first 2 shown]
	s_branch .LBB33_7
.LBB33_6:
	s_mov_b32 s8, -1
                                        ; implicit-def: $sgpr36_sgpr37_sgpr38_sgpr39_sgpr40_sgpr41_sgpr42_sgpr43_sgpr44_sgpr45_sgpr46_sgpr47_sgpr48_sgpr49_sgpr50_sgpr51
                                        ; implicit-def: $vgpr33
                                        ; implicit-def: $vgpr94
                                        ; implicit-def: $vgpr98
                                        ; implicit-def: $vgpr99
                                        ; implicit-def: $vgpr96
                                        ; implicit-def: $vgpr97
                                        ; implicit-def: $vgpr95
.LBB33_7:
	s_delay_alu instid0(SALU_CYCLE_1) | instskip(SKIP_2) | instid1(VALU_DEP_3)
	v_cndmask_b32_e64 v18, 0, 1, s8
	v_dual_mov_b32 v93, s8 :: v_dual_mov_b32 v0, s36
	v_dual_mov_b32 v1, s37 :: v_dual_mov_b32 v2, s38
	v_cmp_ne_u32_e32 vcc_lo, 1, v18
	v_dual_mov_b32 v3, s39 :: v_dual_mov_b32 v4, s40
	v_dual_mov_b32 v5, s41 :: v_dual_mov_b32 v6, s42
	;; [unrolled: 1-line block ×22, first 2 shown]
	s_cbranch_vccnz .LBB33_11
; %bb.8:
	s_clause 0x1
	s_load_b128 s[8:11], s[0:1], 0x98
	s_load_b64 s[22:23], s[0:1], 0x8c
	s_sub_i32 s13, 0, s33
	s_abs_i32 s16, s2
	s_mul_i32 s13, s13, s56
	s_ashr_i32 s38, s12, 31
	s_mul_hi_u32 s13, s56, s13
	s_ashr_i32 s36, s2, 31
	s_add_i32 s56, s56, s13
	s_ashr_i32 s35, s35, 31
	s_mul_hi_u32 s37, s16, s56
	s_load_b64 s[26:27], s[0:1], 0xa8
	s_ashr_i32 s17, s55, 1
	s_mul_i32 s39, s37, s33
	v_add_nc_u32_e32 v9, 1, v89
	v_lshrrev_b32_e32 v0, 3, v90
	v_dual_mov_b32 v135, 0 :: v_dual_add_nc_u32 v12, 3, v89
	v_dual_mov_b32 v130, 0 :: v_dual_add_nc_u32 v11, 2, v89
	s_waitcnt lgkmcnt(0)
	s_mul_i32 s9, s12, s9
	s_ashr_i32 s13, s22, 2
	s_mul_hi_u32 s22, s12, s8
	s_mul_i32 s40, s38, s8
	s_add_i32 s9, s22, s9
	s_mul_i32 s8, s12, s8
	s_ashr_i32 s10, s10, 2
	s_add_i32 s9, s9, s40
	s_add_u32 s8, s18, s8
	s_addc_u32 s9, s19, s9
	s_sub_i32 s16, s16, s39
	s_xor_b32 s18, s36, s35
	s_add_i32 s19, s37, 1
	s_sub_i32 s22, s16, s33
	s_cmp_ge_u32 s16, s33
	v_mul_hi_u32 v7, s4, v9
	s_cselect_b32 s19, s19, s37
	s_cselect_b32 s16, s22, s16
	s_add_i32 s22, s19, 1
	s_cmp_ge_u32 s16, s33
	v_lshl_add_u32 v0, v16, 2, v0
	s_cselect_b32 s16, s22, s19
	s_mul_i32 s19, s12, s27
	s_xor_b32 s16, s16, s18
	v_dual_mov_b32 v134, 0 :: v_dual_add_nc_u32 v13, v9, v7
	s_sub_i32 s16, s16, s18
	v_mul_lo_u32 v1, s13, v0
	s_mul_i32 s18, s16, s23
	s_mul_hi_u32 s22, s12, s26
	s_mul_i32 s38, s38, s26
	s_mul_i32 s23, s12, s26
	s_ashr_i32 s26, s18, 31
	s_add_u32 s8, s8, s18
	s_addc_u32 s9, s9, s26
	s_add_i32 s18, s22, s19
	v_mul_hi_u32 v15, s4, v12
	s_mul_i32 s16, s16, s11
	s_add_i32 s18, s18, s38
	v_mul_hi_u32 v8, s4, v11
	v_lshrrev_b32_e32 v13, s5, v13
	s_add_u32 s11, s20, s23
	s_addc_u32 s18, s21, s18
	s_ashr_i32 s19, s16, 31
	s_add_u32 s11, s11, s16
	v_ashrrev_i32_e32 v2, 31, v1
	v_add_nc_u32_e32 v19, 4, v89
	s_addc_u32 s16, s18, s19
	s_lshl_b32 s18, s13, 4
	v_mul_lo_u32 v13, v13, s6
	v_dual_mov_b32 v128, 0 :: v_dual_add_nc_u32 v3, s18, v1
	v_dual_mov_b32 v142, 0 :: v_dual_add_nc_u32 v15, v12, v15
	v_dual_mov_b32 v137, 0 :: v_dual_lshlrev_b32 v14, 11, v16
	v_dual_mov_b32 v139, 0 :: v_dual_add_nc_u32 v16, v11, v8
	v_dual_mov_b32 v141, 0 :: v_dual_add_nc_u32 v20, 5, v89
	v_lshlrev_b64 v[44:45], 2, v[1:2]
	v_mov_b32_e32 v2, 0xfeffffff
	v_mul_hi_u32 v23, s4, v19
	v_dual_mov_b32 v94, 32 :: v_dual_add_nc_u32 v5, s18, v3
	v_lshrrev_b32_e32 v15, s5, v15
	v_ashrrev_i32_e32 v4, 31, v3
	v_lshrrev_b32_e32 v16, s5, v16
	v_add_nc_u32_e32 v21, 6, v89
	v_mul_hi_u32 v24, s4, v20
	v_sub_nc_u32_e32 v9, v9, v13
	v_dual_mov_b32 v129, 0 :: v_dual_and_b32 v18, 28, v91
	v_ashrrev_i32_e32 v6, 31, v5
	v_dual_mov_b32 v138, 0 :: v_dual_add_nc_u32 v7, s18, v5
	v_mul_lo_u32 v13, v15, s6
	v_add_nc_u32_e32 v15, v19, v23
	v_mul_lo_u32 v16, v16, s6
	v_mul_lo_u32 v107, v9, s17
	;; [unrolled: 1-line block ×3, first 2 shown]
	v_lshlrev_b64 v[46:47], 2, v[3:4]
	v_mov_b32_e32 v4, 0xfeffffff
	v_mul_hi_u32 v25, s4, v21
	v_dual_mov_b32 v131, 0 :: v_dual_lshlrev_b32 v10, 2, v18
	v_ashrrev_i32_e32 v8, 31, v7
	v_mul_lo_u32 v106, v17, s17
	v_add_nc_u32_e32 v17, v20, v24
	v_lshlrev_b64 v[48:49], 2, v[5:6]
	v_mov_b32_e32 v6, 0xfeffffff
	v_lshrrev_b32_e32 v15, s5, v15
	v_dual_mov_b32 v145, 0 :: v_dual_add_nc_u32 v22, 7, v89
	v_mad_u32_u24 v100, 0x90, v0, v10
	v_add_nc_u32_e32 v23, v21, v25
	v_sub_nc_u32_e32 v11, v11, v16
	v_sub_nc_u32_e32 v12, v12, v13
	v_mul_lo_u32 v13, v15, s6
	v_lshl_or_b32 v114, v0, 7, v10
	v_ashrrev_i32_e32 v10, 31, v9
	v_lshlrev_b64 v[50:51], 2, v[7:8]
	v_mov_b32_e32 v8, 0xfeffffff
	v_lshrrev_b32_e32 v16, s5, v17
	v_mul_hi_u32 v26, s4, v22
	v_lshlrev_b64 v[52:53], 2, v[9:10]
	v_mov_b32_e32 v10, 0xfeffffff
	v_lshrrev_b32_e32 v17, s5, v23
	v_mul_lo_u32 v15, v16, s6
	v_mul_lo_u32 v108, v11, s17
	v_sub_nc_u32_e32 v11, v19, v13
	s_lshl_b32 s4, s10, 4
	v_dual_mov_b32 v1, 0xfeffffff :: v_dual_add_nc_u32 v24, v22, v26
	v_mul_lo_u32 v16, v17, s6
	v_mul_lo_u32 v109, v12, s17
	v_sub_nc_u32_e32 v12, v20, v15
	v_mul_lo_u32 v110, v11, s17
	v_add_nc_u32_e32 v11, s4, v9
	v_lshrrev_b32_e32 v23, s5, v24
	v_dual_mov_b32 v140, 0 :: v_dual_add_nc_u32 v105, 0x4400, v14
	v_sub_nc_u32_e32 v13, v21, v16
	v_mul_lo_u32 v111, v12, s17
	v_ashrrev_i32_e32 v12, 31, v11
	v_mul_lo_u32 v17, v23, s6
	v_dual_mov_b32 v20, 0 :: v_dual_add_nc_u32 v115, 0x2400, v14
	v_mul_lo_u32 v112, v13, s17
	s_delay_alu instid0(VALU_DEP_4) | instskip(SKIP_4) | instid1(VALU_DEP_4)
	v_lshlrev_b64 v[54:55], 2, v[11:12]
	v_dual_mov_b32 v12, 0xfeffffff :: v_dual_add_nc_u32 v13, s4, v11
	v_dual_mov_b32 v132, 0 :: v_dual_add_nc_u32 v101, 0x900, v100
	v_sub_nc_u32_e32 v15, v22, v17
	v_mov_b32_e32 v22, 0
	v_ashrrev_i32_e32 v14, 31, v13
	v_lshlrev_b32_e32 v17, 4, v90
	v_dual_mov_b32 v133, 0 :: v_dual_add_nc_u32 v102, 0x1200, v100
	v_mul_lo_u32 v113, v15, s17
	s_delay_alu instid0(VALU_DEP_4) | instskip(SKIP_4) | instid1(VALU_DEP_4)
	v_lshlrev_b64 v[56:57], 2, v[13:14]
	v_dual_mov_b32 v14, 0xfeffffff :: v_dual_add_nc_u32 v15, s4, v13
	v_dual_mov_b32 v136, 0 :: v_dual_add_nc_u32 v103, 0x1b00, v100
	v_mul_u32_u24_e32 v104, 0x90, v90
	v_dual_mov_b32 v19, 0 :: v_dual_add_nc_u32 v116, 0x800, v114
	v_ashrrev_i32_e32 v16, 31, v15
	v_dual_mov_b32 v24, 0 :: v_dual_add_nc_u32 v117, 0x1000, v114
	v_dual_mov_b32 v21, 0 :: v_dual_add_nc_u32 v118, 0x1800, v114
	s_delay_alu instid0(VALU_DEP_3)
	v_lshlrev_b64 v[58:59], 2, v[15:16]
	v_dual_mov_b32 v0, 0xfeffffff :: v_dual_lshlrev_b32 v119, 2, v18
	v_mov_b32_e32 v26, 0
	v_xor_b32_e32 v98, 16, v92
	v_xor_b32_e32 v99, 8, v92
	v_xor_b32_e32 v96, 4, v92
	v_xor_b32_e32 v97, 2, v92
	v_xor_b32_e32 v95, 1, v92
	v_dual_mov_b32 v28, 0 :: v_dual_add_nc_u32 v121, 0x400, v91
	v_dual_mov_b32 v23, 0 :: v_dual_add_nc_u32 v122, 0x800, v91
	;; [unrolled: 1-line block ×6, first 2 shown]
	v_add_nc_u32_e32 v127, 0x1c00, v91
	v_mov_b32_e32 v3, 0xfeffffff
	v_mov_b32_e32 v5, 0xfeffffff
	;; [unrolled: 1-line block ×6, first 2 shown]
	v_dual_mov_b32 v15, 0xfeffffff :: v_dual_mov_b32 v18, 0
	v_dual_mov_b32 v29, 0 :: v_dual_add_nc_u32 v120, v115, v17
	v_mov_b32_e32 v31, 0
	v_mov_b32_e32 v93, 0
	s_add_u32 s4, s0, 0xd0
	s_addc_u32 s5, s1, 0
.LBB33_9:                               ; =>This Inner Loop Header: Depth=1
	s_mul_hi_i32 s19, s3, s13
	s_mul_i32 s18, s3, s13
	v_dual_mov_b32 v187, v0 :: v_dual_mov_b32 v184, 0
	s_lshl_b64 s[18:19], s[18:19], 2
	v_dual_mov_b32 v167, v7 :: v_dual_mov_b32 v186, v1
	s_add_u32 s17, s8, s18
	s_addc_u32 s18, s9, s19
	v_add_co_u32 v0, vcc_lo, s17, v44
	v_add_co_ci_u32_e32 v1, vcc_lo, s18, v45, vcc_lo
	v_dual_mov_b32 v159, v9 :: v_dual_mov_b32 v180, v2
	s_delay_alu instid0(VALU_DEP_3) | instskip(NEXT) | instid1(VALU_DEP_3)
	v_add_co_u32 v0, vcc_lo, v0, v119
	v_add_co_ci_u32_e32 v1, vcc_lo, 0, v1, vcc_lo
	v_dual_mov_b32 v179, v3 :: v_dual_mov_b32 v182, 0
	v_dual_mov_b32 v143, v32 :: v_dual_mov_b32 v148, v30
	global_load_b128 v[0:3], v[0:1], off
	v_dual_mov_b32 v147, v31 :: v_dual_mov_b32 v152, v28
	v_dual_mov_b32 v151, v29 :: v_dual_mov_b32 v158, v26
	;; [unrolled: 1-line block ×18, first 2 shown]
	v_mov_b32_e32 v155, 0
	v_dual_mov_b32 v193, 0 :: v_dual_mov_b32 v188, 0
	v_dual_mov_b32 v190, 0 :: v_dual_mov_b32 v181, 0
	s_mul_hi_i32 s19, s3, s10
	v_mov_b32_e32 v194, 0
	s_waitcnt vmcnt(0)
	ds_store_b128 v100, v[0:3]
	v_add_co_u32 v0, vcc_lo, s17, v46
	v_add_co_ci_u32_e32 v1, vcc_lo, s18, v47, vcc_lo
	s_delay_alu instid0(VALU_DEP_2) | instskip(NEXT) | instid1(VALU_DEP_2)
	v_add_co_u32 v0, vcc_lo, v0, v119
	v_add_co_ci_u32_e32 v1, vcc_lo, 0, v1, vcc_lo
	global_load_b128 v[0:3], v[0:1], off
	s_waitcnt vmcnt(0)
	ds_store_b128 v101, v[0:3]
	v_add_co_u32 v0, vcc_lo, s17, v48
	v_add_co_ci_u32_e32 v1, vcc_lo, s18, v49, vcc_lo
	s_delay_alu instid0(VALU_DEP_2) | instskip(NEXT) | instid1(VALU_DEP_2)
	v_add_co_u32 v0, vcc_lo, v0, v119
	v_add_co_ci_u32_e32 v1, vcc_lo, 0, v1, vcc_lo
	global_load_b128 v[0:3], v[0:1], off
	s_waitcnt vmcnt(0)
	ds_store_b128 v102, v[0:3]
	v_add_co_u32 v0, vcc_lo, s17, v50
	v_add_co_ci_u32_e32 v1, vcc_lo, s18, v51, vcc_lo
	s_mul_i32 s18, s3, s10
	s_delay_alu instid0(VALU_DEP_2) | instskip(NEXT) | instid1(VALU_DEP_2)
	v_add_co_u32 v0, vcc_lo, v0, v119
	v_add_co_ci_u32_e32 v1, vcc_lo, 0, v1, vcc_lo
	v_cmp_gt_i32_e32 vcc_lo, 32, v98
	s_lshl_b64 s[18:19], s[18:19], 2
	global_load_b128 v[0:3], v[0:1], off
	s_add_u32 s17, s11, s18
	s_addc_u32 s18, s16, s19
	s_waitcnt vmcnt(0)
	ds_store_b128 v103, v[0:3]
	s_waitcnt lgkmcnt(0)
	s_barrier
	buffer_gl0_inv
	ds_load_b128 v[196:199], v104
	ds_load_b128 v[0:3], v104 offset:4608
	ds_load_b128 v[200:203], v105
	ds_load_b128 v[204:207], v105 offset:128
	ds_load_b128 v[208:211], v105 offset:256
	;; [unrolled: 1-line block ×15, first 2 shown]
	s_waitcnt lgkmcnt(15)
	;;#ASMSTART
	v_dot2_f32_f16 v192, v196, v200, v192
	;;#ASMEND
	;;#ASMSTART
	v_dot2_f32_f16 v192, v197, v201, v192
	;;#ASMEND
	;;#ASMSTART
	v_dot2_f32_f16 v192, v198, v202, v192
	;;#ASMEND
	;;#ASMSTART
	v_dot2_f32_f16 v192, v199, v203, v192
	;;#ASMEND
	s_waitcnt lgkmcnt(14)
	;;#ASMSTART
	v_dot2_f32_f16 v195, v196, v204, v195
	;;#ASMEND
	;;#ASMSTART
	v_dot2_f32_f16 v195, v197, v205, v195
	;;#ASMEND
	;;#ASMSTART
	v_dot2_f32_f16 v195, v198, v206, v195
	;;#ASMEND
	;;#ASMSTART
	v_dot2_f32_f16 v195, v199, v207, v195
	;;#ASMEND
	;; [unrolled: 13-line block ×15, first 2 shown]
	s_waitcnt lgkmcnt(0)
	;;#ASMSTART
	v_dot2_f32_f16 v156, v196, v4, v156
	;;#ASMEND
	;;#ASMSTART
	v_dot2_f32_f16 v156, v197, v5, v156
	;;#ASMEND
	;; [unrolled: 3-line block ×3, first 2 shown]
	v_mov_b32_e32 v196, 0
	;;#ASMSTART
	v_dot2_f32_f16 v156, v199, v7, v156
	;;#ASMEND
	;;#ASMSTART
	v_dot2_f32_f16 v196, v0, v200, v196
	;;#ASMEND
	;; [unrolled: 3-line block ×4, first 2 shown]
	v_mov_b32_e32 v197, 0
	;;#ASMSTART
	v_dot2_f32_f16 v196, v3, v203, v196
	;;#ASMEND
	;;#ASMSTART
	v_dot2_f32_f16 v197, v0, v204, v197
	;;#ASMEND
	;; [unrolled: 3-line block ×24, first 2 shown]
	v_mov_b32_e32 v40, 0
	;;#ASMSTART
	v_dot2_f32_f16 v181, v3, v43, v181
	;;#ASMEND
	;;#ASMSTART
	v_dot2_f32_f16 v40, v0, v36, v40
	;;#ASMEND
	;; [unrolled: 3-line block ×5, first 2 shown]
	v_mov_b32_e32 v39, 0
	;;#ASMSTART
	v_dot2_f32_f16 v39, v0, v32, v39
	;;#ASMEND
	;;#ASMSTART
	v_dot2_f32_f16 v39, v1, v33, v39
	;;#ASMEND
	;; [unrolled: 3-line block ×3, first 2 shown]
	v_mov_b32_e32 v32, 0
	;;#ASMSTART
	v_dot2_f32_f16 v39, v3, v35, v39
	;;#ASMEND
	;;#ASMSTART
	v_dot2_f32_f16 v32, v0, v28, v32
	;;#ASMEND
	;; [unrolled: 3-line block ×3, first 2 shown]
	v_mov_b32_e32 v29, 0
	;;#ASMSTART
	v_dot2_f32_f16 v32, v2, v30, v32
	;;#ASMEND
	v_mov_b32_e32 v28, 0
	;;#ASMSTART
	v_dot2_f32_f16 v32, v3, v31, v32
	;;#ASMEND
	;;#ASMSTART
	v_dot2_f32_f16 v28, v0, v24, v28
	;;#ASMEND
	;; [unrolled: 3-line block ×8, first 2 shown]
	v_mov_b32_e32 v30, 0
	;;#ASMSTART
	v_dot2_f32_f16 v29, v3, v23, v29
	;;#ASMEND
	;;#ASMSTART
	v_dot2_f32_f16 v30, v0, v16, v30
	;;#ASMEND
	;;#ASMSTART
	v_dot2_f32_f16 v30, v1, v17, v30
	;;#ASMEND
	;;#ASMSTART
	v_dot2_f32_f16 v30, v2, v18, v30
	;;#ASMEND
	v_mov_b32_e32 v16, 0
	;;#ASMSTART
	v_dot2_f32_f16 v30, v3, v19, v30
	;;#ASMEND
	;;#ASMSTART
	v_dot2_f32_f16 v16, v0, v12, v16
	;;#ASMEND
	;;#ASMSTART
	v_dot2_f32_f16 v16, v1, v13, v16
	;;#ASMEND
	;;#ASMSTART
	v_dot2_f32_f16 v16, v2, v14, v16
	;;#ASMEND
	v_mov_b32_e32 v14, 0
	;;#ASMSTART
	v_dot2_f32_f16 v16, v3, v15, v16
	;;#ASMEND
	;;#ASMSTART
	v_dot2_f32_f16 v14, v0, v8, v14
	;;#ASMEND
	;;#ASMSTART
	v_dot2_f32_f16 v14, v1, v9, v14
	;;#ASMEND
	;;#ASMSTART
	v_dot2_f32_f16 v14, v2, v10, v14
	;;#ASMEND
	v_mov_b32_e32 v15, 0
	;;#ASMSTART
	v_dot2_f32_f16 v14, v3, v11, v14
	;;#ASMEND
	;;#ASMSTART
	v_dot2_f32_f16 v15, v0, v4, v15
	;;#ASMEND
	;;#ASMSTART
	v_dot2_f32_f16 v15, v1, v5, v15
	;;#ASMEND
	;;#ASMSTART
	v_dot2_f32_f16 v15, v2, v6, v15
	;;#ASMEND
	;;#ASMSTART
	v_dot2_f32_f16 v15, v3, v7, v15
	;;#ASMEND
	ds_load_b128 v[0:3], v104 offset:16
	ds_load_b128 v[4:7], v104 offset:4624
	;; [unrolled: 1-line block ×18, first 2 shown]
	s_waitcnt lgkmcnt(15)
	;;#ASMSTART
	v_dot2_f32_f16 v192, v0, v8, v192
	;;#ASMEND
	;;#ASMSTART
	v_dot2_f32_f16 v192, v1, v9, v192
	;;#ASMEND
	;;#ASMSTART
	v_dot2_f32_f16 v192, v2, v10, v192
	;;#ASMEND
	;;#ASMSTART
	v_dot2_f32_f16 v192, v3, v11, v192
	;;#ASMEND
	s_waitcnt lgkmcnt(14)
	;;#ASMSTART
	v_dot2_f32_f16 v195, v0, v17, v195
	;;#ASMEND
	;;#ASMSTART
	v_dot2_f32_f16 v195, v1, v18, v195
	;;#ASMEND
	;;#ASMSTART
	v_dot2_f32_f16 v195, v2, v19, v195
	;;#ASMEND
	;;#ASMSTART
	v_dot2_f32_f16 v195, v3, v20, v195
	;;#ASMEND
	;; [unrolled: 13-line block ×16, first 2 shown]
	;;#ASMSTART
	v_dot2_f32_f16 v196, v4, v8, v196
	;;#ASMEND
	;;#ASMSTART
	v_dot2_f32_f16 v196, v5, v9, v196
	;;#ASMEND
	;; [unrolled: 3-line block ×64, first 2 shown]
	ds_load_b128 v[0:3], v104 offset:32
	ds_load_b128 v[4:7], v104 offset:4640
	;; [unrolled: 1-line block ×18, first 2 shown]
	s_waitcnt lgkmcnt(15)
	;;#ASMSTART
	v_dot2_f32_f16 v192, v0, v8, v192
	;;#ASMEND
	;;#ASMSTART
	v_dot2_f32_f16 v192, v1, v9, v192
	;;#ASMEND
	;;#ASMSTART
	v_dot2_f32_f16 v192, v2, v10, v192
	;;#ASMEND
	;;#ASMSTART
	v_dot2_f32_f16 v192, v3, v11, v192
	;;#ASMEND
	s_waitcnt lgkmcnt(14)
	;;#ASMSTART
	v_dot2_f32_f16 v195, v0, v17, v195
	;;#ASMEND
	;;#ASMSTART
	v_dot2_f32_f16 v195, v1, v18, v195
	;;#ASMEND
	;;#ASMSTART
	v_dot2_f32_f16 v195, v2, v19, v195
	;;#ASMEND
	;;#ASMSTART
	v_dot2_f32_f16 v195, v3, v20, v195
	;;#ASMEND
	;; [unrolled: 13-line block ×16, first 2 shown]
	;;#ASMSTART
	v_dot2_f32_f16 v196, v4, v8, v196
	;;#ASMEND
	;;#ASMSTART
	v_dot2_f32_f16 v196, v5, v9, v196
	;;#ASMEND
	;; [unrolled: 3-line block ×64, first 2 shown]
	ds_load_b128 v[0:3], v104 offset:48
	ds_load_b128 v[4:7], v104 offset:4656
	;; [unrolled: 1-line block ×18, first 2 shown]
	s_waitcnt lgkmcnt(15)
	;;#ASMSTART
	v_dot2_f32_f16 v192, v0, v8, v192
	;;#ASMEND
	;;#ASMSTART
	v_dot2_f32_f16 v192, v1, v9, v192
	;;#ASMEND
	;;#ASMSTART
	v_dot2_f32_f16 v192, v2, v10, v192
	;;#ASMEND
	;;#ASMSTART
	v_dot2_f32_f16 v192, v3, v11, v192
	;;#ASMEND
	s_waitcnt lgkmcnt(14)
	;;#ASMSTART
	v_dot2_f32_f16 v195, v0, v17, v195
	;;#ASMEND
	;;#ASMSTART
	v_dot2_f32_f16 v195, v1, v18, v195
	;;#ASMEND
	;;#ASMSTART
	v_dot2_f32_f16 v195, v2, v19, v195
	;;#ASMEND
	;;#ASMSTART
	v_dot2_f32_f16 v195, v3, v20, v195
	;;#ASMEND
	;; [unrolled: 13-line block ×16, first 2 shown]
	;;#ASMSTART
	v_dot2_f32_f16 v196, v4, v8, v196
	;;#ASMEND
	;;#ASMSTART
	v_dot2_f32_f16 v196, v5, v9, v196
	;;#ASMEND
	;; [unrolled: 3-line block ×64, first 2 shown]
	ds_load_b128 v[0:3], v104 offset:64
	ds_load_b128 v[4:7], v104 offset:4672
	;; [unrolled: 1-line block ×18, first 2 shown]
	s_waitcnt lgkmcnt(15)
	;;#ASMSTART
	v_dot2_f32_f16 v192, v0, v8, v192
	;;#ASMEND
	;;#ASMSTART
	v_dot2_f32_f16 v192, v1, v9, v192
	;;#ASMEND
	;;#ASMSTART
	v_dot2_f32_f16 v192, v2, v10, v192
	;;#ASMEND
	;;#ASMSTART
	v_dot2_f32_f16 v192, v3, v11, v192
	;;#ASMEND
	s_waitcnt lgkmcnt(14)
	;;#ASMSTART
	v_dot2_f32_f16 v195, v0, v17, v195
	;;#ASMEND
	;;#ASMSTART
	v_dot2_f32_f16 v195, v1, v18, v195
	;;#ASMEND
	;;#ASMSTART
	v_dot2_f32_f16 v195, v2, v19, v195
	;;#ASMEND
	;;#ASMSTART
	v_dot2_f32_f16 v195, v3, v20, v195
	;;#ASMEND
	;; [unrolled: 13-line block ×16, first 2 shown]
	;;#ASMSTART
	v_dot2_f32_f16 v196, v4, v8, v196
	;;#ASMEND
	;;#ASMSTART
	v_dot2_f32_f16 v196, v5, v9, v196
	;;#ASMEND
	;; [unrolled: 3-line block ×64, first 2 shown]
	ds_load_b128 v[0:3], v104 offset:80
	ds_load_b128 v[4:7], v104 offset:4688
	;; [unrolled: 1-line block ×18, first 2 shown]
	s_waitcnt lgkmcnt(15)
	;;#ASMSTART
	v_dot2_f32_f16 v192, v0, v8, v192
	;;#ASMEND
	;;#ASMSTART
	v_dot2_f32_f16 v192, v1, v9, v192
	;;#ASMEND
	;;#ASMSTART
	v_dot2_f32_f16 v192, v2, v10, v192
	;;#ASMEND
	;;#ASMSTART
	v_dot2_f32_f16 v192, v3, v11, v192
	;;#ASMEND
	s_waitcnt lgkmcnt(14)
	;;#ASMSTART
	v_dot2_f32_f16 v195, v0, v17, v195
	;;#ASMEND
	;;#ASMSTART
	v_dot2_f32_f16 v195, v1, v18, v195
	;;#ASMEND
	;;#ASMSTART
	v_dot2_f32_f16 v195, v2, v19, v195
	;;#ASMEND
	;;#ASMSTART
	v_dot2_f32_f16 v195, v3, v20, v195
	;;#ASMEND
	;; [unrolled: 13-line block ×16, first 2 shown]
	;;#ASMSTART
	v_dot2_f32_f16 v196, v4, v8, v196
	;;#ASMEND
	;;#ASMSTART
	v_dot2_f32_f16 v196, v5, v9, v196
	;;#ASMEND
	;; [unrolled: 3-line block ×64, first 2 shown]
	ds_load_b128 v[0:3], v104 offset:96
	ds_load_b128 v[4:7], v104 offset:4704
	;; [unrolled: 1-line block ×18, first 2 shown]
	s_waitcnt lgkmcnt(15)
	;;#ASMSTART
	v_dot2_f32_f16 v192, v0, v8, v192
	;;#ASMEND
	;;#ASMSTART
	v_dot2_f32_f16 v192, v1, v9, v192
	;;#ASMEND
	;;#ASMSTART
	v_dot2_f32_f16 v192, v2, v10, v192
	;;#ASMEND
	;;#ASMSTART
	v_dot2_f32_f16 v192, v3, v11, v192
	;;#ASMEND
	s_waitcnt lgkmcnt(14)
	;;#ASMSTART
	v_dot2_f32_f16 v195, v0, v17, v195
	;;#ASMEND
	;;#ASMSTART
	v_dot2_f32_f16 v195, v1, v18, v195
	;;#ASMEND
	;;#ASMSTART
	v_dot2_f32_f16 v195, v2, v19, v195
	;;#ASMEND
	;;#ASMSTART
	v_dot2_f32_f16 v195, v3, v20, v195
	;;#ASMEND
	;; [unrolled: 13-line block ×16, first 2 shown]
	;;#ASMSTART
	v_dot2_f32_f16 v196, v4, v8, v196
	;;#ASMEND
	;;#ASMSTART
	v_dot2_f32_f16 v196, v5, v9, v196
	;;#ASMEND
	;; [unrolled: 3-line block ×64, first 2 shown]
	ds_load_b128 v[0:3], v104 offset:112
	ds_load_b128 v[4:7], v104 offset:4720
	;; [unrolled: 1-line block ×18, first 2 shown]
	s_waitcnt lgkmcnt(15)
	;;#ASMSTART
	v_dot2_f32_f16 v192, v0, v8, v192
	;;#ASMEND
	;;#ASMSTART
	v_dot2_f32_f16 v192, v1, v9, v192
	;;#ASMEND
	;;#ASMSTART
	v_dot2_f32_f16 v192, v2, v10, v192
	;;#ASMEND
	;;#ASMSTART
	v_dot2_f32_f16 v192, v3, v11, v192
	;;#ASMEND
	s_waitcnt lgkmcnt(14)
	;;#ASMSTART
	v_dot2_f32_f16 v195, v0, v17, v195
	;;#ASMEND
	;;#ASMSTART
	v_dot2_f32_f16 v195, v1, v18, v195
	;;#ASMEND
	;;#ASMSTART
	v_dot2_f32_f16 v195, v2, v19, v195
	;;#ASMEND
	;;#ASMSTART
	v_dot2_f32_f16 v195, v3, v20, v195
	;;#ASMEND
	;; [unrolled: 13-line block ×16, first 2 shown]
	;;#ASMSTART
	v_dot2_f32_f16 v196, v4, v8, v196
	;;#ASMEND
	;;#ASMSTART
	v_dot2_f32_f16 v196, v5, v9, v196
	;;#ASMEND
	;; [unrolled: 3-line block ×14, first 2 shown]
	v_cndmask_b32_e32 v0, v92, v98, vcc_lo
	v_cmp_gt_i32_e32 vcc_lo, 32, v99
	;;#ASMSTART
	v_dot2_f32_f16 v194, v6, v35, v194
	;;#ASMEND
	;;#ASMSTART
	v_dot2_f32_f16 v194, v7, v36, v194
	;;#ASMEND
	;; [unrolled: 3-line block ×6, first 2 shown]
	v_dual_cndmask_b32 v0, v92, v99 :: v_dual_lshlrev_b32 v201, 2, v0
	v_cmp_gt_i32_e32 vcc_lo, 32, v96
	;;#ASMSTART
	v_dot2_f32_f16 v190, v4, v202, v190
	;;#ASMEND
	;;#ASMSTART
	v_dot2_f32_f16 v190, v5, v203, v190
	;;#ASMEND
	;; [unrolled: 3-line block ×3, first 2 shown]
	v_lshlrev_b32_e32 v200, 2, v0
	v_cndmask_b32_e32 v0, v92, v96, vcc_lo
	v_cmp_gt_i32_e32 vcc_lo, 32, v97
	;;#ASMSTART
	v_dot2_f32_f16 v190, v7, v205, v190
	;;#ASMEND
	;;#ASMSTART
	v_dot2_f32_f16 v181, v4, v206, v181
	;;#ASMEND
	;; [unrolled: 3-line block ×3, first 2 shown]
	v_dual_cndmask_b32 v0, v92, v97 :: v_dual_lshlrev_b32 v199, 2, v0
	v_cmp_gt_i32_e32 vcc_lo, 32, v95
	;;#ASMSTART
	v_dot2_f32_f16 v181, v6, v208, v181
	;;#ASMEND
	v_add_nc_u32_e32 v2, s3, v90
	;;#ASMSTART
	v_dot2_f32_f16 v181, v7, v209, v181
	;;#ASMEND
	v_lshlrev_b32_e32 v198, 2, v0
	v_cndmask_b32_e32 v0, v92, v95, vcc_lo
	;;#ASMSTART
	v_dot2_f32_f16 v40, v4, v210, v40
	;;#ASMEND
	;;#ASMSTART
	v_dot2_f32_f16 v40, v5, v211, v40
	;;#ASMEND
	;; [unrolled: 3-line block ×6, first 2 shown]
	v_lshlrev_b32_e32 v17, 2, v0
	v_add_nc_u32_e32 v0, v2, v106
	;;#ASMSTART
	v_dot2_f32_f16 v39, v6, v216, v39
	;;#ASMEND
	;;#ASMSTART
	v_dot2_f32_f16 v39, v7, v217, v39
	;;#ASMEND
	;; [unrolled: 3-line block ×7, first 2 shown]
	v_ashrrev_i32_e32 v1, 31, v0
	;;#ASMSTART
	v_dot2_f32_f16 v28, v5, v223, v28
	;;#ASMEND
	;;#ASMSTART
	v_dot2_f32_f16 v28, v6, v224, v28
	;;#ASMEND
	;; [unrolled: 3-line block ×6, first 2 shown]
	v_lshlrev_b64 v[0:1], 1, v[0:1]
	;;#ASMSTART
	v_dot2_f32_f16 v29, v7, v229, v29
	;;#ASMEND
	;;#ASMSTART
	v_dot2_f32_f16 v30, v4, v230, v30
	;;#ASMEND
	;;#ASMSTART
	v_dot2_f32_f16 v30, v5, v231, v30
	;;#ASMEND
	;;#ASMSTART
	v_dot2_f32_f16 v30, v6, v232, v30
	;;#ASMEND
	;;#ASMSTART
	v_dot2_f32_f16 v30, v7, v233, v30
	;;#ASMEND
	;;#ASMSTART
	v_dot2_f32_f16 v16, v4, v234, v16
	;;#ASMEND
	;;#ASMSTART
	v_dot2_f32_f16 v16, v5, v235, v16
	;;#ASMEND
	;;#ASMSTART
	v_dot2_f32_f16 v16, v6, v236, v16
	;;#ASMEND
	v_add_co_u32 v0, vcc_lo, s52, v0
	;;#ASMSTART
	v_dot2_f32_f16 v16, v7, v237, v16
	;;#ASMEND
	;;#ASMSTART
	v_dot2_f32_f16 v14, v4, v238, v14
	;;#ASMEND
	;; [unrolled: 3-line block ×3, first 2 shown]
	v_add_co_ci_u32_e32 v1, vcc_lo, s53, v1, vcc_lo
	;;#ASMSTART
	v_dot2_f32_f16 v14, v6, v240, v14
	;;#ASMEND
	;;#ASMSTART
	v_dot2_f32_f16 v14, v7, v241, v14
	;;#ASMEND
	;; [unrolled: 3-line block ×6, first 2 shown]
	s_clause 0x1
	flat_load_u16 v3, v[0:1]
	flat_load_u16 v0, v[0:1] offset:64
	s_waitcnt vmcnt(1) lgkmcnt(1)
	v_cvt_f32_f16_e32 v3, v3
	s_waitcnt vmcnt(0) lgkmcnt(0)
	v_cvt_f32_f16_e32 v18, v0
	s_delay_alu instid0(VALU_DEP_1) | instskip(NEXT) | instid1(VALU_DEP_1)
	v_dual_add_f32 v19, v197, v18 :: v_dual_add_nc_u32 v0, v2, v107
	v_ashrrev_i32_e32 v1, 31, v0
	s_delay_alu instid0(VALU_DEP_2) | instskip(NEXT) | instid1(VALU_DEP_2)
	v_add_f32_e32 v23, 0x40051340, v19
	v_lshlrev_b64 v[0:1], 1, v[0:1]
	s_delay_alu instid0(VALU_DEP_1) | instskip(NEXT) | instid1(VALU_DEP_2)
	v_add_co_u32 v0, vcc_lo, s52, v0
	v_add_co_ci_u32_e32 v1, vcc_lo, s53, v1, vcc_lo
	s_clause 0x1
	flat_load_u16 v4, v[0:1]
	flat_load_u16 v0, v[0:1] offset:64
	s_waitcnt vmcnt(1) lgkmcnt(1)
	v_cvt_f32_f16_e32 v20, v4
	s_waitcnt vmcnt(0) lgkmcnt(0)
	v_cvt_f32_f16_e32 v21, v0
	v_add_nc_u32_e32 v0, v2, v108
	s_delay_alu instid0(VALU_DEP_1) | instskip(NEXT) | instid1(VALU_DEP_1)
	v_ashrrev_i32_e32 v1, 31, v0
	v_lshlrev_b64 v[0:1], 1, v[0:1]
	s_delay_alu instid0(VALU_DEP_1) | instskip(NEXT) | instid1(VALU_DEP_2)
	v_add_co_u32 v0, vcc_lo, s52, v0
	v_add_co_ci_u32_e32 v1, vcc_lo, s53, v1, vcc_lo
	s_clause 0x1
	flat_load_u16 v4, v[0:1]
	flat_load_u16 v0, v[0:1] offset:64
	s_waitcnt vmcnt(1) lgkmcnt(1)
	v_cvt_f32_f16_e32 v5, v4
	s_waitcnt vmcnt(0) lgkmcnt(0)
	v_cvt_f32_f16_e32 v4, v0
	v_add_nc_u32_e32 v0, v2, v109
	s_delay_alu instid0(VALU_DEP_1) | instskip(NEXT) | instid1(VALU_DEP_1)
	v_ashrrev_i32_e32 v1, 31, v0
	;; [unrolled: 14-line block ×3, first 2 shown]
	v_lshlrev_b64 v[0:1], 1, v[0:1]
	s_delay_alu instid0(VALU_DEP_1) | instskip(NEXT) | instid1(VALU_DEP_2)
	v_add_co_u32 v0, vcc_lo, s52, v0
	v_add_co_ci_u32_e32 v1, vcc_lo, s53, v1, vcc_lo
	s_clause 0x1
	flat_load_u16 v8, v[0:1]
	flat_load_u16 v0, v[0:1] offset:64
	s_waitcnt vmcnt(1) lgkmcnt(1)
	v_cvt_f32_f16_e32 v9, v8
	s_waitcnt vmcnt(0) lgkmcnt(0)
	v_cvt_f32_f16_e32 v8, v0
	s_delay_alu instid0(VALU_DEP_1) | instskip(NEXT) | instid1(VALU_DEP_1)
	v_dual_add_f32 v39, v39, v8 :: v_dual_add_nc_u32 v0, v2, v111
	v_ashrrev_i32_e32 v1, 31, v0
	v_add_f32_e32 v32, v32, v8
	s_delay_alu instid0(VALU_DEP_2) | instskip(NEXT) | instid1(VALU_DEP_1)
	v_lshlrev_b64 v[0:1], 1, v[0:1]
	v_add_co_u32 v0, vcc_lo, s52, v0
	s_delay_alu instid0(VALU_DEP_2)
	v_add_co_ci_u32_e32 v1, vcc_lo, s53, v1, vcc_lo
	s_clause 0x1
	flat_load_u16 v10, v[0:1]
	flat_load_u16 v0, v[0:1] offset:64
	s_waitcnt vmcnt(1) lgkmcnt(1)
	v_cvt_f32_f16_e32 v11, v10
	s_waitcnt vmcnt(0) lgkmcnt(0)
	v_cvt_f32_f16_e32 v10, v0
	s_delay_alu instid0(VALU_DEP_1) | instskip(NEXT) | instid1(VALU_DEP_1)
	v_dual_add_f32 v29, v29, v10 :: v_dual_add_nc_u32 v0, v2, v112
	v_ashrrev_i32_e32 v1, 31, v0
	v_add_f32_e32 v28, v28, v10
	s_delay_alu instid0(VALU_DEP_2) | instskip(NEXT) | instid1(VALU_DEP_2)
	v_lshlrev_b64 v[0:1], 1, v[0:1]
	v_add_f32_e32 v10, 0x40051340, v28
	s_delay_alu instid0(VALU_DEP_2) | instskip(NEXT) | instid1(VALU_DEP_3)
	v_add_co_u32 v0, vcc_lo, s52, v0
	v_add_co_ci_u32_e32 v1, vcc_lo, s53, v1, vcc_lo
	s_clause 0x1
	flat_load_u16 v12, v[0:1]
	flat_load_u16 v0, v[0:1] offset:64
	s_waitcnt vmcnt(1) lgkmcnt(1)
	v_cvt_f32_f16_e32 v13, v12
	s_waitcnt vmcnt(0) lgkmcnt(0)
	v_cvt_f32_f16_e32 v12, v0
	v_add_nc_u32_e32 v0, v2, v113
	s_delay_alu instid0(VALU_DEP_1) | instskip(NEXT) | instid1(VALU_DEP_1)
	v_ashrrev_i32_e32 v1, 31, v0
	v_lshlrev_b64 v[0:1], 1, v[0:1]
	s_delay_alu instid0(VALU_DEP_1) | instskip(NEXT) | instid1(VALU_DEP_2)
	v_add_co_u32 v0, vcc_lo, s52, v0
	v_add_co_ci_u32_e32 v1, vcc_lo, s53, v1, vcc_lo
	s_clause 0x1
	flat_load_u16 v2, v[0:1]
	flat_load_u16 v0, v[0:1] offset:64
	s_waitcnt vmcnt(0) lgkmcnt(0)
	s_barrier
	buffer_gl0_inv
	v_cvt_f32_f16_e64 v203, v2
	v_add_f32_e32 v2, v195, v3
	v_add_f32_e32 v3, v192, v3
	v_cvt_f32_f16_e64 v202, v0
	s_delay_alu instid0(VALU_DEP_2) | instskip(NEXT) | instid1(VALU_DEP_1)
	v_dual_add_f32 v1, 0x40051340, v2 :: v_dual_add_f32 v0, 0x40051340, v3
	v_max3_f32 v1, v186, v1, v23
	ds_bpermute_b32 v23, v201, v1
	s_waitcnt lgkmcnt(0)
	v_max_f32_e32 v23, v23, v23
	s_delay_alu instid0(VALU_DEP_1) | instskip(SKIP_3) | instid1(VALU_DEP_1)
	v_max_f32_e32 v1, v1, v23
	ds_bpermute_b32 v23, v200, v1
	s_waitcnt lgkmcnt(0)
	v_max_f32_e32 v23, v23, v23
	v_max_f32_e32 v1, v1, v23
	ds_bpermute_b32 v23, v199, v1
	s_waitcnt lgkmcnt(0)
	v_max_f32_e32 v23, v23, v23
	s_delay_alu instid0(VALU_DEP_1) | instskip(SKIP_3) | instid1(VALU_DEP_1)
	v_max_f32_e32 v1, v1, v23
	ds_bpermute_b32 v23, v198, v1
	s_waitcnt lgkmcnt(0)
	v_max_f32_e32 v23, v23, v23
	v_max_f32_e32 v1, v1, v23
	ds_bpermute_b32 v23, v17, v1
	s_waitcnt lgkmcnt(0)
	v_dual_max_f32 v23, v23, v23 :: v_dual_add_f32 v18, v196, v18
	s_delay_alu instid0(VALU_DEP_1) | instskip(NEXT) | instid1(VALU_DEP_1)
	v_dual_max_f32 v1, v1, v23 :: v_dual_add_f32 v22, 0x40051340, v18
	v_sub_f32_e32 v2, v2, v1
	s_delay_alu instid0(VALU_DEP_2) | instskip(SKIP_3) | instid1(VALU_DEP_1)
	v_max3_f32 v0, v187, v0, v22
	ds_bpermute_b32 v22, v201, v0
	s_waitcnt lgkmcnt(0)
	v_max_f32_e32 v22, v22, v22
	v_max_f32_e32 v0, v0, v22
	ds_bpermute_b32 v22, v200, v0
	s_waitcnt lgkmcnt(0)
	v_max_f32_e32 v22, v22, v22
	s_delay_alu instid0(VALU_DEP_1) | instskip(SKIP_3) | instid1(VALU_DEP_1)
	v_max_f32_e32 v0, v0, v22
	ds_bpermute_b32 v22, v199, v0
	s_waitcnt lgkmcnt(0)
	v_max_f32_e32 v22, v22, v22
	v_max_f32_e32 v0, v0, v22
	ds_bpermute_b32 v22, v198, v0
	s_waitcnt lgkmcnt(0)
	v_max_f32_e32 v22, v22, v22
	s_delay_alu instid0(VALU_DEP_1) | instskip(SKIP_3) | instid1(VALU_DEP_1)
	v_max_f32_e32 v0, v0, v22
	ds_bpermute_b32 v22, v17, v0
	s_waitcnt lgkmcnt(0)
	v_max_f32_e32 v22, v22, v22
	v_max_f32_e32 v0, v0, v22
	s_delay_alu instid0(VALU_DEP_1) | instskip(SKIP_2) | instid1(VALU_DEP_2)
	v_sub_f32_e32 v22, v187, v0
	v_sub_f32_e32 v18, v18, v0
	;; [unrolled: 1-line block ×3, first 2 shown]
	v_mul_f32_e32 v23, 0x3fb8aa3b, v18
	v_cmp_ngt_f32_e32 vcc_lo, 0xc2ce8ed0, v18
	s_delay_alu instid0(VALU_DEP_2) | instskip(SKIP_1) | instid1(VALU_DEP_1)
	v_fma_f32 v24, 0x3fb8aa3b, v18, -v23
	v_rndne_f32_e32 v25, v23
	v_dual_fmac_f32 v24, 0x32a5705f, v18 :: v_dual_sub_f32 v23, v23, v25
	s_delay_alu instid0(VALU_DEP_1) | instskip(SKIP_1) | instid1(VALU_DEP_2)
	v_add_f32_e32 v23, v23, v24
	v_cvt_i32_f32_e32 v24, v25
	v_exp_f32_e32 v23, v23
	s_waitcnt_depctr 0xfff
	v_ldexp_f32 v23, v23, v24
	s_delay_alu instid0(VALU_DEP_1) | instskip(SKIP_2) | instid1(VALU_DEP_3)
	v_cndmask_b32_e32 v23, 0, v23, vcc_lo
	v_cmp_nlt_f32_e32 vcc_lo, 0x42b17218, v18
	v_mul_f32_e32 v18, 0x3fb8aa3b, v2
	v_cndmask_b32_e32 v23, 0x7f800000, v23, vcc_lo
	s_delay_alu instid0(VALU_DEP_2) | instskip(SKIP_2) | instid1(VALU_DEP_4)
	v_fma_f32 v24, 0x3fb8aa3b, v2, -v18
	v_rndne_f32_e32 v25, v18
	v_cmp_ngt_f32_e32 vcc_lo, 0xc2ce8ed0, v2
	v_cvt_f16_f32_e32 v26, v23
	s_delay_alu instid0(VALU_DEP_4) | instskip(NEXT) | instid1(VALU_DEP_4)
	v_fmac_f32_e32 v24, 0x32a5705f, v2
	v_sub_f32_e32 v18, v18, v25
	s_delay_alu instid0(VALU_DEP_1) | instskip(SKIP_1) | instid1(VALU_DEP_2)
	v_add_f32_e32 v18, v18, v24
	v_cvt_i32_f32_e32 v24, v25
	v_exp_f32_e32 v18, v18
	s_waitcnt_depctr 0xfff
	v_ldexp_f32 v18, v18, v24
	s_delay_alu instid0(VALU_DEP_1) | instskip(SKIP_1) | instid1(VALU_DEP_2)
	v_cndmask_b32_e32 v18, 0, v18, vcc_lo
	v_cmp_nlt_f32_e32 vcc_lo, 0x42b17218, v2
	v_cndmask_b32_e32 v2, 0x7f800000, v18, vcc_lo
	v_mul_f32_e32 v18, 0x3fb8aa3b, v3
	v_cmp_ngt_f32_e32 vcc_lo, 0xc2ce8ed0, v3
	s_delay_alu instid0(VALU_DEP_3) | instskip(NEXT) | instid1(VALU_DEP_3)
	v_cvt_f16_f32_e32 v31, v2
	v_fma_f32 v24, 0x3fb8aa3b, v3, -v18
	v_rndne_f32_e32 v25, v18
	s_delay_alu instid0(VALU_DEP_2) | instskip(NEXT) | instid1(VALU_DEP_2)
	v_fmac_f32_e32 v24, 0x32a5705f, v3
	v_sub_f32_e32 v18, v18, v25
	s_delay_alu instid0(VALU_DEP_1) | instskip(SKIP_1) | instid1(VALU_DEP_2)
	v_add_f32_e32 v18, v18, v24
	v_cvt_i32_f32_e32 v24, v25
	v_exp_f32_e32 v18, v18
	s_waitcnt_depctr 0xfff
	v_ldexp_f32 v18, v18, v24
	s_delay_alu instid0(VALU_DEP_1) | instskip(SKIP_1) | instid1(VALU_DEP_2)
	v_cndmask_b32_e32 v18, 0, v18, vcc_lo
	v_cmp_nlt_f32_e32 vcc_lo, 0x42b17218, v3
	v_cndmask_b32_e32 v3, 0x7f800000, v18, vcc_lo
	v_cmp_ngt_f32_e32 vcc_lo, 0xc2ce8ed0, v22
	s_delay_alu instid0(VALU_DEP_2) | instskip(SKIP_2) | instid1(VALU_DEP_3)
	v_dual_add_f32 v18, v3, v23 :: v_dual_mul_f32 v23, 0x3fb8aa3b, v22
	v_cvt_f16_f32_e32 v42, v3
	v_sub_f32_e32 v3, v19, v1
	v_fma_f32 v24, 0x3fb8aa3b, v22, -v23
	v_rndne_f32_e32 v25, v23
	s_delay_alu instid0(VALU_DEP_3) | instskip(NEXT) | instid1(VALU_DEP_2)
	v_mul_f32_e32 v19, 0x3fb8aa3b, v3
	v_dual_fmac_f32 v24, 0x32a5705f, v22 :: v_dual_sub_f32 v23, v23, v25
	s_delay_alu instid0(VALU_DEP_1) | instskip(SKIP_1) | instid1(VALU_DEP_2)
	v_add_f32_e32 v23, v23, v24
	v_cvt_i32_f32_e32 v24, v25
	v_exp_f32_e32 v23, v23
	s_waitcnt_depctr 0xfff
	v_ldexp_f32 v23, v23, v24
	v_rndne_f32_e32 v24, v19
	s_delay_alu instid0(VALU_DEP_2) | instskip(SKIP_1) | instid1(VALU_DEP_2)
	v_cndmask_b32_e32 v23, 0, v23, vcc_lo
	v_cmp_nlt_f32_e32 vcc_lo, 0x42b17218, v22
	v_cndmask_b32_e32 v22, 0x7f800000, v23, vcc_lo
	v_fma_f32 v23, 0x3fb8aa3b, v3, -v19
	v_sub_f32_e32 v19, v19, v24
	v_cmp_ngt_f32_e32 vcc_lo, 0xc2ce8ed0, v3
	s_delay_alu instid0(VALU_DEP_3) | instskip(SKIP_1) | instid1(VALU_DEP_2)
	v_dual_fmac_f32 v18, v185, v22 :: v_dual_fmac_f32 v23, 0x32a5705f, v3
	v_cvt_f16_f32_e32 v22, v22
	v_add_f32_e32 v19, v19, v23
	v_cvt_i32_f32_e32 v23, v24
	s_delay_alu instid0(VALU_DEP_3) | instskip(SKIP_1) | instid1(VALU_DEP_4)
	v_pk_mul_f16 v33, v22, v145 op_sel_hi:[0,1]
	v_sub_f32_e32 v22, v186, v1
	v_exp_f32_e32 v19, v19
	s_waitcnt_depctr 0xfff
	v_ldexp_f32 v19, v19, v23
	s_delay_alu instid0(VALU_DEP_1) | instskip(SKIP_1) | instid1(VALU_DEP_2)
	v_cndmask_b32_e32 v19, 0, v19, vcc_lo
	v_cmp_nlt_f32_e32 vcc_lo, 0x42b17218, v3
	v_cndmask_b32_e32 v3, 0x7f800000, v19, vcc_lo
	v_cmp_ngt_f32_e32 vcc_lo, 0xc2ce8ed0, v22
	s_delay_alu instid0(VALU_DEP_2) | instskip(SKIP_1) | instid1(VALU_DEP_2)
	v_dual_add_f32 v19, v2, v3 :: v_dual_mul_f32 v2, 0x3fb8aa3b, v22
	v_cvt_f16_f32_e32 v27, v3
	v_fma_f32 v3, 0x3fb8aa3b, v22, -v2
	v_rndne_f32_e32 v23, v2
	s_delay_alu instid0(VALU_DEP_1) | instskip(NEXT) | instid1(VALU_DEP_1)
	v_dual_fmac_f32 v3, 0x32a5705f, v22 :: v_dual_sub_f32 v2, v2, v23
	v_add_f32_e32 v2, v2, v3
	v_cvt_i32_f32_e32 v3, v23
	v_add_f32_e32 v23, v194, v21
	v_add_f32_e32 v21, v193, v21
	s_delay_alu instid0(VALU_DEP_4) | instskip(NEXT) | instid1(VALU_DEP_1)
	v_exp_f32_e32 v2, v2
	v_dual_add_f32 v25, 0x40051340, v23 :: v_dual_add_f32 v24, 0x40051340, v21
	s_waitcnt_depctr 0xfff
	v_ldexp_f32 v2, v2, v3
	s_delay_alu instid0(VALU_DEP_1) | instskip(SKIP_3) | instid1(VALU_DEP_4)
	v_cndmask_b32_e32 v2, 0, v2, vcc_lo
	v_cmp_nlt_f32_e32 vcc_lo, 0x42b17218, v22
	v_add_f32_e32 v22, v191, v20
	v_add_f32_e32 v20, v189, v20
	v_cndmask_b32_e32 v2, 0x7f800000, v2, vcc_lo
	s_delay_alu instid0(VALU_DEP_3) | instskip(NEXT) | instid1(VALU_DEP_2)
	v_add_f32_e32 v3, 0x40051340, v22
	v_fmac_f32_e32 v19, v183, v2
	v_cvt_f16_f32_e32 v2, v2
	s_delay_alu instid0(VALU_DEP_3) | instskip(NEXT) | instid1(VALU_DEP_2)
	v_max3_f32 v3, v179, v3, v25
	v_pk_mul_f16 v34, v2, v142 op_sel_hi:[0,1]
	v_add_f32_e32 v2, 0x40051340, v20
	ds_bpermute_b32 v25, v201, v3
	v_max3_f32 v2, v180, v2, v24
	ds_bpermute_b32 v24, v201, v2
	s_waitcnt lgkmcnt(1)
	v_max_f32_e32 v25, v25, v25
	s_waitcnt lgkmcnt(0)
	s_delay_alu instid0(VALU_DEP_1)
	v_dual_max_f32 v3, v3, v25 :: v_dual_max_f32 v24, v24, v24
	ds_bpermute_b32 v25, v200, v3
	v_max_f32_e32 v2, v2, v24
	ds_bpermute_b32 v24, v200, v2
	s_waitcnt lgkmcnt(1)
	v_max_f32_e32 v25, v25, v25
	s_waitcnt lgkmcnt(0)
	s_delay_alu instid0(VALU_DEP_1)
	v_dual_max_f32 v3, v3, v25 :: v_dual_max_f32 v24, v24, v24
	ds_bpermute_b32 v25, v199, v3
	v_max_f32_e32 v2, v2, v24
	;; [unrolled: 8-line block ×4, first 2 shown]
	ds_bpermute_b32 v24, v17, v2
	s_waitcnt lgkmcnt(1)
	v_max_f32_e32 v25, v25, v25
	s_waitcnt lgkmcnt(0)
	s_delay_alu instid0(VALU_DEP_1) | instskip(NEXT) | instid1(VALU_DEP_1)
	v_dual_max_f32 v3, v3, v25 :: v_dual_max_f32 v24, v24, v24
	v_max_f32_e32 v2, v2, v24
	s_delay_alu instid0(VALU_DEP_1) | instskip(NEXT) | instid1(VALU_DEP_1)
	v_sub_f32_e32 v21, v21, v2
	v_mul_f32_e32 v25, 0x3fb8aa3b, v21
	v_cmp_ngt_f32_e32 vcc_lo, 0xc2ce8ed0, v21
	s_delay_alu instid0(VALU_DEP_2) | instskip(SKIP_1) | instid1(VALU_DEP_2)
	v_fma_f32 v35, 0x3fb8aa3b, v21, -v25
	v_rndne_f32_e32 v36, v25
	v_fmac_f32_e32 v35, 0x32a5705f, v21
	s_delay_alu instid0(VALU_DEP_2) | instskip(NEXT) | instid1(VALU_DEP_1)
	v_sub_f32_e32 v25, v25, v36
	v_add_f32_e32 v25, v25, v35
	v_cvt_i32_f32_e32 v35, v36
	s_delay_alu instid0(VALU_DEP_2) | instskip(SKIP_2) | instid1(VALU_DEP_1)
	v_exp_f32_e32 v25, v25
	s_waitcnt_depctr 0xfff
	v_ldexp_f32 v25, v25, v35
	v_cndmask_b32_e32 v25, 0, v25, vcc_lo
	v_cmp_nlt_f32_e32 vcc_lo, 0x42b17218, v21
	s_delay_alu instid0(VALU_DEP_2) | instskip(SKIP_2) | instid1(VALU_DEP_3)
	v_dual_cndmask_b32 v21, 0x7f800000, v25 :: v_dual_sub_f32 v20, v20, v2
	v_sub_f32_e32 v22, v22, v3
	v_sub_f32_e32 v24, v180, v2
	v_cvt_f16_f32_e32 v43, v21
	s_delay_alu instid0(VALU_DEP_3) | instskip(SKIP_1) | instid1(VALU_DEP_2)
	v_mul_f32_e32 v25, 0x3fb8aa3b, v22
	v_cmp_ngt_f32_e32 vcc_lo, 0xc2ce8ed0, v22
	v_fma_f32 v35, 0x3fb8aa3b, v22, -v25
	v_rndne_f32_e32 v36, v25
	s_delay_alu instid0(VALU_DEP_2) | instskip(NEXT) | instid1(VALU_DEP_2)
	v_fmac_f32_e32 v35, 0x32a5705f, v22
	v_sub_f32_e32 v25, v25, v36
	s_delay_alu instid0(VALU_DEP_1) | instskip(SKIP_1) | instid1(VALU_DEP_2)
	v_add_f32_e32 v25, v25, v35
	v_cvt_i32_f32_e32 v35, v36
	v_exp_f32_e32 v25, v25
	s_waitcnt_depctr 0xfff
	v_ldexp_f32 v25, v25, v35
	s_delay_alu instid0(VALU_DEP_1) | instskip(SKIP_1) | instid1(VALU_DEP_2)
	v_cndmask_b32_e32 v25, 0, v25, vcc_lo
	v_cmp_nlt_f32_e32 vcc_lo, 0x42b17218, v22
	v_cndmask_b32_e32 v22, 0x7f800000, v25, vcc_lo
	v_mul_f32_e32 v25, 0x3fb8aa3b, v20
	v_cmp_ngt_f32_e32 vcc_lo, 0xc2ce8ed0, v20
	s_delay_alu instid0(VALU_DEP_2) | instskip(SKIP_1) | instid1(VALU_DEP_2)
	v_fma_f32 v35, 0x3fb8aa3b, v20, -v25
	v_rndne_f32_e32 v36, v25
	v_fmac_f32_e32 v35, 0x32a5705f, v20
	s_delay_alu instid0(VALU_DEP_2) | instskip(NEXT) | instid1(VALU_DEP_1)
	v_sub_f32_e32 v25, v25, v36
	v_add_f32_e32 v25, v25, v35
	v_cvt_i32_f32_e32 v35, v36
	s_delay_alu instid0(VALU_DEP_2) | instskip(SKIP_2) | instid1(VALU_DEP_1)
	v_exp_f32_e32 v25, v25
	s_waitcnt_depctr 0xfff
	v_ldexp_f32 v25, v25, v35
	v_cndmask_b32_e32 v25, 0, v25, vcc_lo
	v_cmp_nlt_f32_e32 vcc_lo, 0x42b17218, v20
	s_delay_alu instid0(VALU_DEP_2) | instskip(SKIP_1) | instid1(VALU_DEP_2)
	v_cndmask_b32_e32 v25, 0x7f800000, v25, vcc_lo
	v_cmp_ngt_f32_e32 vcc_lo, 0xc2ce8ed0, v24
	v_dual_add_f32 v20, v25, v21 :: v_dual_mul_f32 v21, 0x3fb8aa3b, v24
	v_cvt_f16_f32_e64 v145, v25
	s_delay_alu instid0(VALU_DEP_2) | instskip(SKIP_1) | instid1(VALU_DEP_2)
	v_fma_f32 v35, 0x3fb8aa3b, v24, -v21
	v_rndne_f32_e32 v36, v21
	v_fmac_f32_e32 v35, 0x32a5705f, v24
	s_delay_alu instid0(VALU_DEP_2) | instskip(SKIP_1) | instid1(VALU_DEP_2)
	v_sub_f32_e32 v21, v21, v36
	v_cvt_f16_f32_e64 v142, v22
	v_add_f32_e32 v21, v21, v35
	v_cvt_i32_f32_e32 v35, v36
	s_delay_alu instid0(VALU_DEP_2) | instskip(SKIP_2) | instid1(VALU_DEP_1)
	v_exp_f32_e32 v21, v21
	s_waitcnt_depctr 0xfff
	v_ldexp_f32 v21, v21, v35
	v_cndmask_b32_e32 v21, 0, v21, vcc_lo
	v_cmp_nlt_f32_e32 vcc_lo, 0x42b17218, v24
	s_delay_alu instid0(VALU_DEP_2) | instskip(NEXT) | instid1(VALU_DEP_1)
	v_cndmask_b32_e32 v21, 0x7f800000, v21, vcc_lo
	v_fmac_f32_e32 v20, v177, v21
	v_cvt_f16_f32_e32 v21, v21
	s_delay_alu instid0(VALU_DEP_1) | instskip(SKIP_1) | instid1(VALU_DEP_1)
	v_pk_mul_f16 v35, v21, v141 op_sel_hi:[0,1]
	v_sub_f32_e32 v21, v23, v3
	v_dual_sub_f32 v24, v179, v3 :: v_dual_mul_f32 v23, 0x3fb8aa3b, v21
	v_cmp_ngt_f32_e32 vcc_lo, 0xc2ce8ed0, v21
	s_delay_alu instid0(VALU_DEP_2) | instskip(SKIP_1) | instid1(VALU_DEP_2)
	v_fma_f32 v25, 0x3fb8aa3b, v21, -v23
	v_rndne_f32_e32 v36, v23
	v_fmac_f32_e32 v25, 0x32a5705f, v21
	s_delay_alu instid0(VALU_DEP_2) | instskip(NEXT) | instid1(VALU_DEP_1)
	v_sub_f32_e32 v23, v23, v36
	v_add_f32_e32 v23, v23, v25
	v_cvt_i32_f32_e32 v25, v36
	s_delay_alu instid0(VALU_DEP_2) | instskip(SKIP_2) | instid1(VALU_DEP_1)
	v_exp_f32_e32 v23, v23
	s_waitcnt_depctr 0xfff
	v_ldexp_f32 v23, v23, v25
	v_cndmask_b32_e32 v23, 0, v23, vcc_lo
	v_cmp_nlt_f32_e32 vcc_lo, 0x42b17218, v21
	s_delay_alu instid0(VALU_DEP_2) | instskip(SKIP_1) | instid1(VALU_DEP_2)
	v_cndmask_b32_e32 v23, 0x7f800000, v23, vcc_lo
	v_cmp_ngt_f32_e32 vcc_lo, 0xc2ce8ed0, v24
	v_dual_add_f32 v21, v22, v23 :: v_dual_mul_f32 v22, 0x3fb8aa3b, v24
	v_cvt_f16_f32_e64 v141, v23
	s_delay_alu instid0(VALU_DEP_2) | instskip(SKIP_1) | instid1(VALU_DEP_1)
	v_fma_f32 v23, 0x3fb8aa3b, v24, -v22
	v_rndne_f32_e32 v25, v22
	v_dual_fmac_f32 v23, 0x32a5705f, v24 :: v_dual_sub_f32 v22, v22, v25
	s_delay_alu instid0(VALU_DEP_1) | instskip(SKIP_3) | instid1(VALU_DEP_4)
	v_add_f32_e32 v22, v22, v23
	v_cvt_i32_f32_e32 v23, v25
	v_add_f32_e32 v25, v190, v4
	v_add_f32_e32 v37, v188, v4
	v_exp_f32_e32 v22, v22
	s_delay_alu instid0(VALU_DEP_2) | instskip(NEXT) | instid1(VALU_DEP_2)
	v_add_f32_e32 v38, 0x40051340, v25
	v_add_f32_e32 v4, 0x40051340, v37
	s_waitcnt_depctr 0xfff
	v_ldexp_f32 v22, v22, v23
	s_delay_alu instid0(VALU_DEP_1) | instskip(SKIP_1) | instid1(VALU_DEP_2)
	v_dual_add_f32 v23, v182, v5 :: v_dual_cndmask_b32 v22, 0, v22
	v_cmp_nlt_f32_e32 vcc_lo, 0x42b17218, v24
	v_cndmask_b32_e32 v22, 0x7f800000, v22, vcc_lo
	s_delay_alu instid0(VALU_DEP_1) | instskip(SKIP_1) | instid1(VALU_DEP_1)
	v_fmac_f32_e32 v21, v175, v22
	v_cvt_f16_f32_e32 v22, v22
	v_pk_mul_f16 v36, v22, v140 op_sel_hi:[0,1]
	v_dual_add_f32 v22, v184, v5 :: v_dual_add_f32 v5, 0x40051340, v23
	s_delay_alu instid0(VALU_DEP_1) | instskip(NEXT) | instid1(VALU_DEP_2)
	v_add_f32_e32 v24, 0x40051340, v22
	v_max3_f32 v4, v174, v5, v4
	s_delay_alu instid0(VALU_DEP_2) | instskip(SKIP_4) | instid1(VALU_DEP_1)
	v_max3_f32 v24, v173, v24, v38
	ds_bpermute_b32 v5, v201, v4
	ds_bpermute_b32 v38, v201, v24
	s_waitcnt lgkmcnt(0)
	v_max_f32_e32 v38, v38, v38
	v_max_f32_e32 v24, v24, v38
	ds_bpermute_b32 v38, v200, v24
	s_waitcnt lgkmcnt(0)
	v_dual_max_f32 v5, v5, v5 :: v_dual_max_f32 v38, v38, v38
	s_delay_alu instid0(VALU_DEP_1)
	v_max_f32_e32 v4, v4, v5
	ds_bpermute_b32 v5, v200, v4
	s_waitcnt lgkmcnt(0)
	v_dual_max_f32 v24, v24, v38 :: v_dual_max_f32 v5, v5, v5
	ds_bpermute_b32 v38, v199, v24
	v_max_f32_e32 v4, v4, v5
	ds_bpermute_b32 v5, v199, v4
	s_waitcnt lgkmcnt(0)
	v_dual_max_f32 v38, v38, v38 :: v_dual_max_f32 v5, v5, v5
	s_delay_alu instid0(VALU_DEP_1)
	v_max_f32_e32 v4, v4, v5
	ds_bpermute_b32 v5, v198, v4
	s_waitcnt lgkmcnt(0)
	v_dual_max_f32 v24, v24, v38 :: v_dual_max_f32 v5, v5, v5
	ds_bpermute_b32 v38, v198, v24
	v_max_f32_e32 v4, v4, v5
	s_waitcnt lgkmcnt(0)
	v_max_f32_e32 v38, v38, v38
	s_delay_alu instid0(VALU_DEP_1) | instskip(SKIP_4) | instid1(VALU_DEP_1)
	v_max_f32_e32 v24, v24, v38
	ds_bpermute_b32 v38, v17, v4
	ds_bpermute_b32 v5, v17, v24
	s_waitcnt lgkmcnt(0)
	v_max_f32_e32 v5, v5, v5
	v_dual_max_f32 v5, v24, v5 :: v_dual_max_f32 v24, v38, v38
	s_delay_alu instid0(VALU_DEP_1) | instskip(NEXT) | instid1(VALU_DEP_2)
	v_sub_f32_e32 v22, v22, v5
	v_max_f32_e32 v4, v4, v24
	s_delay_alu instid0(VALU_DEP_1) | instskip(NEXT) | instid1(VALU_DEP_1)
	v_sub_f32_e32 v37, v37, v4
	v_mul_f32_e32 v38, 0x3fb8aa3b, v37
	v_cmp_ngt_f32_e32 vcc_lo, 0xc2ce8ed0, v37
	s_delay_alu instid0(VALU_DEP_2) | instskip(NEXT) | instid1(VALU_DEP_1)
	v_fma_f32 v41, 0x3fb8aa3b, v37, -v38
	v_fmac_f32_e32 v41, 0x32a5705f, v37
	v_sub_f32_e32 v23, v23, v4
	v_rndne_f32_e32 v140, v38
	v_sub_f32_e32 v24, v174, v4
	s_delay_alu instid0(VALU_DEP_2) | instskip(NEXT) | instid1(VALU_DEP_1)
	v_sub_f32_e32 v38, v38, v140
	v_add_f32_e32 v38, v38, v41
	v_cvt_i32_f32_e32 v41, v140
	s_delay_alu instid0(VALU_DEP_2) | instskip(SKIP_2) | instid1(VALU_DEP_1)
	v_exp_f32_e32 v38, v38
	s_waitcnt_depctr 0xfff
	v_ldexp_f32 v38, v38, v41
	v_cndmask_b32_e32 v38, 0, v38, vcc_lo
	v_cmp_nlt_f32_e32 vcc_lo, 0x42b17218, v37
	s_delay_alu instid0(VALU_DEP_2) | instskip(SKIP_2) | instid1(VALU_DEP_2)
	v_cndmask_b32_e32 v37, 0x7f800000, v38, vcc_lo
	v_mul_f32_e32 v38, 0x3fb8aa3b, v22
	v_cmp_ngt_f32_e32 vcc_lo, 0xc2ce8ed0, v22
	v_fma_f32 v41, 0x3fb8aa3b, v22, -v38
	v_rndne_f32_e32 v140, v38
	s_delay_alu instid0(VALU_DEP_1) | instskip(NEXT) | instid1(VALU_DEP_1)
	v_dual_fmac_f32 v41, 0x32a5705f, v22 :: v_dual_sub_f32 v38, v38, v140
	v_add_f32_e32 v38, v38, v41
	v_cvt_i32_f32_e32 v41, v140
	s_delay_alu instid0(VALU_DEP_2) | instskip(SKIP_2) | instid1(VALU_DEP_1)
	v_exp_f32_e32 v38, v38
	s_waitcnt_depctr 0xfff
	v_ldexp_f32 v38, v38, v41
	v_cndmask_b32_e32 v38, 0, v38, vcc_lo
	v_cmp_nlt_f32_e32 vcc_lo, 0x42b17218, v22
	v_mul_f32_e32 v22, 0x3fb8aa3b, v23
	s_delay_alu instid0(VALU_DEP_3) | instskip(NEXT) | instid1(VALU_DEP_2)
	v_cndmask_b32_e32 v38, 0x7f800000, v38, vcc_lo
	v_fma_f32 v41, 0x3fb8aa3b, v23, -v22
	v_rndne_f32_e32 v140, v22
	v_cmp_ngt_f32_e32 vcc_lo, 0xc2ce8ed0, v23
	s_delay_alu instid0(VALU_DEP_2) | instskip(NEXT) | instid1(VALU_DEP_1)
	v_dual_fmac_f32 v41, 0x32a5705f, v23 :: v_dual_sub_f32 v22, v22, v140
	v_add_f32_e32 v22, v22, v41
	v_cvt_i32_f32_e32 v41, v140
	v_cvt_f16_f32_e64 v140, v37
	s_delay_alu instid0(VALU_DEP_3) | instskip(SKIP_2) | instid1(VALU_DEP_1)
	v_exp_f32_e32 v22, v22
	s_waitcnt_depctr 0xfff
	v_ldexp_f32 v22, v22, v41
	v_cndmask_b32_e32 v22, 0, v22, vcc_lo
	v_cmp_nlt_f32_e32 vcc_lo, 0x42b17218, v23
	s_delay_alu instid0(VALU_DEP_2) | instskip(NEXT) | instid1(VALU_DEP_1)
	v_cndmask_b32_e32 v23, 0x7f800000, v22, vcc_lo
	v_dual_add_f32 v22, v23, v37 :: v_dual_mul_f32 v37, 0x3fb8aa3b, v24
	s_delay_alu instid0(VALU_DEP_1) | instskip(SKIP_1) | instid1(VALU_DEP_1)
	v_fma_f32 v41, 0x3fb8aa3b, v24, -v37
	v_rndne_f32_e32 v174, v37
	v_sub_f32_e32 v37, v37, v174
	s_delay_alu instid0(VALU_DEP_3) | instskip(SKIP_1) | instid1(VALU_DEP_2)
	v_fmac_f32_e32 v41, 0x32a5705f, v24
	v_cmp_ngt_f32_e32 vcc_lo, 0xc2ce8ed0, v24
	v_add_f32_e32 v37, v37, v41
	v_cvt_i32_f32_e32 v41, v174
	v_cvt_f16_f32_e64 v174, v23
	v_sub_f32_e32 v23, v25, v5
	s_delay_alu instid0(VALU_DEP_4) | instskip(NEXT) | instid1(VALU_DEP_1)
	v_exp_f32_e32 v37, v37
	v_mul_f32_e32 v25, 0x3fb8aa3b, v23
	s_waitcnt_depctr 0xfff
	v_ldexp_f32 v37, v37, v41
	v_fma_f32 v41, 0x3fb8aa3b, v23, -v25
	s_delay_alu instid0(VALU_DEP_2) | instskip(SKIP_1) | instid1(VALU_DEP_3)
	v_cndmask_b32_e32 v37, 0, v37, vcc_lo
	v_cmp_nlt_f32_e32 vcc_lo, 0x42b17218, v24
	v_fmac_f32_e32 v41, 0x32a5705f, v23
	s_delay_alu instid0(VALU_DEP_3) | instskip(SKIP_1) | instid1(VALU_DEP_2)
	v_cndmask_b32_e32 v24, 0x7f800000, v37, vcc_lo
	v_cmp_ngt_f32_e32 vcc_lo, 0xc2ce8ed0, v23
	v_fmac_f32_e32 v22, v172, v24
	v_cvt_f16_f32_e32 v24, v24
	s_delay_alu instid0(VALU_DEP_1) | instskip(SKIP_2) | instid1(VALU_DEP_2)
	v_pk_mul_f16 v37, v24, v139 op_sel_hi:[0,1]
	v_rndne_f32_e32 v139, v25
	v_sub_f32_e32 v24, v173, v5
	v_sub_f32_e32 v25, v25, v139
	s_delay_alu instid0(VALU_DEP_1) | instskip(SKIP_2) | instid1(VALU_DEP_3)
	v_add_f32_e32 v25, v25, v41
	v_cvt_i32_f32_e32 v41, v139
	v_cvt_f16_f32_e64 v172, v38
	v_exp_f32_e32 v25, v25
	s_delay_alu instid0(VALU_DEP_1) | instskip(SKIP_2) | instid1(VALU_DEP_1)
	v_pack_b32_f16 v172, v174, v172
	s_waitcnt_depctr 0xfff
	v_ldexp_f32 v25, v25, v41
	v_cndmask_b32_e32 v25, 0, v25, vcc_lo
	v_cmp_nlt_f32_e32 vcc_lo, 0x42b17218, v23
	s_delay_alu instid0(VALU_DEP_2) | instskip(SKIP_1) | instid1(VALU_DEP_2)
	v_cndmask_b32_e32 v25, 0x7f800000, v25, vcc_lo
	v_cmp_ngt_f32_e32 vcc_lo, 0xc2ce8ed0, v24
	v_add_f32_e32 v23, v38, v25
	v_cvt_f16_f32_e64 v139, v25
	v_mul_f32_e32 v25, 0x3fb8aa3b, v24
	s_delay_alu instid0(VALU_DEP_1) | instskip(SKIP_1) | instid1(VALU_DEP_1)
	v_fma_f32 v38, 0x3fb8aa3b, v24, -v25
	v_rndne_f32_e32 v41, v25
	v_dual_fmac_f32 v38, 0x32a5705f, v24 :: v_dual_sub_f32 v25, v25, v41
	s_delay_alu instid0(VALU_DEP_1) | instskip(SKIP_1) | instid1(VALU_DEP_2)
	v_add_f32_e32 v25, v25, v38
	v_cvt_i32_f32_e32 v38, v41
	v_exp_f32_e32 v25, v25
	s_waitcnt_depctr 0xfff
	v_ldexp_f32 v25, v25, v38
	s_delay_alu instid0(VALU_DEP_1) | instskip(SKIP_1) | instid1(VALU_DEP_2)
	v_cndmask_b32_e32 v25, 0, v25, vcc_lo
	v_cmp_nlt_f32_e32 vcc_lo, 0x42b17218, v24
	v_dual_cndmask_b32 v24, 0x7f800000, v25 :: v_dual_add_f32 v25, v176, v7
	s_delay_alu instid0(VALU_DEP_1) | instskip(SKIP_1) | instid1(VALU_DEP_1)
	v_fmac_f32_e32 v23, v171, v24
	v_cvt_f16_f32_e32 v24, v24
	v_pk_mul_f16 v38, v24, v138 op_sel_hi:[0,1]
	s_delay_alu instid0(VALU_DEP_4) | instskip(SKIP_1) | instid1(VALU_DEP_2)
	v_dual_add_f32 v24, v178, v7 :: v_dual_add_f32 v7, 0x40051340, v25
	v_add_f32_e32 v138, v40, v6
	v_dual_add_f32 v40, v181, v6 :: v_dual_add_f32 v41, 0x40051340, v24
	s_delay_alu instid0(VALU_DEP_2) | instskip(NEXT) | instid1(VALU_DEP_1)
	v_add_f32_e32 v171, 0x40051340, v138
	v_max3_f32 v41, v167, v41, v171
	ds_bpermute_b32 v171, v201, v41
	s_waitcnt lgkmcnt(0)
	v_dual_max_f32 v171, v171, v171 :: v_dual_add_f32 v6, 0x40051340, v40
	s_delay_alu instid0(VALU_DEP_1) | instskip(NEXT) | instid1(VALU_DEP_2)
	v_max_f32_e32 v41, v41, v171
	v_max3_f32 v6, v170, v7, v6
	ds_bpermute_b32 v171, v200, v41
	ds_bpermute_b32 v7, v201, v6
	s_waitcnt lgkmcnt(1)
	v_max_f32_e32 v171, v171, v171
	s_waitcnt lgkmcnt(0)
	v_max_f32_e32 v7, v7, v7
	s_delay_alu instid0(VALU_DEP_2) | instskip(NEXT) | instid1(VALU_DEP_2)
	v_max_f32_e32 v41, v41, v171
	v_max_f32_e32 v6, v6, v7
	ds_bpermute_b32 v171, v199, v41
	ds_bpermute_b32 v7, v200, v6
	s_waitcnt lgkmcnt(1)
	v_max_f32_e32 v171, v171, v171
	s_waitcnt lgkmcnt(0)
	v_max_f32_e32 v7, v7, v7
	s_delay_alu instid0(VALU_DEP_2) | instskip(NEXT) | instid1(VALU_DEP_2)
	v_max_f32_e32 v41, v41, v171
	v_max_f32_e32 v6, v6, v7
	;; [unrolled: 9-line block ×3, first 2 shown]
	ds_bpermute_b32 v7, v198, v6
	s_waitcnt lgkmcnt(0)
	v_max_f32_e32 v7, v7, v7
	s_delay_alu instid0(VALU_DEP_1) | instskip(SKIP_4) | instid1(VALU_DEP_1)
	v_max_f32_e32 v6, v6, v7
	ds_bpermute_b32 v7, v17, v41
	ds_bpermute_b32 v171, v17, v6
	s_waitcnt lgkmcnt(1)
	v_max_f32_e32 v7, v7, v7
	v_max_f32_e32 v7, v41, v7
	s_waitcnt lgkmcnt(0)
	v_max_f32_e32 v41, v171, v171
	s_delay_alu instid0(VALU_DEP_2) | instskip(NEXT) | instid1(VALU_DEP_2)
	v_sub_f32_e32 v24, v24, v7
	v_max_f32_e32 v6, v6, v41
	s_delay_alu instid0(VALU_DEP_1) | instskip(SKIP_1) | instid1(VALU_DEP_2)
	v_sub_f32_e32 v40, v40, v6
	v_sub_f32_e32 v41, v170, v6
	v_dual_sub_f32 v25, v25, v6 :: v_dual_mul_f32 v170, 0x3fb8aa3b, v40
	v_cmp_ngt_f32_e32 vcc_lo, 0xc2ce8ed0, v40
	s_delay_alu instid0(VALU_DEP_2) | instskip(SKIP_1) | instid1(VALU_DEP_1)
	v_fma_f32 v171, 0x3fb8aa3b, v40, -v170
	v_rndne_f32_e32 v173, v170
	v_dual_fmac_f32 v171, 0x32a5705f, v40 :: v_dual_sub_f32 v170, v170, v173
	s_delay_alu instid0(VALU_DEP_1) | instskip(SKIP_1) | instid1(VALU_DEP_2)
	v_add_f32_e32 v170, v170, v171
	v_cvt_i32_f32_e32 v171, v173
	v_exp_f32_e32 v170, v170
	s_waitcnt_depctr 0xfff
	v_ldexp_f32 v170, v170, v171
	s_delay_alu instid0(VALU_DEP_1) | instskip(SKIP_1) | instid1(VALU_DEP_2)
	v_cndmask_b32_e32 v170, 0, v170, vcc_lo
	v_cmp_nlt_f32_e32 vcc_lo, 0x42b17218, v40
	v_cndmask_b32_e32 v40, 0x7f800000, v170, vcc_lo
	v_mul_f32_e32 v170, 0x3fb8aa3b, v24
	v_cmp_ngt_f32_e32 vcc_lo, 0xc2ce8ed0, v24
	s_delay_alu instid0(VALU_DEP_3) | instskip(NEXT) | instid1(VALU_DEP_3)
	v_cvt_f16_f32_e64 v175, v40
	v_fma_f32 v171, 0x3fb8aa3b, v24, -v170
	v_rndne_f32_e32 v173, v170
	s_delay_alu instid0(VALU_DEP_1) | instskip(NEXT) | instid1(VALU_DEP_1)
	v_dual_fmac_f32 v171, 0x32a5705f, v24 :: v_dual_sub_f32 v170, v170, v173
	v_add_f32_e32 v170, v170, v171
	v_cvt_i32_f32_e32 v171, v173
	s_delay_alu instid0(VALU_DEP_2) | instskip(SKIP_2) | instid1(VALU_DEP_1)
	v_exp_f32_e32 v170, v170
	s_waitcnt_depctr 0xfff
	v_ldexp_f32 v170, v170, v171
	v_cndmask_b32_e32 v170, 0, v170, vcc_lo
	v_cmp_nlt_f32_e32 vcc_lo, 0x42b17218, v24
	v_mul_f32_e32 v24, 0x3fb8aa3b, v25
	s_delay_alu instid0(VALU_DEP_3) | instskip(NEXT) | instid1(VALU_DEP_2)
	v_cndmask_b32_e32 v170, 0x7f800000, v170, vcc_lo
	v_fma_f32 v171, 0x3fb8aa3b, v25, -v24
	v_rndne_f32_e32 v173, v24
	v_cmp_ngt_f32_e32 vcc_lo, 0xc2ce8ed0, v25
	s_delay_alu instid0(VALU_DEP_3) | instskip(NEXT) | instid1(VALU_DEP_3)
	v_fmac_f32_e32 v171, 0x32a5705f, v25
	v_sub_f32_e32 v24, v24, v173
	s_delay_alu instid0(VALU_DEP_1) | instskip(SKIP_1) | instid1(VALU_DEP_2)
	v_add_f32_e32 v24, v24, v171
	v_cvt_i32_f32_e32 v171, v173
	v_exp_f32_e32 v24, v24
	s_waitcnt_depctr 0xfff
	v_ldexp_f32 v24, v24, v171
	s_delay_alu instid0(VALU_DEP_1) | instskip(SKIP_1) | instid1(VALU_DEP_2)
	v_cndmask_b32_e32 v24, 0, v24, vcc_lo
	v_cmp_nlt_f32_e32 vcc_lo, 0x42b17218, v25
	v_cndmask_b32_e32 v25, 0x7f800000, v24, vcc_lo
	v_cmp_ngt_f32_e32 vcc_lo, 0xc2ce8ed0, v41
	s_delay_alu instid0(VALU_DEP_2) | instskip(SKIP_1) | instid1(VALU_DEP_1)
	v_add_f32_e32 v24, v25, v40
	v_mul_f32_e32 v40, 0x3fb8aa3b, v41
	v_fma_f32 v171, 0x3fb8aa3b, v41, -v40
	v_rndne_f32_e32 v173, v40
	s_delay_alu instid0(VALU_DEP_2) | instskip(NEXT) | instid1(VALU_DEP_2)
	v_fmac_f32_e32 v171, 0x32a5705f, v41
	v_sub_f32_e32 v40, v40, v173
	s_delay_alu instid0(VALU_DEP_1) | instskip(SKIP_1) | instid1(VALU_DEP_2)
	v_add_f32_e32 v40, v40, v171
	v_cvt_i32_f32_e32 v171, v173
	v_exp_f32_e32 v40, v40
	s_waitcnt_depctr 0xfff
	v_ldexp_f32 v40, v40, v171
	s_delay_alu instid0(VALU_DEP_1) | instskip(SKIP_1) | instid1(VALU_DEP_2)
	v_cndmask_b32_e32 v40, 0, v40, vcc_lo
	v_cmp_nlt_f32_e32 vcc_lo, 0x42b17218, v41
	v_dual_sub_f32 v41, v167, v7 :: v_dual_cndmask_b32 v40, 0x7f800000, v40
	s_delay_alu instid0(VALU_DEP_1) | instskip(SKIP_3) | instid1(VALU_DEP_2)
	v_fmac_f32_e32 v24, v166, v40
	v_cvt_f16_f32_e64 v166, v25
	v_sub_f32_e32 v25, v138, v7
	v_cvt_f16_f32_e32 v40, v40
	v_mul_f32_e32 v138, 0x3fb8aa3b, v25
	v_cmp_ngt_f32_e32 vcc_lo, 0xc2ce8ed0, v25
	s_delay_alu instid0(VALU_DEP_3) | instskip(SKIP_1) | instid1(VALU_DEP_4)
	v_pk_mul_f16 v40, v40, v137 op_sel_hi:[0,1]
	v_cvt_f16_f32_e64 v137, v170
	v_fma_f32 v167, 0x3fb8aa3b, v25, -v138
	v_rndne_f32_e32 v171, v138
	s_delay_alu instid0(VALU_DEP_3) | instskip(NEXT) | instid1(VALU_DEP_2)
	v_pack_b32_f16 v173, v166, v137
	v_dual_fmac_f32 v167, 0x32a5705f, v25 :: v_dual_sub_f32 v138, v138, v171
	s_delay_alu instid0(VALU_DEP_1) | instskip(SKIP_1) | instid1(VALU_DEP_2)
	v_add_f32_e32 v138, v138, v167
	v_cvt_i32_f32_e32 v167, v171
	v_exp_f32_e32 v138, v138
	s_waitcnt_depctr 0xfff
	v_ldexp_f32 v138, v138, v167
	s_delay_alu instid0(VALU_DEP_1) | instskip(SKIP_1) | instid1(VALU_DEP_2)
	v_dual_mul_f32 v167, 0x3fb8aa3b, v41 :: v_dual_cndmask_b32 v138, 0, v138
	v_cmp_nlt_f32_e32 vcc_lo, 0x42b17218, v25
	v_rndne_f32_e32 v171, v167
	s_delay_alu instid0(VALU_DEP_3) | instskip(SKIP_1) | instid1(VALU_DEP_2)
	v_cndmask_b32_e32 v138, 0x7f800000, v138, vcc_lo
	v_cmp_ngt_f32_e32 vcc_lo, 0xc2ce8ed0, v41
	v_add_f32_e32 v25, v170, v138
	v_fma_f32 v170, 0x3fb8aa3b, v41, -v167
	s_delay_alu instid0(VALU_DEP_1) | instskip(NEXT) | instid1(VALU_DEP_1)
	v_dual_sub_f32 v167, v167, v171 :: v_dual_fmac_f32 v170, 0x32a5705f, v41
	v_add_f32_e32 v167, v167, v170
	v_cvt_i32_f32_e32 v170, v171
	v_pack_b32_f16 v171, v145, v142
	s_delay_alu instid0(VALU_DEP_3) | instskip(SKIP_3) | instid1(VALU_DEP_2)
	v_exp_f32_e32 v167, v167
	s_waitcnt_depctr 0xfff
	v_ldexp_f32 v167, v167, v170
	v_pack_b32_f16 v170, v42, v31
	v_dual_add_f32 v42, 0x40051340, v32 :: v_dual_cndmask_b32 v167, 0, v167
	v_cmp_nlt_f32_e32 vcc_lo, 0x42b17218, v41
	ds_store_b128 v120, v[170:173]
	v_pack_b32_f16 v170, v26, v27
	v_add_f32_e32 v26, v169, v9
	v_add_f32_e32 v27, v168, v9
	v_cndmask_b32_e32 v41, 0x7f800000, v167, vcc_lo
	v_pack_b32_f16 v171, v43, v141
	v_pack_b32_f16 v172, v140, v139
	v_add_f32_e32 v31, 0x40051340, v26
	v_add_f32_e32 v9, 0x40051340, v27
	v_fmac_f32_e32 v25, v165, v41
	v_cvt_f16_f32_e32 v41, v41
	s_delay_alu instid0(VALU_DEP_4) | instskip(NEXT) | instid1(VALU_DEP_2)
	v_max3_f32 v31, v159, v31, v42
	v_pk_mul_f16 v41, v41, v136 op_sel_hi:[0,1]
	ds_bpermute_b32 v42, v201, v31
	s_waitcnt lgkmcnt(0)
	v_max_f32_e32 v42, v42, v42
	s_delay_alu instid0(VALU_DEP_1) | instskip(SKIP_3) | instid1(VALU_DEP_1)
	v_max_f32_e32 v31, v31, v42
	ds_bpermute_b32 v42, v200, v31
	s_waitcnt lgkmcnt(0)
	v_max_f32_e32 v42, v42, v42
	v_dual_add_f32 v8, 0x40051340, v39 :: v_dual_max_f32 v31, v31, v42
	s_delay_alu instid0(VALU_DEP_1)
	v_max3_f32 v8, v160, v9, v8
	ds_bpermute_b32 v42, v199, v31
	ds_bpermute_b32 v9, v201, v8
	s_waitcnt lgkmcnt(0)
	v_dual_max_f32 v42, v42, v42 :: v_dual_max_f32 v9, v9, v9
	v_cvt_f16_f32_e64 v138, v138
	s_delay_alu instid0(VALU_DEP_2) | instskip(NEXT) | instid1(VALU_DEP_2)
	v_dual_max_f32 v31, v31, v42 :: v_dual_max_f32 v8, v8, v9
	v_pack_b32_f16 v173, v175, v138
	ds_bpermute_b32 v42, v198, v31
	ds_bpermute_b32 v9, v200, v8
	s_waitcnt lgkmcnt(0)
	v_dual_max_f32 v42, v42, v42 :: v_dual_max_f32 v9, v9, v9
	s_delay_alu instid0(VALU_DEP_1) | instskip(SKIP_3) | instid1(VALU_DEP_1)
	v_dual_max_f32 v31, v31, v42 :: v_dual_max_f32 v8, v8, v9
	ds_bpermute_b32 v9, v199, v8
	s_waitcnt lgkmcnt(0)
	v_max_f32_e32 v9, v9, v9
	v_max_f32_e32 v8, v8, v9
	ds_bpermute_b32 v9, v198, v8
	s_waitcnt lgkmcnt(0)
	v_max_f32_e32 v9, v9, v9
	s_delay_alu instid0(VALU_DEP_1) | instskip(SKIP_4) | instid1(VALU_DEP_1)
	v_max_f32_e32 v8, v8, v9
	ds_bpermute_b32 v9, v17, v31
	ds_bpermute_b32 v42, v17, v8
	s_waitcnt lgkmcnt(1)
	v_max_f32_e32 v9, v9, v9
	v_max_f32_e32 v9, v31, v9
	s_waitcnt lgkmcnt(0)
	v_max_f32_e32 v31, v42, v42
	s_delay_alu instid0(VALU_DEP_2) | instskip(NEXT) | instid1(VALU_DEP_2)
	v_sub_f32_e32 v26, v26, v9
	v_max_f32_e32 v8, v8, v31
	s_delay_alu instid0(VALU_DEP_1) | instskip(NEXT) | instid1(VALU_DEP_1)
	v_sub_f32_e32 v39, v39, v8
	v_mul_f32_e32 v42, 0x3fb8aa3b, v39
	s_delay_alu instid0(VALU_DEP_1) | instskip(SKIP_1) | instid1(VALU_DEP_1)
	v_fma_f32 v43, 0x3fb8aa3b, v39, -v42
	v_rndne_f32_e32 v136, v42
	v_dual_fmac_f32 v43, 0x32a5705f, v39 :: v_dual_sub_f32 v42, v42, v136
	s_delay_alu instid0(VALU_DEP_1) | instskip(SKIP_2) | instid1(VALU_DEP_3)
	v_add_f32_e32 v42, v42, v43
	v_cvt_i32_f32_e32 v43, v136
	v_cmp_ngt_f32_e32 vcc_lo, 0xc2ce8ed0, v39
	v_exp_f32_e32 v42, v42
	s_waitcnt_depctr 0xfff
	v_ldexp_f32 v42, v42, v43
	s_delay_alu instid0(VALU_DEP_1) | instskip(SKIP_1) | instid1(VALU_DEP_2)
	v_cndmask_b32_e32 v42, 0, v42, vcc_lo
	v_cmp_nlt_f32_e32 vcc_lo, 0x42b17218, v39
	v_cndmask_b32_e32 v39, 0x7f800000, v42, vcc_lo
	v_dual_sub_f32 v31, v160, v8 :: v_dual_mul_f32 v42, 0x3fb8aa3b, v26
	v_sub_f32_e32 v27, v27, v8
	v_cmp_ngt_f32_e32 vcc_lo, 0xc2ce8ed0, v26
	s_delay_alu instid0(VALU_DEP_3) | instskip(SKIP_1) | instid1(VALU_DEP_1)
	v_fma_f32 v43, 0x3fb8aa3b, v26, -v42
	v_rndne_f32_e32 v136, v42
	v_dual_fmac_f32 v43, 0x32a5705f, v26 :: v_dual_sub_f32 v42, v42, v136
	s_delay_alu instid0(VALU_DEP_1) | instskip(SKIP_1) | instid1(VALU_DEP_2)
	v_add_f32_e32 v42, v42, v43
	v_cvt_i32_f32_e32 v43, v136
	v_exp_f32_e32 v42, v42
	s_waitcnt_depctr 0xfff
	v_ldexp_f32 v42, v42, v43
	s_delay_alu instid0(VALU_DEP_1) | instskip(SKIP_2) | instid1(VALU_DEP_3)
	v_cndmask_b32_e32 v42, 0, v42, vcc_lo
	v_cmp_nlt_f32_e32 vcc_lo, 0x42b17218, v26
	v_mul_f32_e32 v26, 0x3fb8aa3b, v27
	v_cndmask_b32_e32 v42, 0x7f800000, v42, vcc_lo
	s_delay_alu instid0(VALU_DEP_2) | instskip(SKIP_2) | instid1(VALU_DEP_2)
	v_fma_f32 v43, 0x3fb8aa3b, v27, -v26
	v_rndne_f32_e32 v136, v26
	v_cmp_ngt_f32_e32 vcc_lo, 0xc2ce8ed0, v27
	v_dual_fmac_f32 v43, 0x32a5705f, v27 :: v_dual_sub_f32 v26, v26, v136
	s_delay_alu instid0(VALU_DEP_1) | instskip(SKIP_2) | instid1(VALU_DEP_3)
	v_add_f32_e32 v26, v26, v43
	v_cvt_i32_f32_e32 v43, v136
	v_cvt_f16_f32_e64 v136, v39
	v_exp_f32_e32 v26, v26
	s_waitcnt_depctr 0xfff
	v_ldexp_f32 v26, v26, v43
	s_delay_alu instid0(VALU_DEP_1) | instskip(SKIP_1) | instid1(VALU_DEP_2)
	v_cndmask_b32_e32 v26, 0, v26, vcc_lo
	v_cmp_nlt_f32_e32 vcc_lo, 0x42b17218, v27
	v_cndmask_b32_e32 v27, 0x7f800000, v26, vcc_lo
	v_cmp_ngt_f32_e32 vcc_lo, 0xc2ce8ed0, v31
	s_delay_alu instid0(VALU_DEP_2) | instskip(SKIP_3) | instid1(VALU_DEP_3)
	v_add_f32_e32 v26, v27, v39
	v_mul_f32_e32 v39, 0x3fb8aa3b, v31
	v_cvt_f16_f32_e64 v138, v27
	v_sub_f32_e32 v27, v32, v9
	v_fma_f32 v43, 0x3fb8aa3b, v31, -v39
	v_rndne_f32_e32 v137, v39
	s_delay_alu instid0(VALU_DEP_3) | instskip(NEXT) | instid1(VALU_DEP_3)
	v_mul_f32_e32 v32, 0x3fb8aa3b, v27
	v_fmac_f32_e32 v43, 0x32a5705f, v31
	s_delay_alu instid0(VALU_DEP_3) | instskip(NEXT) | instid1(VALU_DEP_1)
	v_sub_f32_e32 v39, v39, v137
	v_add_f32_e32 v39, v39, v43
	v_cvt_i32_f32_e32 v43, v137
	v_cvt_f16_f32_e64 v137, v42
	s_delay_alu instid0(VALU_DEP_3) | instskip(SKIP_3) | instid1(VALU_DEP_2)
	v_exp_f32_e32 v39, v39
	s_waitcnt_depctr 0xfff
	v_ldexp_f32 v39, v39, v43
	v_fma_f32 v43, 0x3fb8aa3b, v27, -v32
	v_cndmask_b32_e32 v39, 0, v39, vcc_lo
	v_cmp_nlt_f32_e32 vcc_lo, 0x42b17218, v31
	s_delay_alu instid0(VALU_DEP_3) | instskip(NEXT) | instid1(VALU_DEP_3)
	v_fmac_f32_e32 v43, 0x32a5705f, v27
	v_cndmask_b32_e32 v31, 0x7f800000, v39, vcc_lo
	v_cmp_ngt_f32_e32 vcc_lo, 0xc2ce8ed0, v27
	s_delay_alu instid0(VALU_DEP_2) | instskip(SKIP_1) | instid1(VALU_DEP_1)
	v_fmac_f32_e32 v26, v158, v31
	v_cvt_f16_f32_e32 v31, v31
	v_pk_mul_f16 v39, v31, v135 op_sel_hi:[0,1]
	v_rndne_f32_e32 v135, v32
	s_delay_alu instid0(VALU_DEP_1) | instskip(NEXT) | instid1(VALU_DEP_1)
	v_dual_sub_f32 v31, v159, v9 :: v_dual_sub_f32 v32, v32, v135
	v_add_f32_e32 v32, v32, v43
	v_cvt_i32_f32_e32 v43, v135
	s_delay_alu instid0(VALU_DEP_2) | instskip(SKIP_2) | instid1(VALU_DEP_1)
	v_exp_f32_e32 v32, v32
	s_waitcnt_depctr 0xfff
	v_ldexp_f32 v32, v32, v43
	v_cndmask_b32_e32 v32, 0, v32, vcc_lo
	v_cmp_nlt_f32_e32 vcc_lo, 0x42b17218, v27
	s_delay_alu instid0(VALU_DEP_2) | instskip(SKIP_1) | instid1(VALU_DEP_2)
	v_cndmask_b32_e32 v32, 0x7f800000, v32, vcc_lo
	v_cmp_ngt_f32_e32 vcc_lo, 0xc2ce8ed0, v31
	v_add_f32_e32 v27, v42, v32
	v_cvt_f16_f32_e64 v135, v32
	v_mul_f32_e32 v32, 0x3fb8aa3b, v31
	s_delay_alu instid0(VALU_DEP_2) | instskip(NEXT) | instid1(VALU_DEP_2)
	v_pack_b32_f16 v136, v136, v135
	v_fma_f32 v42, 0x3fb8aa3b, v31, -v32
	v_rndne_f32_e32 v43, v32
	s_delay_alu instid0(VALU_DEP_2) | instskip(NEXT) | instid1(VALU_DEP_2)
	v_fmac_f32_e32 v42, 0x32a5705f, v31
	v_sub_f32_e32 v32, v32, v43
	s_delay_alu instid0(VALU_DEP_1) | instskip(SKIP_1) | instid1(VALU_DEP_2)
	v_add_f32_e32 v32, v32, v42
	v_cvt_i32_f32_e32 v42, v43
	v_exp_f32_e32 v32, v32
	s_waitcnt_depctr 0xfff
	v_ldexp_f32 v32, v32, v42
	s_delay_alu instid0(VALU_DEP_1) | instskip(SKIP_1) | instid1(VALU_DEP_2)
	v_cndmask_b32_e32 v32, 0, v32, vcc_lo
	v_cmp_nlt_f32_e32 vcc_lo, 0x42b17218, v31
	v_dual_cndmask_b32 v31, 0x7f800000, v32 :: v_dual_add_f32 v32, v163, v11
	s_delay_alu instid0(VALU_DEP_1) | instskip(SKIP_1) | instid1(VALU_DEP_1)
	v_fmac_f32_e32 v27, v157, v31
	v_cvt_f16_f32_e32 v31, v31
	v_pk_mul_f16 v42, v31, v134 op_sel_hi:[0,1]
	v_add_f32_e32 v31, v164, v11
	v_add_f32_e32 v11, 0x40051340, v32
	s_delay_alu instid0(VALU_DEP_2) | instskip(NEXT) | instid1(VALU_DEP_2)
	v_add_f32_e32 v43, 0x40051340, v31
	v_max3_f32 v10, v154, v11, v10
	ds_bpermute_b32 v11, v201, v10
	s_waitcnt lgkmcnt(0)
	v_max_f32_e32 v11, v11, v11
	s_delay_alu instid0(VALU_DEP_1) | instskip(SKIP_3) | instid1(VALU_DEP_1)
	v_max_f32_e32 v10, v10, v11
	ds_bpermute_b32 v11, v200, v10
	s_waitcnt lgkmcnt(0)
	v_dual_add_f32 v134, 0x40051340, v29 :: v_dual_max_f32 v11, v11, v11
	v_max3_f32 v43, v153, v43, v134
	s_delay_alu instid0(VALU_DEP_2) | instskip(SKIP_4) | instid1(VALU_DEP_1)
	v_max_f32_e32 v10, v10, v11
	ds_bpermute_b32 v134, v201, v43
	ds_bpermute_b32 v11, v199, v10
	s_waitcnt lgkmcnt(0)
	v_dual_max_f32 v134, v134, v134 :: v_dual_max_f32 v11, v11, v11
	v_dual_max_f32 v43, v43, v134 :: v_dual_max_f32 v10, v10, v11
	ds_bpermute_b32 v134, v200, v43
	ds_bpermute_b32 v11, v198, v10
	s_waitcnt lgkmcnt(0)
	v_dual_max_f32 v134, v134, v134 :: v_dual_max_f32 v11, v11, v11
	s_delay_alu instid0(VALU_DEP_1) | instskip(SKIP_3) | instid1(VALU_DEP_1)
	v_dual_max_f32 v43, v43, v134 :: v_dual_max_f32 v10, v10, v11
	ds_bpermute_b32 v134, v199, v43
	s_waitcnt lgkmcnt(0)
	v_max_f32_e32 v134, v134, v134
	v_max_f32_e32 v43, v43, v134
	ds_bpermute_b32 v134, v198, v43
	s_waitcnt lgkmcnt(0)
	v_max_f32_e32 v134, v134, v134
	s_delay_alu instid0(VALU_DEP_1) | instskip(SKIP_4) | instid1(VALU_DEP_1)
	v_max_f32_e32 v43, v43, v134
	ds_bpermute_b32 v134, v17, v10
	ds_bpermute_b32 v11, v17, v43
	s_waitcnt lgkmcnt(0)
	v_max_f32_e32 v11, v11, v11
	v_max_f32_e32 v11, v43, v11
	;; [unrolled: 1-line block ×3, first 2 shown]
	s_delay_alu instid0(VALU_DEP_2) | instskip(NEXT) | instid1(VALU_DEP_2)
	v_sub_f32_e32 v31, v31, v11
	v_max_f32_e32 v10, v10, v43
	s_delay_alu instid0(VALU_DEP_1) | instskip(NEXT) | instid1(VALU_DEP_1)
	v_dual_sub_f32 v29, v29, v11 :: v_dual_sub_f32 v28, v28, v10
	v_dual_sub_f32 v43, v154, v10 :: v_dual_mul_f32 v134, 0x3fb8aa3b, v28
	v_cmp_ngt_f32_e32 vcc_lo, 0xc2ce8ed0, v28
	s_delay_alu instid0(VALU_DEP_2) | instskip(SKIP_1) | instid1(VALU_DEP_2)
	v_fma_f32 v139, 0x3fb8aa3b, v28, -v134
	v_rndne_f32_e32 v140, v134
	v_fmac_f32_e32 v139, 0x32a5705f, v28
	s_delay_alu instid0(VALU_DEP_2) | instskip(NEXT) | instid1(VALU_DEP_1)
	v_sub_f32_e32 v134, v134, v140
	v_add_f32_e32 v134, v134, v139
	v_cvt_i32_f32_e32 v139, v140
	s_delay_alu instid0(VALU_DEP_2) | instskip(SKIP_2) | instid1(VALU_DEP_1)
	v_exp_f32_e32 v134, v134
	s_waitcnt_depctr 0xfff
	v_ldexp_f32 v134, v134, v139
	v_cndmask_b32_e32 v134, 0, v134, vcc_lo
	v_cmp_nlt_f32_e32 vcc_lo, 0x42b17218, v28
	v_sub_f32_e32 v28, v32, v10
	v_mul_f32_e32 v32, 0x3fb8aa3b, v31
	s_delay_alu instid0(VALU_DEP_4) | instskip(SKIP_1) | instid1(VALU_DEP_3)
	v_cndmask_b32_e32 v134, 0x7f800000, v134, vcc_lo
	v_cmp_ngt_f32_e32 vcc_lo, 0xc2ce8ed0, v31
	v_fma_f32 v139, 0x3fb8aa3b, v31, -v32
	v_rndne_f32_e32 v140, v32
	s_delay_alu instid0(VALU_DEP_1) | instskip(NEXT) | instid1(VALU_DEP_1)
	v_dual_fmac_f32 v139, 0x32a5705f, v31 :: v_dual_sub_f32 v32, v32, v140
	v_add_f32_e32 v32, v32, v139
	v_cvt_i32_f32_e32 v139, v140
	s_delay_alu instid0(VALU_DEP_2) | instskip(SKIP_2) | instid1(VALU_DEP_1)
	v_exp_f32_e32 v32, v32
	s_waitcnt_depctr 0xfff
	v_ldexp_f32 v32, v32, v139
	v_cndmask_b32_e32 v32, 0, v32, vcc_lo
	v_cmp_nlt_f32_e32 vcc_lo, 0x42b17218, v31
	s_delay_alu instid0(VALU_DEP_2) | instskip(SKIP_2) | instid1(VALU_DEP_2)
	v_cndmask_b32_e32 v31, 0x7f800000, v32, vcc_lo
	v_mul_f32_e32 v32, 0x3fb8aa3b, v28
	v_cmp_ngt_f32_e32 vcc_lo, 0xc2ce8ed0, v28
	v_fma_f32 v139, 0x3fb8aa3b, v28, -v32
	v_rndne_f32_e32 v140, v32
	s_delay_alu instid0(VALU_DEP_2) | instskip(NEXT) | instid1(VALU_DEP_2)
	v_fmac_f32_e32 v139, 0x32a5705f, v28
	v_sub_f32_e32 v32, v32, v140
	s_delay_alu instid0(VALU_DEP_1) | instskip(SKIP_1) | instid1(VALU_DEP_2)
	v_add_f32_e32 v32, v32, v139
	v_cvt_i32_f32_e32 v139, v140
	v_exp_f32_e32 v32, v32
	s_waitcnt_depctr 0xfff
	v_ldexp_f32 v32, v32, v139
	s_delay_alu instid0(VALU_DEP_1) | instskip(NEXT) | instid1(VALU_DEP_1)
	v_dual_mul_f32 v139, 0x3fb8aa3b, v43 :: v_dual_cndmask_b32 v32, 0, v32
	v_fma_f32 v140, 0x3fb8aa3b, v43, -v139
	v_rndne_f32_e32 v141, v139
	v_cmp_nlt_f32_e32 vcc_lo, 0x42b17218, v28
	s_delay_alu instid0(VALU_DEP_2) | instskip(SKIP_2) | instid1(VALU_DEP_3)
	v_dual_fmac_f32 v140, 0x32a5705f, v43 :: v_dual_sub_f32 v139, v139, v141
	v_cndmask_b32_e32 v32, 0x7f800000, v32, vcc_lo
	v_cmp_ngt_f32_e32 vcc_lo, 0xc2ce8ed0, v43
	v_add_f32_e32 v139, v139, v140
	v_cvt_i32_f32_e32 v140, v141
	s_delay_alu instid0(VALU_DEP_4) | instskip(SKIP_1) | instid1(VALU_DEP_4)
	v_dual_sub_f32 v141, v153, v11 :: v_dual_add_f32 v28, v32, v134
	v_cvt_f16_f32_e64 v134, v134
	v_exp_f32_e32 v139, v139
	s_waitcnt_depctr 0xfff
	v_ldexp_f32 v139, v139, v140
	v_cvt_f16_f32_e64 v140, v32
	s_delay_alu instid0(VALU_DEP_2) | instskip(SKIP_1) | instid1(VALU_DEP_2)
	v_dual_mul_f32 v32, 0x3fb8aa3b, v29 :: v_dual_cndmask_b32 v139, 0, v139
	v_cmp_nlt_f32_e32 vcc_lo, 0x42b17218, v43
	v_rndne_f32_e32 v142, v32
	s_delay_alu instid0(VALU_DEP_3) | instskip(SKIP_1) | instid1(VALU_DEP_2)
	v_cndmask_b32_e32 v43, 0x7f800000, v139, vcc_lo
	v_cvt_f16_f32_e64 v139, v31
	v_fmac_f32_e32 v28, v152, v43
	v_cvt_f16_f32_e32 v43, v43
	s_delay_alu instid0(VALU_DEP_1) | instskip(SKIP_3) | instid1(VALU_DEP_3)
	v_pk_mul_f16 v43, v43, v133 op_sel_hi:[0,1]
	v_fma_f32 v133, 0x3fb8aa3b, v29, -v32
	v_sub_f32_e32 v32, v32, v142
	v_cmp_ngt_f32_e32 vcc_lo, 0xc2ce8ed0, v29
	v_fmac_f32_e32 v133, 0x32a5705f, v29
	s_delay_alu instid0(VALU_DEP_1) | instskip(SKIP_1) | instid1(VALU_DEP_2)
	v_add_f32_e32 v32, v32, v133
	v_cvt_i32_f32_e32 v133, v142
	v_exp_f32_e32 v32, v32
	s_waitcnt_depctr 0xfff
	v_ldexp_f32 v32, v32, v133
	s_delay_alu instid0(VALU_DEP_1) | instskip(SKIP_1) | instid1(VALU_DEP_2)
	v_cndmask_b32_e32 v32, 0, v32, vcc_lo
	v_cmp_nlt_f32_e32 vcc_lo, 0x42b17218, v29
	v_cndmask_b32_e32 v32, 0x7f800000, v32, vcc_lo
	v_cmp_ngt_f32_e32 vcc_lo, 0xc2ce8ed0, v141
	s_delay_alu instid0(VALU_DEP_2) | instskip(SKIP_2) | instid1(VALU_DEP_2)
	v_add_f32_e32 v29, v31, v32
	v_mul_f32_e32 v31, 0x3fb8aa3b, v141
	v_cvt_f16_f32_e64 v133, v32
	v_fma_f32 v32, 0x3fb8aa3b, v141, -v31
	v_rndne_f32_e32 v142, v31
	s_delay_alu instid0(VALU_DEP_1) | instskip(NEXT) | instid1(VALU_DEP_1)
	v_dual_fmac_f32 v32, 0x32a5705f, v141 :: v_dual_sub_f32 v31, v31, v142
	v_add_f32_e32 v31, v31, v32
	v_cvt_i32_f32_e32 v32, v142
	v_add_f32_e32 v142, v16, v12
	v_add_f32_e32 v16, v30, v12
	s_delay_alu instid0(VALU_DEP_4) | instskip(NEXT) | instid1(VALU_DEP_2)
	v_exp_f32_e32 v31, v31
	v_add_f32_e32 v30, 0x40051340, v142
	s_waitcnt_depctr 0xfff
	v_ldexp_f32 v31, v31, v32
	s_delay_alu instid0(VALU_DEP_1) | instskip(SKIP_1) | instid1(VALU_DEP_2)
	v_dual_add_f32 v32, v161, v13 :: v_dual_cndmask_b32 v31, 0, v31
	v_cmp_nlt_f32_e32 vcc_lo, 0x42b17218, v141
	v_cndmask_b32_e32 v31, 0x7f800000, v31, vcc_lo
	s_delay_alu instid0(VALU_DEP_1) | instskip(SKIP_1) | instid1(VALU_DEP_1)
	v_fmac_f32_e32 v29, v151, v31
	v_cvt_f16_f32_e32 v31, v31
	v_pk_mul_f16 v132, v31, v132 op_sel_hi:[0,1]
	v_add_f32_e32 v31, v162, v13
	v_add_f32_e32 v13, 0x40051340, v32
	s_delay_alu instid0(VALU_DEP_2) | instskip(NEXT) | instid1(VALU_DEP_1)
	v_add_f32_e32 v141, 0x40051340, v31
	v_max3_f32 v30, v149, v141, v30
	ds_bpermute_b32 v141, v201, v30
	s_waitcnt lgkmcnt(0)
	v_max_f32_e32 v141, v141, v141
	s_delay_alu instid0(VALU_DEP_1) | instskip(SKIP_3) | instid1(VALU_DEP_1)
	v_max_f32_e32 v30, v30, v141
	ds_bpermute_b32 v141, v200, v30
	s_waitcnt lgkmcnt(0)
	v_max_f32_e32 v141, v141, v141
	v_max_f32_e32 v30, v30, v141
	ds_bpermute_b32 v141, v199, v30
	s_waitcnt lgkmcnt(0)
	v_max_f32_e32 v141, v141, v141
	s_delay_alu instid0(VALU_DEP_1) | instskip(SKIP_3) | instid1(VALU_DEP_1)
	v_max_f32_e32 v30, v30, v141
	ds_bpermute_b32 v141, v198, v30
	s_waitcnt lgkmcnt(0)
	v_dual_add_f32 v12, 0x40051340, v16 :: v_dual_max_f32 v141, v141, v141
	v_max3_f32 v12, v150, v13, v12
	s_delay_alu instid0(VALU_DEP_2) | instskip(SKIP_3) | instid1(VALU_DEP_1)
	v_max_f32_e32 v30, v30, v141
	ds_bpermute_b32 v13, v201, v12
	s_waitcnt lgkmcnt(0)
	v_max_f32_e32 v13, v13, v13
	v_max_f32_e32 v12, v12, v13
	ds_bpermute_b32 v13, v200, v12
	s_waitcnt lgkmcnt(0)
	v_max_f32_e32 v13, v13, v13
	s_delay_alu instid0(VALU_DEP_1) | instskip(SKIP_3) | instid1(VALU_DEP_1)
	v_max_f32_e32 v12, v12, v13
	ds_bpermute_b32 v13, v199, v12
	s_waitcnt lgkmcnt(0)
	v_max_f32_e32 v13, v13, v13
	v_max_f32_e32 v12, v12, v13
	ds_bpermute_b32 v13, v198, v12
	s_waitcnt lgkmcnt(0)
	v_max_f32_e32 v13, v13, v13
	s_delay_alu instid0(VALU_DEP_1) | instskip(SKIP_4) | instid1(VALU_DEP_1)
	v_max_f32_e32 v12, v12, v13
	ds_bpermute_b32 v13, v17, v30
	ds_bpermute_b32 v141, v17, v12
	s_waitcnt lgkmcnt(1)
	v_max_f32_e32 v13, v13, v13
	v_max_f32_e32 v13, v30, v13
	s_waitcnt lgkmcnt(0)
	v_max_f32_e32 v30, v141, v141
	s_delay_alu instid0(VALU_DEP_1) | instskip(NEXT) | instid1(VALU_DEP_1)
	v_max_f32_e32 v12, v12, v30
	v_sub_f32_e32 v16, v16, v12
	v_sub_f32_e32 v141, v150, v12
	s_delay_alu instid0(VALU_DEP_2) | instskip(SKIP_1) | instid1(VALU_DEP_2)
	v_dual_sub_f32 v31, v31, v13 :: v_dual_mul_f32 v30, 0x3fb8aa3b, v16
	v_cmp_ngt_f32_e32 vcc_lo, 0xc2ce8ed0, v16
	v_fma_f32 v145, 0x3fb8aa3b, v16, -v30
	v_rndne_f32_e32 v150, v30
	s_delay_alu instid0(VALU_DEP_1) | instskip(NEXT) | instid1(VALU_DEP_1)
	v_dual_fmac_f32 v145, 0x32a5705f, v16 :: v_dual_sub_f32 v30, v30, v150
	v_add_f32_e32 v30, v30, v145
	v_cvt_i32_f32_e32 v145, v150
	s_delay_alu instid0(VALU_DEP_2) | instskip(SKIP_2) | instid1(VALU_DEP_1)
	v_exp_f32_e32 v30, v30
	s_waitcnt_depctr 0xfff
	v_ldexp_f32 v30, v30, v145
	v_cndmask_b32_e32 v30, 0, v30, vcc_lo
	v_cmp_nlt_f32_e32 vcc_lo, 0x42b17218, v16
	s_delay_alu instid0(VALU_DEP_2) | instskip(SKIP_3) | instid1(VALU_DEP_2)
	v_cndmask_b32_e32 v16, 0x7f800000, v30, vcc_lo
	v_sub_f32_e32 v30, v32, v12
	v_mul_f32_e32 v32, 0x3fb8aa3b, v31
	v_cmp_ngt_f32_e32 vcc_lo, 0xc2ce8ed0, v31
	v_fma_f32 v145, 0x3fb8aa3b, v31, -v32
	v_rndne_f32_e32 v150, v32
	s_delay_alu instid0(VALU_DEP_1) | instskip(NEXT) | instid1(VALU_DEP_1)
	v_dual_fmac_f32 v145, 0x32a5705f, v31 :: v_dual_sub_f32 v32, v32, v150
	v_add_f32_e32 v32, v32, v145
	v_cvt_i32_f32_e32 v145, v150
	s_delay_alu instid0(VALU_DEP_2) | instskip(SKIP_2) | instid1(VALU_DEP_1)
	v_exp_f32_e32 v32, v32
	s_waitcnt_depctr 0xfff
	v_ldexp_f32 v32, v32, v145
	v_cndmask_b32_e32 v32, 0, v32, vcc_lo
	v_cmp_nlt_f32_e32 vcc_lo, 0x42b17218, v31
	s_delay_alu instid0(VALU_DEP_2) | instskip(SKIP_2) | instid1(VALU_DEP_2)
	v_cndmask_b32_e32 v31, 0x7f800000, v32, vcc_lo
	v_mul_f32_e32 v32, 0x3fb8aa3b, v30
	v_cmp_ngt_f32_e32 vcc_lo, 0xc2ce8ed0, v30
	v_fma_f32 v145, 0x3fb8aa3b, v30, -v32
	v_rndne_f32_e32 v150, v32
	s_delay_alu instid0(VALU_DEP_2) | instskip(NEXT) | instid1(VALU_DEP_2)
	v_fmac_f32_e32 v145, 0x32a5705f, v30
	v_sub_f32_e32 v32, v32, v150
	s_delay_alu instid0(VALU_DEP_1) | instskip(SKIP_1) | instid1(VALU_DEP_2)
	v_add_f32_e32 v32, v32, v145
	v_cvt_i32_f32_e32 v145, v150
	v_exp_f32_e32 v32, v32
	s_waitcnt_depctr 0xfff
	v_ldexp_f32 v32, v32, v145
	s_delay_alu instid0(VALU_DEP_1) | instskip(NEXT) | instid1(VALU_DEP_1)
	v_dual_mul_f32 v145, 0x3fb8aa3b, v141 :: v_dual_cndmask_b32 v32, 0, v32
	v_fma_f32 v150, 0x3fb8aa3b, v141, -v145
	v_rndne_f32_e32 v151, v145
	v_cmp_nlt_f32_e32 vcc_lo, 0x42b17218, v30
	s_delay_alu instid0(VALU_DEP_2) | instskip(SKIP_2) | instid1(VALU_DEP_3)
	v_dual_fmac_f32 v150, 0x32a5705f, v141 :: v_dual_sub_f32 v145, v145, v151
	v_cndmask_b32_e32 v32, 0x7f800000, v32, vcc_lo
	v_cmp_ngt_f32_e32 vcc_lo, 0xc2ce8ed0, v141
	v_add_f32_e32 v145, v145, v150
	v_cvt_i32_f32_e32 v150, v151
	v_add_f32_e32 v151, v14, v202
	s_delay_alu instid0(VALU_DEP_3) | instskip(NEXT) | instid1(VALU_DEP_1)
	v_exp_f32_e32 v145, v145
	v_add_f32_e32 v14, 0x40051340, v151
	s_waitcnt_depctr 0xfff
	v_ldexp_f32 v145, v145, v150
	s_delay_alu instid0(VALU_DEP_1) | instskip(SKIP_1) | instid1(VALU_DEP_2)
	v_cndmask_b32_e32 v145, 0, v145, vcc_lo
	v_cmp_nlt_f32_e32 vcc_lo, 0x42b17218, v141
	v_cndmask_b32_e32 v141, 0x7f800000, v145, vcc_lo
	v_dual_sub_f32 v145, v149, v13 :: v_dual_add_f32 v30, v32, v16
	v_cvt_f16_f32_e64 v149, v32
	v_sub_f32_e32 v32, v142, v13
	v_cvt_f16_f32_e32 v16, v16
	s_delay_alu instid0(VALU_DEP_4) | instskip(SKIP_1) | instid1(VALU_DEP_4)
	v_fmac_f32_e32 v30, v148, v141
	v_cvt_f16_f32_e64 v141, v141
	v_cmp_ngt_f32_e32 vcc_lo, 0xc2ce8ed0, v32
	v_cvt_f16_f32_e64 v148, v31
	s_delay_alu instid0(VALU_DEP_3) | instskip(SKIP_1) | instid1(VALU_DEP_1)
	v_pk_mul_f16 v131, v141, v131 op_sel_hi:[0,1]
	v_mul_f32_e32 v141, 0x3fb8aa3b, v32
	v_fma_f32 v142, 0x3fb8aa3b, v32, -v141
	v_rndne_f32_e32 v150, v141
	s_delay_alu instid0(VALU_DEP_1) | instskip(NEXT) | instid1(VALU_DEP_1)
	v_dual_fmac_f32 v142, 0x32a5705f, v32 :: v_dual_sub_f32 v141, v141, v150
	v_add_f32_e32 v141, v141, v142
	v_cvt_i32_f32_e32 v142, v150
	s_delay_alu instid0(VALU_DEP_2) | instskip(SKIP_2) | instid1(VALU_DEP_1)
	v_exp_f32_e32 v141, v141
	s_waitcnt_depctr 0xfff
	v_ldexp_f32 v141, v141, v142
	v_cndmask_b32_e32 v141, 0, v141, vcc_lo
	v_cmp_nlt_f32_e32 vcc_lo, 0x42b17218, v32
	s_delay_alu instid0(VALU_DEP_2) | instskip(SKIP_1) | instid1(VALU_DEP_2)
	v_cndmask_b32_e32 v32, 0x7f800000, v141, vcc_lo
	v_cmp_ngt_f32_e32 vcc_lo, 0xc2ce8ed0, v145
	v_add_f32_e32 v31, v31, v32
	v_cvt_f16_f32_e64 v141, v32
	v_mul_f32_e32 v32, 0x3fb8aa3b, v145
	s_delay_alu instid0(VALU_DEP_1) | instskip(SKIP_1) | instid1(VALU_DEP_2)
	v_fma_f32 v142, 0x3fb8aa3b, v145, -v32
	v_rndne_f32_e32 v150, v32
	v_fmac_f32_e32 v142, 0x32a5705f, v145
	s_delay_alu instid0(VALU_DEP_2) | instskip(NEXT) | instid1(VALU_DEP_1)
	v_sub_f32_e32 v32, v32, v150
	v_add_f32_e32 v32, v32, v142
	v_cvt_i32_f32_e32 v142, v150
	v_add_f32_e32 v150, v15, v202
	s_delay_alu instid0(VALU_DEP_3) | instskip(NEXT) | instid1(VALU_DEP_1)
	v_exp_f32_e32 v32, v32
	v_add_f32_e32 v15, 0x40051340, v150
	s_waitcnt_depctr 0xfff
	v_ldexp_f32 v32, v32, v142
	v_add_f32_e32 v142, v155, v203
	s_delay_alu instid0(VALU_DEP_2) | instskip(SKIP_1) | instid1(VALU_DEP_3)
	v_cndmask_b32_e32 v32, 0, v32, vcc_lo
	v_cmp_nlt_f32_e32 vcc_lo, 0x42b17218, v145
	v_add_f32_e32 v145, 0x40051340, v142
	s_delay_alu instid0(VALU_DEP_1) | instskip(SKIP_3) | instid1(VALU_DEP_1)
	v_max3_f32 v14, v146, v145, v14
	ds_bpermute_b32 v145, v201, v14
	s_waitcnt lgkmcnt(0)
	v_max_f32_e32 v145, v145, v145
	v_max_f32_e32 v14, v14, v145
	ds_bpermute_b32 v145, v200, v14
	s_waitcnt lgkmcnt(0)
	v_max_f32_e32 v145, v145, v145
	s_delay_alu instid0(VALU_DEP_1) | instskip(SKIP_3) | instid1(VALU_DEP_1)
	v_max_f32_e32 v14, v14, v145
	ds_bpermute_b32 v145, v199, v14
	s_waitcnt lgkmcnt(0)
	v_max_f32_e32 v145, v145, v145
	v_max_f32_e32 v14, v14, v145
	ds_bpermute_b32 v145, v198, v14
	s_waitcnt lgkmcnt(0)
	v_max_f32_e32 v145, v145, v145
	s_delay_alu instid0(VALU_DEP_1) | instskip(SKIP_2) | instid1(VALU_DEP_1)
	v_max_f32_e32 v14, v14, v145
	ds_bpermute_b32 v145, v17, v14
	v_cndmask_b32_e32 v32, 0x7f800000, v32, vcc_lo
	v_fmac_f32_e32 v31, v147, v32
	v_cvt_f16_f32_e32 v32, v32
	s_delay_alu instid0(VALU_DEP_1) | instskip(SKIP_1) | instid1(VALU_DEP_1)
	v_pk_mul_f16 v130, v32, v130 op_sel_hi:[0,1]
	v_add_f32_e32 v32, v156, v203
	v_add_f32_e32 v147, 0x40051340, v32
	s_delay_alu instid0(VALU_DEP_1) | instskip(SKIP_3) | instid1(VALU_DEP_1)
	v_max3_f32 v15, v144, v147, v15
	ds_bpermute_b32 v147, v201, v15
	s_waitcnt lgkmcnt(0)
	v_max_f32_e32 v147, v147, v147
	v_max_f32_e32 v15, v15, v147
	ds_bpermute_b32 v147, v200, v15
	s_waitcnt lgkmcnt(0)
	v_max_f32_e32 v147, v147, v147
	s_delay_alu instid0(VALU_DEP_1) | instskip(SKIP_3) | instid1(VALU_DEP_1)
	v_max_f32_e32 v15, v15, v147
	ds_bpermute_b32 v147, v199, v15
	s_waitcnt lgkmcnt(0)
	v_max_f32_e32 v147, v147, v147
	v_max_f32_e32 v15, v15, v147
	ds_bpermute_b32 v147, v198, v15
	s_waitcnt lgkmcnt(0)
	v_max_f32_e32 v147, v147, v147
	s_delay_alu instid0(VALU_DEP_1) | instskip(SKIP_3) | instid1(VALU_DEP_1)
	v_max_f32_e32 v15, v15, v147
	ds_bpermute_b32 v17, v17, v15
	s_waitcnt lgkmcnt(0)
	v_max_f32_e32 v17, v17, v17
	v_max_f32_e32 v15, v15, v17
	;; [unrolled: 1-line block ×3, first 2 shown]
	s_delay_alu instid0(VALU_DEP_1) | instskip(NEXT) | instid1(VALU_DEP_1)
	v_max_f32_e32 v14, v14, v17
	v_sub_f32_e32 v145, v151, v14
	s_delay_alu instid0(VALU_DEP_1) | instskip(SKIP_1) | instid1(VALU_DEP_2)
	v_dual_sub_f32 v17, v146, v14 :: v_dual_mul_f32 v146, 0x3fb8aa3b, v145
	v_cmp_ngt_f32_e32 vcc_lo, 0xc2ce8ed0, v145
	v_fma_f32 v147, 0x3fb8aa3b, v145, -v146
	v_rndne_f32_e32 v151, v146
	s_delay_alu instid0(VALU_DEP_1) | instskip(SKIP_1) | instid1(VALU_DEP_2)
	v_dual_fmac_f32 v147, 0x32a5705f, v145 :: v_dual_sub_f32 v146, v146, v151
	v_sub_f32_e32 v32, v32, v15
	v_add_f32_e32 v146, v146, v147
	v_cvt_i32_f32_e32 v147, v151
	s_delay_alu instid0(VALU_DEP_2) | instskip(SKIP_2) | instid1(VALU_DEP_1)
	v_exp_f32_e32 v146, v146
	s_waitcnt_depctr 0xfff
	v_ldexp_f32 v146, v146, v147
	v_cndmask_b32_e32 v146, 0, v146, vcc_lo
	v_cmp_nlt_f32_e32 vcc_lo, 0x42b17218, v145
	s_delay_alu instid0(VALU_DEP_2) | instskip(SKIP_3) | instid1(VALU_DEP_3)
	v_cndmask_b32_e32 v145, 0x7f800000, v146, vcc_lo
	v_mul_f32_e32 v146, 0x3fb8aa3b, v32
	v_sub_f32_e32 v142, v142, v14
	v_cmp_ngt_f32_e32 vcc_lo, 0xc2ce8ed0, v32
	v_fma_f32 v147, 0x3fb8aa3b, v32, -v146
	v_rndne_f32_e32 v151, v146
	s_delay_alu instid0(VALU_DEP_1) | instskip(NEXT) | instid1(VALU_DEP_1)
	v_dual_fmac_f32 v147, 0x32a5705f, v32 :: v_dual_sub_f32 v146, v146, v151
	v_add_f32_e32 v146, v146, v147
	v_cvt_i32_f32_e32 v147, v151
	s_delay_alu instid0(VALU_DEP_2) | instskip(SKIP_2) | instid1(VALU_DEP_1)
	v_exp_f32_e32 v146, v146
	s_waitcnt_depctr 0xfff
	v_ldexp_f32 v146, v146, v147
	v_cndmask_b32_e32 v146, 0, v146, vcc_lo
	v_cmp_nlt_f32_e32 vcc_lo, 0x42b17218, v32
	v_mul_f32_e32 v32, 0x3fb8aa3b, v142
	s_delay_alu instid0(VALU_DEP_3) | instskip(NEXT) | instid1(VALU_DEP_2)
	v_cndmask_b32_e32 v146, 0x7f800000, v146, vcc_lo
	v_fma_f32 v147, 0x3fb8aa3b, v142, -v32
	v_rndne_f32_e32 v151, v32
	v_cmp_ngt_f32_e32 vcc_lo, 0xc2ce8ed0, v142
	s_delay_alu instid0(VALU_DEP_2) | instskip(NEXT) | instid1(VALU_DEP_1)
	v_dual_fmac_f32 v147, 0x32a5705f, v142 :: v_dual_sub_f32 v32, v32, v151
	v_add_f32_e32 v32, v32, v147
	v_cvt_i32_f32_e32 v147, v151
	s_delay_alu instid0(VALU_DEP_2) | instskip(SKIP_3) | instid1(VALU_DEP_2)
	v_exp_f32_e32 v32, v32
	s_waitcnt_depctr 0xfff
	v_ldexp_f32 v32, v32, v147
	v_cvt_f16_f32_e64 v147, v145
	v_cndmask_b32_e32 v32, 0, v32, vcc_lo
	v_cmp_nlt_f32_e32 vcc_lo, 0x42b17218, v142
	s_delay_alu instid0(VALU_DEP_2) | instskip(SKIP_1) | instid1(VALU_DEP_2)
	v_cndmask_b32_e32 v142, 0x7f800000, v32, vcc_lo
	v_cmp_ngt_f32_e32 vcc_lo, 0xc2ce8ed0, v17
	v_add_f32_e32 v32, v142, v145
	v_mul_f32_e32 v145, 0x3fb8aa3b, v17
	v_cvt_f16_f32_e64 v142, v142
	s_delay_alu instid0(VALU_DEP_2) | instskip(SKIP_1) | instid1(VALU_DEP_2)
	v_fma_f32 v151, 0x3fb8aa3b, v17, -v145
	v_rndne_f32_e32 v152, v145
	v_fmac_f32_e32 v151, 0x32a5705f, v17
	s_delay_alu instid0(VALU_DEP_2) | instskip(NEXT) | instid1(VALU_DEP_1)
	v_sub_f32_e32 v145, v145, v152
	v_add_f32_e32 v145, v145, v151
	v_cvt_i32_f32_e32 v151, v152
	s_delay_alu instid0(VALU_DEP_2) | instskip(SKIP_2) | instid1(VALU_DEP_1)
	v_exp_f32_e32 v145, v145
	s_waitcnt_depctr 0xfff
	v_ldexp_f32 v145, v145, v151
	v_cndmask_b32_e32 v145, 0, v145, vcc_lo
	v_cmp_nlt_f32_e32 vcc_lo, 0x42b17218, v17
	s_delay_alu instid0(VALU_DEP_2) | instskip(NEXT) | instid1(VALU_DEP_1)
	v_cndmask_b32_e32 v17, 0x7f800000, v145, vcc_lo
	v_fmac_f32_e32 v32, v143, v17
	v_cvt_f16_f32_e32 v17, v17
	v_cvt_f16_f32_e64 v143, v146
	s_delay_alu instid0(VALU_DEP_2) | instskip(SKIP_2) | instid1(VALU_DEP_1)
	v_pk_mul_f16 v129, v17, v129 op_sel_hi:[0,1]
	v_sub_f32_e32 v17, v144, v15
	v_sub_f32_e32 v144, v150, v15
	v_mul_f32_e32 v145, 0x3fb8aa3b, v144
	v_cmp_ngt_f32_e32 vcc_lo, 0xc2ce8ed0, v144
	s_delay_alu instid0(VALU_DEP_2) | instskip(SKIP_1) | instid1(VALU_DEP_1)
	v_fma_f32 v150, 0x3fb8aa3b, v144, -v145
	v_rndne_f32_e32 v151, v145
	v_dual_fmac_f32 v150, 0x32a5705f, v144 :: v_dual_sub_f32 v145, v145, v151
	s_delay_alu instid0(VALU_DEP_1) | instskip(SKIP_1) | instid1(VALU_DEP_2)
	v_add_f32_e32 v145, v145, v150
	v_cvt_i32_f32_e32 v150, v151
	v_exp_f32_e32 v145, v145
	s_waitcnt_depctr 0xfff
	v_ldexp_f32 v145, v145, v150
	s_delay_alu instid0(VALU_DEP_1) | instskip(SKIP_1) | instid1(VALU_DEP_2)
	v_cndmask_b32_e32 v145, 0, v145, vcc_lo
	v_cmp_nlt_f32_e32 vcc_lo, 0x42b17218, v144
	v_cndmask_b32_e32 v144, 0x7f800000, v145, vcc_lo
	v_cmp_ngt_f32_e32 vcc_lo, 0xc2ce8ed0, v17
	s_delay_alu instid0(VALU_DEP_2) | instskip(SKIP_2) | instid1(VALU_DEP_1)
	v_add_f32_e32 v145, v146, v144
	v_cvt_f16_f32_e64 v146, v144
	v_mul_f32_e32 v144, 0x3fb8aa3b, v17
	v_fma_f32 v150, 0x3fb8aa3b, v17, -v144
	v_rndne_f32_e32 v151, v144
	s_delay_alu instid0(VALU_DEP_2) | instskip(NEXT) | instid1(VALU_DEP_2)
	v_fmac_f32_e32 v150, 0x32a5705f, v17
	v_sub_f32_e32 v144, v144, v151
	s_delay_alu instid0(VALU_DEP_1) | instskip(SKIP_1) | instid1(VALU_DEP_2)
	v_add_f32_e32 v144, v144, v150
	v_cvt_i32_f32_e32 v150, v151
	v_exp_f32_e32 v144, v144
	s_waitcnt_depctr 0xfff
	v_ldexp_f32 v144, v144, v150
	s_delay_alu instid0(VALU_DEP_1) | instskip(SKIP_1) | instid1(VALU_DEP_2)
	v_cndmask_b32_e32 v144, 0, v144, vcc_lo
	v_cmp_nlt_f32_e32 vcc_lo, 0x42b17218, v17
	v_dual_cndmask_b32 v17, 0x7f800000, v144 :: v_dual_mov_b32 v144, v93
	v_mov_b32_e32 v93, v145
	v_pack_b32_f16 v145, v142, v143
	v_pack_b32_f16 v142, v138, v137
	;; [unrolled: 1-line block ×3, first 2 shown]
	v_add_co_u32 v16, vcc_lo, s17, v52
	v_fmac_f32_e32 v93, v144, v17
	v_cvt_f16_f32_e32 v17, v17
	v_pack_b32_f16 v143, v140, v139
	v_pack_b32_f16 v139, v147, v146
	;; [unrolled: 1-line block ×4, first 2 shown]
	v_pk_mul_f16 v128, v17, v128 op_sel_hi:[0,1]
	v_add_co_ci_u32_e32 v17, vcc_lo, s18, v53, vcc_lo
	v_add_co_u32 v16, vcc_lo, v16, v119
	ds_store_b128 v120, v[136:139] offset:1536
	v_add_co_ci_u32_e32 v17, vcc_lo, 0, v17, vcc_lo
	ds_store_b128 v120, v[170:173] offset:512
	ds_store_b128 v120, v[142:145] offset:1024
	global_load_b128 v[133:136], v[16:17], off
	v_add_co_u32 v16, vcc_lo, s17, v54
	v_add_co_ci_u32_e32 v17, vcc_lo, s18, v55, vcc_lo
	s_delay_alu instid0(VALU_DEP_2) | instskip(NEXT) | instid1(VALU_DEP_2)
	v_add_co_u32 v16, vcc_lo, v16, v119
	v_add_co_ci_u32_e32 v17, vcc_lo, 0, v17, vcc_lo
	s_waitcnt vmcnt(0)
	ds_store_b128 v114, v[133:136]
	global_load_b128 v[133:136], v[16:17], off
	v_add_co_u32 v16, vcc_lo, s17, v56
	v_add_co_ci_u32_e32 v17, vcc_lo, s18, v57, vcc_lo
	s_delay_alu instid0(VALU_DEP_2) | instskip(NEXT) | instid1(VALU_DEP_2)
	v_add_co_u32 v16, vcc_lo, v16, v119
	v_add_co_ci_u32_e32 v17, vcc_lo, 0, v17, vcc_lo
	s_waitcnt vmcnt(0)
	ds_store_b128 v116, v[133:136]
	;; [unrolled: 8-line block ×3, first 2 shown]
	global_load_b128 v[133:136], v[16:17], off
	s_waitcnt vmcnt(0)
	ds_store_b128 v118, v[133:136]
	s_waitcnt lgkmcnt(0)
	s_barrier
	buffer_gl0_inv
	ds_load_2addr_b32 v[16:17], v91 offset1:32
	ds_load_b128 v[133:136], v115
	ds_load_b128 v[137:140], v115 offset:16
	ds_load_b128 v[141:144], v115 offset:32
	;; [unrolled: 1-line block ×4, first 2 shown]
	s_waitcnt lgkmcnt(4)
	v_pk_fma_f16 v153, v16, v133, v33 op_sel_hi:[1,0,1]
	v_pk_fma_f16 v133, v16, v133, v34 op_sel:[0,1,0]
	v_pk_fma_f16 v154, v16, v134, v35 op_sel_hi:[1,0,1]
	v_pk_fma_f16 v134, v16, v134, v36 op_sel:[0,1,0]
	ds_load_b128 v[33:36], v115 offset:1040
	v_pk_fma_f16 v37, v16, v135, v37 op_sel_hi:[1,0,1]
	v_pk_fma_f16 v38, v16, v135, v38 op_sel:[0,1,0]
	v_pk_fma_f16 v40, v16, v136, v40 op_sel_hi:[1,0,1]
	v_pk_fma_f16 v41, v16, v136, v41 op_sel:[0,1,0]
	s_waitcnt lgkmcnt(1)
	v_pk_fma_f16 v39, v16, v149, v39 op_sel_hi:[1,0,1]
	v_pk_fma_f16 v42, v16, v149, v42 op_sel:[0,1,0]
	v_pk_fma_f16 v43, v16, v150, v43 op_sel_hi:[1,0,1]
	v_pk_fma_f16 v132, v16, v150, v132 op_sel:[0,1,0]
	;; [unrolled: 2-line block ×8, first 2 shown]
	s_waitcnt lgkmcnt(0)
	v_pk_fma_f16 v39, v17, v33, v39 op_sel_hi:[1,0,1]
	v_pk_fma_f16 v42, v17, v33, v42 op_sel:[0,1,0]
	v_pk_fma_f16 v43, v17, v34, v43 op_sel_hi:[1,0,1]
	v_pk_fma_f16 v132, v17, v34, v132 op_sel:[0,1,0]
	;; [unrolled: 2-line block ×4, first 2 shown]
	ds_load_2addr_b32 v[16:17], v91 offset0:64 offset1:96
	ds_load_b128 v[33:36], v115 offset:1056
	s_waitcnt lgkmcnt(1)
	v_pk_fma_f16 v128, v16, v141, v128 op_sel_hi:[1,0,1]
	v_pk_fma_f16 v133, v16, v141, v133 op_sel:[0,1,0]
	v_pk_fma_f16 v135, v16, v142, v135 op_sel_hi:[1,0,1]
	v_pk_fma_f16 v134, v16, v142, v134 op_sel:[0,1,0]
	;; [unrolled: 2-line block ×4, first 2 shown]
	s_waitcnt lgkmcnt(0)
	v_pk_fma_f16 v39, v16, v33, v39 op_sel_hi:[1,0,1]
	v_pk_fma_f16 v42, v16, v33, v42 op_sel:[0,1,0]
	v_pk_fma_f16 v43, v16, v34, v43 op_sel_hi:[1,0,1]
	v_pk_fma_f16 v132, v16, v34, v132 op_sel:[0,1,0]
	;; [unrolled: 2-line block ×4, first 2 shown]
	ds_load_b128 v[33:36], v115 offset:1072
	v_pk_fma_f16 v128, v17, v145, v128 op_sel_hi:[1,0,1]
	v_pk_fma_f16 v133, v17, v145, v133 op_sel:[0,1,0]
	v_pk_fma_f16 v135, v17, v146, v135 op_sel_hi:[1,0,1]
	v_pk_fma_f16 v134, v17, v146, v134 op_sel:[0,1,0]
	;; [unrolled: 2-line block ×4, first 2 shown]
	s_waitcnt lgkmcnt(0)
	v_pk_fma_f16 v139, v17, v33, v39 op_sel_hi:[1,0,1]
	v_pk_fma_f16 v42, v17, v33, v42 op_sel:[0,1,0]
	v_pk_fma_f16 v43, v17, v34, v43 op_sel_hi:[1,0,1]
	v_pk_fma_f16 v132, v17, v34, v132 op_sel:[0,1,0]
	;; [unrolled: 2-line block ×4, first 2 shown]
	ds_load_2addr_b32 v[16:17], v91 offset0:128 offset1:160
	ds_load_b128 v[33:36], v115 offset:64
	ds_load_b128 v[37:40], v115 offset:1088
	s_waitcnt lgkmcnt(1)
	v_pk_fma_f16 v128, v16, v33, v128 op_sel_hi:[1,0,1]
	v_pk_fma_f16 v133, v16, v33, v133 op_sel:[0,1,0]
	v_pk_fma_f16 v135, v16, v34, v135 op_sel_hi:[1,0,1]
	v_pk_fma_f16 v134, v16, v34, v134 op_sel:[0,1,0]
	;; [unrolled: 2-line block ×4, first 2 shown]
	s_waitcnt lgkmcnt(0)
	v_pk_fma_f16 v139, v16, v37, v139 op_sel_hi:[1,0,1]
	v_pk_fma_f16 v42, v16, v37, v42 op_sel:[0,1,0]
	v_pk_fma_f16 v43, v16, v38, v43 op_sel_hi:[1,0,1]
	v_pk_fma_f16 v132, v16, v38, v132 op_sel:[0,1,0]
	v_pk_fma_f16 v131, v16, v39, v131 op_sel_hi:[1,0,1]
	v_pk_fma_f16 v130, v16, v39, v130 op_sel:[0,1,0]
	v_pk_fma_f16 v129, v16, v40, v129 op_sel_hi:[1,0,1]
	v_pk_fma_f16 v16, v16, v40, v140 op_sel:[0,1,0]
	ds_load_b128 v[33:36], v115 offset:80
	ds_load_b128 v[37:40], v115 offset:1104
	s_waitcnt lgkmcnt(1)
	v_pk_fma_f16 v128, v17, v33, v128 op_sel_hi:[1,0,1]
	v_pk_fma_f16 v133, v17, v33, v133 op_sel:[0,1,0]
	v_pk_fma_f16 v135, v17, v34, v135 op_sel_hi:[1,0,1]
	v_pk_fma_f16 v134, v17, v34, v134 op_sel:[0,1,0]
	;; [unrolled: 2-line block ×4, first 2 shown]
	s_waitcnt lgkmcnt(0)
	v_pk_fma_f16 v139, v17, v37, v139 op_sel_hi:[1,0,1]
	v_pk_fma_f16 v42, v17, v37, v42 op_sel:[0,1,0]
	v_pk_fma_f16 v43, v17, v38, v43 op_sel_hi:[1,0,1]
	v_pk_fma_f16 v132, v17, v38, v132 op_sel:[0,1,0]
	v_pk_fma_f16 v131, v17, v39, v131 op_sel_hi:[1,0,1]
	v_pk_fma_f16 v130, v17, v39, v130 op_sel:[0,1,0]
	v_pk_fma_f16 v129, v17, v40, v129 op_sel_hi:[1,0,1]
	v_pk_fma_f16 v140, v17, v40, v16 op_sel:[0,1,0]
	ds_load_2addr_b32 v[16:17], v91 offset0:192 offset1:224
	ds_load_b128 v[33:36], v115 offset:96
	ds_load_b128 v[37:40], v115 offset:1120
	s_waitcnt lgkmcnt(1)
	v_pk_fma_f16 v128, v16, v33, v128 op_sel_hi:[1,0,1]
	v_pk_fma_f16 v133, v16, v33, v133 op_sel:[0,1,0]
	v_pk_fma_f16 v135, v16, v34, v135 op_sel_hi:[1,0,1]
	v_pk_fma_f16 v134, v16, v34, v134 op_sel:[0,1,0]
	;; [unrolled: 2-line block ×4, first 2 shown]
	s_waitcnt lgkmcnt(0)
	v_pk_fma_f16 v139, v16, v37, v139 op_sel_hi:[1,0,1]
	v_pk_fma_f16 v42, v16, v37, v42 op_sel:[0,1,0]
	v_pk_fma_f16 v43, v16, v38, v43 op_sel_hi:[1,0,1]
	v_pk_fma_f16 v132, v16, v38, v132 op_sel:[0,1,0]
	;; [unrolled: 2-line block ×4, first 2 shown]
	ds_load_b128 v[33:36], v115 offset:112
	ds_load_b128 v[37:40], v115 offset:1136
	s_waitcnt lgkmcnt(1)
	v_pk_fma_f16 v128, v17, v33, v128 op_sel_hi:[1,0,1]
	v_pk_fma_f16 v133, v17, v33, v133 op_sel:[0,1,0]
	v_pk_fma_f16 v135, v17, v34, v135 op_sel_hi:[1,0,1]
	v_pk_fma_f16 v134, v17, v34, v134 op_sel:[0,1,0]
	;; [unrolled: 2-line block ×4, first 2 shown]
	s_waitcnt lgkmcnt(0)
	v_pk_fma_f16 v139, v17, v37, v139 op_sel_hi:[1,0,1]
	v_pk_fma_f16 v42, v17, v37, v42 op_sel:[0,1,0]
	v_pk_fma_f16 v43, v17, v38, v43 op_sel_hi:[1,0,1]
	v_pk_fma_f16 v132, v17, v38, v132 op_sel:[0,1,0]
	;; [unrolled: 2-line block ×4, first 2 shown]
	ds_load_2addr_b32 v[16:17], v121 offset1:32
	ds_load_b128 v[33:36], v115 offset:128
	ds_load_b128 v[37:40], v115 offset:1152
	s_waitcnt lgkmcnt(1)
	v_pk_fma_f16 v128, v16, v33, v128 op_sel_hi:[1,0,1]
	v_pk_fma_f16 v133, v16, v33, v133 op_sel:[0,1,0]
	v_pk_fma_f16 v135, v16, v34, v135 op_sel_hi:[1,0,1]
	v_pk_fma_f16 v134, v16, v34, v134 op_sel:[0,1,0]
	v_pk_fma_f16 v136, v16, v35, v136 op_sel_hi:[1,0,1]
	v_pk_fma_f16 v137, v16, v35, v137 op_sel:[0,1,0]
	v_pk_fma_f16 v138, v16, v36, v138 op_sel_hi:[1,0,1]
	v_pk_fma_f16 v41, v16, v36, v41 op_sel:[0,1,0]
	s_waitcnt lgkmcnt(0)
	v_pk_fma_f16 v139, v16, v37, v139 op_sel_hi:[1,0,1]
	v_pk_fma_f16 v42, v16, v37, v42 op_sel:[0,1,0]
	v_pk_fma_f16 v43, v16, v38, v43 op_sel_hi:[1,0,1]
	v_pk_fma_f16 v132, v16, v38, v132 op_sel:[0,1,0]
	v_pk_fma_f16 v131, v16, v39, v131 op_sel_hi:[1,0,1]
	v_pk_fma_f16 v130, v16, v39, v130 op_sel:[0,1,0]
	v_pk_fma_f16 v129, v16, v40, v129 op_sel_hi:[1,0,1]
	v_pk_fma_f16 v16, v16, v40, v140 op_sel:[0,1,0]
	ds_load_b128 v[33:36], v115 offset:144
	ds_load_b128 v[37:40], v115 offset:1168
	s_waitcnt lgkmcnt(1)
	v_pk_fma_f16 v128, v17, v33, v128 op_sel_hi:[1,0,1]
	v_pk_fma_f16 v133, v17, v33, v133 op_sel:[0,1,0]
	v_pk_fma_f16 v135, v17, v34, v135 op_sel_hi:[1,0,1]
	v_pk_fma_f16 v134, v17, v34, v134 op_sel:[0,1,0]
	v_pk_fma_f16 v136, v17, v35, v136 op_sel_hi:[1,0,1]
	v_pk_fma_f16 v137, v17, v35, v137 op_sel:[0,1,0]
	v_pk_fma_f16 v138, v17, v36, v138 op_sel_hi:[1,0,1]
	v_pk_fma_f16 v41, v17, v36, v41 op_sel:[0,1,0]
	s_waitcnt lgkmcnt(0)
	v_pk_fma_f16 v139, v17, v37, v139 op_sel_hi:[1,0,1]
	v_pk_fma_f16 v42, v17, v37, v42 op_sel:[0,1,0]
	v_pk_fma_f16 v43, v17, v38, v43 op_sel_hi:[1,0,1]
	v_pk_fma_f16 v132, v17, v38, v132 op_sel:[0,1,0]
	v_pk_fma_f16 v131, v17, v39, v131 op_sel_hi:[1,0,1]
	v_pk_fma_f16 v130, v17, v39, v130 op_sel:[0,1,0]
	v_pk_fma_f16 v129, v17, v40, v129 op_sel_hi:[1,0,1]
	v_pk_fma_f16 v140, v17, v40, v16 op_sel:[0,1,0]
	ds_load_2addr_b32 v[16:17], v121 offset0:64 offset1:96
	ds_load_b128 v[33:36], v115 offset:160
	ds_load_b128 v[37:40], v115 offset:1184
	s_waitcnt lgkmcnt(1)
	v_pk_fma_f16 v128, v16, v33, v128 op_sel_hi:[1,0,1]
	v_pk_fma_f16 v133, v16, v33, v133 op_sel:[0,1,0]
	v_pk_fma_f16 v135, v16, v34, v135 op_sel_hi:[1,0,1]
	v_pk_fma_f16 v134, v16, v34, v134 op_sel:[0,1,0]
	v_pk_fma_f16 v136, v16, v35, v136 op_sel_hi:[1,0,1]
	v_pk_fma_f16 v137, v16, v35, v137 op_sel:[0,1,0]
	v_pk_fma_f16 v138, v16, v36, v138 op_sel_hi:[1,0,1]
	v_pk_fma_f16 v41, v16, v36, v41 op_sel:[0,1,0]
	s_waitcnt lgkmcnt(0)
	v_pk_fma_f16 v139, v16, v37, v139 op_sel_hi:[1,0,1]
	v_pk_fma_f16 v42, v16, v37, v42 op_sel:[0,1,0]
	v_pk_fma_f16 v43, v16, v38, v43 op_sel_hi:[1,0,1]
	v_pk_fma_f16 v132, v16, v38, v132 op_sel:[0,1,0]
	v_pk_fma_f16 v131, v16, v39, v131 op_sel_hi:[1,0,1]
	v_pk_fma_f16 v130, v16, v39, v130 op_sel:[0,1,0]
	v_pk_fma_f16 v129, v16, v40, v129 op_sel_hi:[1,0,1]
	v_pk_fma_f16 v16, v16, v40, v140 op_sel:[0,1,0]
	ds_load_b128 v[33:36], v115 offset:176
	ds_load_b128 v[37:40], v115 offset:1200
	s_waitcnt lgkmcnt(1)
	v_pk_fma_f16 v128, v17, v33, v128 op_sel_hi:[1,0,1]
	v_pk_fma_f16 v133, v17, v33, v133 op_sel:[0,1,0]
	v_pk_fma_f16 v135, v17, v34, v135 op_sel_hi:[1,0,1]
	v_pk_fma_f16 v134, v17, v34, v134 op_sel:[0,1,0]
	v_pk_fma_f16 v136, v17, v35, v136 op_sel_hi:[1,0,1]
	v_pk_fma_f16 v137, v17, v35, v137 op_sel:[0,1,0]
	v_pk_fma_f16 v138, v17, v36, v138 op_sel_hi:[1,0,1]
	v_pk_fma_f16 v41, v17, v36, v41 op_sel:[0,1,0]
	s_waitcnt lgkmcnt(0)
	v_pk_fma_f16 v139, v17, v37, v139 op_sel_hi:[1,0,1]
	v_pk_fma_f16 v42, v17, v37, v42 op_sel:[0,1,0]
	v_pk_fma_f16 v43, v17, v38, v43 op_sel_hi:[1,0,1]
	v_pk_fma_f16 v132, v17, v38, v132 op_sel:[0,1,0]
	v_pk_fma_f16 v131, v17, v39, v131 op_sel_hi:[1,0,1]
	v_pk_fma_f16 v130, v17, v39, v130 op_sel:[0,1,0]
	v_pk_fma_f16 v129, v17, v40, v129 op_sel_hi:[1,0,1]
	v_pk_fma_f16 v140, v17, v40, v16 op_sel:[0,1,0]
	ds_load_2addr_b32 v[16:17], v121 offset0:128 offset1:160
	ds_load_b128 v[33:36], v115 offset:192
	ds_load_b128 v[37:40], v115 offset:1216
	s_waitcnt lgkmcnt(1)
	v_pk_fma_f16 v128, v16, v33, v128 op_sel_hi:[1,0,1]
	v_pk_fma_f16 v133, v16, v33, v133 op_sel:[0,1,0]
	v_pk_fma_f16 v135, v16, v34, v135 op_sel_hi:[1,0,1]
	v_pk_fma_f16 v134, v16, v34, v134 op_sel:[0,1,0]
	v_pk_fma_f16 v136, v16, v35, v136 op_sel_hi:[1,0,1]
	v_pk_fma_f16 v137, v16, v35, v137 op_sel:[0,1,0]
	v_pk_fma_f16 v138, v16, v36, v138 op_sel_hi:[1,0,1]
	v_pk_fma_f16 v41, v16, v36, v41 op_sel:[0,1,0]
	s_waitcnt lgkmcnt(0)
	v_pk_fma_f16 v139, v16, v37, v139 op_sel_hi:[1,0,1]
	v_pk_fma_f16 v42, v16, v37, v42 op_sel:[0,1,0]
	v_pk_fma_f16 v43, v16, v38, v43 op_sel_hi:[1,0,1]
	v_pk_fma_f16 v132, v16, v38, v132 op_sel:[0,1,0]
	v_pk_fma_f16 v131, v16, v39, v131 op_sel_hi:[1,0,1]
	v_pk_fma_f16 v130, v16, v39, v130 op_sel:[0,1,0]
	v_pk_fma_f16 v129, v16, v40, v129 op_sel_hi:[1,0,1]
	v_pk_fma_f16 v16, v16, v40, v140 op_sel:[0,1,0]
	ds_load_b128 v[33:36], v115 offset:208
	ds_load_b128 v[37:40], v115 offset:1232
	s_waitcnt lgkmcnt(1)
	v_pk_fma_f16 v128, v17, v33, v128 op_sel_hi:[1,0,1]
	v_pk_fma_f16 v133, v17, v33, v133 op_sel:[0,1,0]
	v_pk_fma_f16 v135, v17, v34, v135 op_sel_hi:[1,0,1]
	v_pk_fma_f16 v134, v17, v34, v134 op_sel:[0,1,0]
	v_pk_fma_f16 v136, v17, v35, v136 op_sel_hi:[1,0,1]
	v_pk_fma_f16 v137, v17, v35, v137 op_sel:[0,1,0]
	v_pk_fma_f16 v138, v17, v36, v138 op_sel_hi:[1,0,1]
	v_pk_fma_f16 v41, v17, v36, v41 op_sel:[0,1,0]
	s_waitcnt lgkmcnt(0)
	v_pk_fma_f16 v139, v17, v37, v139 op_sel_hi:[1,0,1]
	v_pk_fma_f16 v42, v17, v37, v42 op_sel:[0,1,0]
	v_pk_fma_f16 v43, v17, v38, v43 op_sel_hi:[1,0,1]
	v_pk_fma_f16 v132, v17, v38, v132 op_sel:[0,1,0]
	v_pk_fma_f16 v131, v17, v39, v131 op_sel_hi:[1,0,1]
	v_pk_fma_f16 v130, v17, v39, v130 op_sel:[0,1,0]
	v_pk_fma_f16 v129, v17, v40, v129 op_sel_hi:[1,0,1]
	v_pk_fma_f16 v140, v17, v40, v16 op_sel:[0,1,0]
	ds_load_2addr_b32 v[16:17], v121 offset0:192 offset1:224
	ds_load_b128 v[33:36], v115 offset:224
	ds_load_b128 v[37:40], v115 offset:1248
	s_waitcnt lgkmcnt(1)
	v_pk_fma_f16 v128, v16, v33, v128 op_sel_hi:[1,0,1]
	v_pk_fma_f16 v133, v16, v33, v133 op_sel:[0,1,0]
	v_pk_fma_f16 v135, v16, v34, v135 op_sel_hi:[1,0,1]
	v_pk_fma_f16 v134, v16, v34, v134 op_sel:[0,1,0]
	;; [unrolled: 2-line block ×4, first 2 shown]
	s_waitcnt lgkmcnt(0)
	v_pk_fma_f16 v139, v16, v37, v139 op_sel_hi:[1,0,1]
	v_pk_fma_f16 v42, v16, v37, v42 op_sel:[0,1,0]
	v_pk_fma_f16 v43, v16, v38, v43 op_sel_hi:[1,0,1]
	v_pk_fma_f16 v132, v16, v38, v132 op_sel:[0,1,0]
	;; [unrolled: 2-line block ×4, first 2 shown]
	ds_load_b128 v[33:36], v115 offset:240
	ds_load_b128 v[37:40], v115 offset:1264
	s_waitcnt lgkmcnt(1)
	v_pk_fma_f16 v128, v17, v33, v128 op_sel_hi:[1,0,1]
	v_pk_fma_f16 v133, v17, v33, v133 op_sel:[0,1,0]
	v_pk_fma_f16 v135, v17, v34, v135 op_sel_hi:[1,0,1]
	v_pk_fma_f16 v134, v17, v34, v134 op_sel:[0,1,0]
	;; [unrolled: 2-line block ×4, first 2 shown]
	s_waitcnt lgkmcnt(0)
	v_pk_fma_f16 v139, v17, v37, v139 op_sel_hi:[1,0,1]
	v_pk_fma_f16 v42, v17, v37, v42 op_sel:[0,1,0]
	v_pk_fma_f16 v43, v17, v38, v43 op_sel_hi:[1,0,1]
	v_pk_fma_f16 v132, v17, v38, v132 op_sel:[0,1,0]
	v_pk_fma_f16 v131, v17, v39, v131 op_sel_hi:[1,0,1]
	v_pk_fma_f16 v130, v17, v39, v130 op_sel:[0,1,0]
	v_pk_fma_f16 v129, v17, v40, v129 op_sel_hi:[1,0,1]
	v_pk_fma_f16 v140, v17, v40, v16 op_sel:[0,1,0]
	ds_load_2addr_b32 v[16:17], v122 offset1:32
	ds_load_b128 v[33:36], v115 offset:256
	ds_load_b128 v[37:40], v115 offset:1280
	s_waitcnt lgkmcnt(1)
	v_pk_fma_f16 v128, v16, v33, v128 op_sel_hi:[1,0,1]
	v_pk_fma_f16 v133, v16, v33, v133 op_sel:[0,1,0]
	v_pk_fma_f16 v135, v16, v34, v135 op_sel_hi:[1,0,1]
	v_pk_fma_f16 v134, v16, v34, v134 op_sel:[0,1,0]
	v_pk_fma_f16 v136, v16, v35, v136 op_sel_hi:[1,0,1]
	v_pk_fma_f16 v137, v16, v35, v137 op_sel:[0,1,0]
	v_pk_fma_f16 v138, v16, v36, v138 op_sel_hi:[1,0,1]
	v_pk_fma_f16 v41, v16, v36, v41 op_sel:[0,1,0]
	s_waitcnt lgkmcnt(0)
	v_pk_fma_f16 v139, v16, v37, v139 op_sel_hi:[1,0,1]
	v_pk_fma_f16 v42, v16, v37, v42 op_sel:[0,1,0]
	v_pk_fma_f16 v43, v16, v38, v43 op_sel_hi:[1,0,1]
	v_pk_fma_f16 v132, v16, v38, v132 op_sel:[0,1,0]
	v_pk_fma_f16 v131, v16, v39, v131 op_sel_hi:[1,0,1]
	v_pk_fma_f16 v130, v16, v39, v130 op_sel:[0,1,0]
	v_pk_fma_f16 v129, v16, v40, v129 op_sel_hi:[1,0,1]
	v_pk_fma_f16 v16, v16, v40, v140 op_sel:[0,1,0]
	ds_load_b128 v[33:36], v115 offset:272
	ds_load_b128 v[37:40], v115 offset:1296
	s_waitcnt lgkmcnt(1)
	v_pk_fma_f16 v128, v17, v33, v128 op_sel_hi:[1,0,1]
	v_pk_fma_f16 v133, v17, v33, v133 op_sel:[0,1,0]
	v_pk_fma_f16 v135, v17, v34, v135 op_sel_hi:[1,0,1]
	v_pk_fma_f16 v134, v17, v34, v134 op_sel:[0,1,0]
	v_pk_fma_f16 v136, v17, v35, v136 op_sel_hi:[1,0,1]
	v_pk_fma_f16 v137, v17, v35, v137 op_sel:[0,1,0]
	v_pk_fma_f16 v138, v17, v36, v138 op_sel_hi:[1,0,1]
	v_pk_fma_f16 v41, v17, v36, v41 op_sel:[0,1,0]
	s_waitcnt lgkmcnt(0)
	v_pk_fma_f16 v139, v17, v37, v139 op_sel_hi:[1,0,1]
	v_pk_fma_f16 v42, v17, v37, v42 op_sel:[0,1,0]
	v_pk_fma_f16 v43, v17, v38, v43 op_sel_hi:[1,0,1]
	v_pk_fma_f16 v132, v17, v38, v132 op_sel:[0,1,0]
	v_pk_fma_f16 v131, v17, v39, v131 op_sel_hi:[1,0,1]
	v_pk_fma_f16 v130, v17, v39, v130 op_sel:[0,1,0]
	v_pk_fma_f16 v129, v17, v40, v129 op_sel_hi:[1,0,1]
	v_pk_fma_f16 v140, v17, v40, v16 op_sel:[0,1,0]
	ds_load_2addr_b32 v[16:17], v122 offset0:64 offset1:96
	ds_load_b128 v[33:36], v115 offset:288
	ds_load_b128 v[37:40], v115 offset:1312
	s_waitcnt lgkmcnt(1)
	v_pk_fma_f16 v128, v16, v33, v128 op_sel_hi:[1,0,1]
	v_pk_fma_f16 v133, v16, v33, v133 op_sel:[0,1,0]
	v_pk_fma_f16 v135, v16, v34, v135 op_sel_hi:[1,0,1]
	v_pk_fma_f16 v134, v16, v34, v134 op_sel:[0,1,0]
	v_pk_fma_f16 v136, v16, v35, v136 op_sel_hi:[1,0,1]
	v_pk_fma_f16 v137, v16, v35, v137 op_sel:[0,1,0]
	v_pk_fma_f16 v138, v16, v36, v138 op_sel_hi:[1,0,1]
	v_pk_fma_f16 v41, v16, v36, v41 op_sel:[0,1,0]
	s_waitcnt lgkmcnt(0)
	v_pk_fma_f16 v139, v16, v37, v139 op_sel_hi:[1,0,1]
	v_pk_fma_f16 v42, v16, v37, v42 op_sel:[0,1,0]
	v_pk_fma_f16 v43, v16, v38, v43 op_sel_hi:[1,0,1]
	v_pk_fma_f16 v132, v16, v38, v132 op_sel:[0,1,0]
	v_pk_fma_f16 v131, v16, v39, v131 op_sel_hi:[1,0,1]
	v_pk_fma_f16 v130, v16, v39, v130 op_sel:[0,1,0]
	v_pk_fma_f16 v129, v16, v40, v129 op_sel_hi:[1,0,1]
	v_pk_fma_f16 v16, v16, v40, v140 op_sel:[0,1,0]
	ds_load_b128 v[33:36], v115 offset:304
	ds_load_b128 v[37:40], v115 offset:1328
	s_waitcnt lgkmcnt(1)
	v_pk_fma_f16 v128, v17, v33, v128 op_sel_hi:[1,0,1]
	v_pk_fma_f16 v133, v17, v33, v133 op_sel:[0,1,0]
	v_pk_fma_f16 v135, v17, v34, v135 op_sel_hi:[1,0,1]
	v_pk_fma_f16 v134, v17, v34, v134 op_sel:[0,1,0]
	v_pk_fma_f16 v136, v17, v35, v136 op_sel_hi:[1,0,1]
	v_pk_fma_f16 v137, v17, v35, v137 op_sel:[0,1,0]
	v_pk_fma_f16 v138, v17, v36, v138 op_sel_hi:[1,0,1]
	v_pk_fma_f16 v41, v17, v36, v41 op_sel:[0,1,0]
	s_waitcnt lgkmcnt(0)
	v_pk_fma_f16 v139, v17, v37, v139 op_sel_hi:[1,0,1]
	v_pk_fma_f16 v42, v17, v37, v42 op_sel:[0,1,0]
	v_pk_fma_f16 v43, v17, v38, v43 op_sel_hi:[1,0,1]
	v_pk_fma_f16 v132, v17, v38, v132 op_sel:[0,1,0]
	v_pk_fma_f16 v131, v17, v39, v131 op_sel_hi:[1,0,1]
	v_pk_fma_f16 v130, v17, v39, v130 op_sel:[0,1,0]
	v_pk_fma_f16 v129, v17, v40, v129 op_sel_hi:[1,0,1]
	v_pk_fma_f16 v140, v17, v40, v16 op_sel:[0,1,0]
	ds_load_2addr_b32 v[16:17], v122 offset0:128 offset1:160
	;; [unrolled: 41-line block ×3, first 2 shown]
	ds_load_b128 v[33:36], v115 offset:352
	ds_load_b128 v[37:40], v115 offset:1376
	s_waitcnt lgkmcnt(1)
	v_pk_fma_f16 v128, v16, v33, v128 op_sel_hi:[1,0,1]
	v_pk_fma_f16 v133, v16, v33, v133 op_sel:[0,1,0]
	v_pk_fma_f16 v135, v16, v34, v135 op_sel_hi:[1,0,1]
	v_pk_fma_f16 v134, v16, v34, v134 op_sel:[0,1,0]
	;; [unrolled: 2-line block ×4, first 2 shown]
	s_waitcnt lgkmcnt(0)
	v_pk_fma_f16 v139, v16, v37, v139 op_sel_hi:[1,0,1]
	v_pk_fma_f16 v42, v16, v37, v42 op_sel:[0,1,0]
	v_pk_fma_f16 v43, v16, v38, v43 op_sel_hi:[1,0,1]
	v_pk_fma_f16 v132, v16, v38, v132 op_sel:[0,1,0]
	;; [unrolled: 2-line block ×4, first 2 shown]
	ds_load_b128 v[33:36], v115 offset:368
	ds_load_b128 v[37:40], v115 offset:1392
	s_waitcnt lgkmcnt(1)
	v_pk_fma_f16 v128, v17, v33, v128 op_sel_hi:[1,0,1]
	v_pk_fma_f16 v133, v17, v33, v133 op_sel:[0,1,0]
	v_pk_fma_f16 v135, v17, v34, v135 op_sel_hi:[1,0,1]
	v_pk_fma_f16 v134, v17, v34, v134 op_sel:[0,1,0]
	;; [unrolled: 2-line block ×4, first 2 shown]
	s_waitcnt lgkmcnt(0)
	v_pk_fma_f16 v139, v17, v37, v139 op_sel_hi:[1,0,1]
	v_pk_fma_f16 v42, v17, v37, v42 op_sel:[0,1,0]
	v_pk_fma_f16 v43, v17, v38, v43 op_sel_hi:[1,0,1]
	v_pk_fma_f16 v132, v17, v38, v132 op_sel:[0,1,0]
	;; [unrolled: 2-line block ×4, first 2 shown]
	ds_load_2addr_b32 v[16:17], v123 offset1:32
	ds_load_b128 v[33:36], v115 offset:384
	ds_load_b128 v[37:40], v115 offset:1408
	s_waitcnt lgkmcnt(1)
	v_pk_fma_f16 v128, v16, v33, v128 op_sel_hi:[1,0,1]
	v_pk_fma_f16 v133, v16, v33, v133 op_sel:[0,1,0]
	v_pk_fma_f16 v135, v16, v34, v135 op_sel_hi:[1,0,1]
	v_pk_fma_f16 v134, v16, v34, v134 op_sel:[0,1,0]
	v_pk_fma_f16 v136, v16, v35, v136 op_sel_hi:[1,0,1]
	v_pk_fma_f16 v137, v16, v35, v137 op_sel:[0,1,0]
	v_pk_fma_f16 v138, v16, v36, v138 op_sel_hi:[1,0,1]
	v_pk_fma_f16 v41, v16, v36, v41 op_sel:[0,1,0]
	s_waitcnt lgkmcnt(0)
	v_pk_fma_f16 v139, v16, v37, v139 op_sel_hi:[1,0,1]
	v_pk_fma_f16 v42, v16, v37, v42 op_sel:[0,1,0]
	v_pk_fma_f16 v43, v16, v38, v43 op_sel_hi:[1,0,1]
	v_pk_fma_f16 v132, v16, v38, v132 op_sel:[0,1,0]
	v_pk_fma_f16 v131, v16, v39, v131 op_sel_hi:[1,0,1]
	v_pk_fma_f16 v130, v16, v39, v130 op_sel:[0,1,0]
	v_pk_fma_f16 v129, v16, v40, v129 op_sel_hi:[1,0,1]
	v_pk_fma_f16 v16, v16, v40, v140 op_sel:[0,1,0]
	ds_load_b128 v[33:36], v115 offset:400
	ds_load_b128 v[37:40], v115 offset:1424
	s_waitcnt lgkmcnt(1)
	v_pk_fma_f16 v128, v17, v33, v128 op_sel_hi:[1,0,1]
	v_pk_fma_f16 v133, v17, v33, v133 op_sel:[0,1,0]
	v_pk_fma_f16 v135, v17, v34, v135 op_sel_hi:[1,0,1]
	v_pk_fma_f16 v134, v17, v34, v134 op_sel:[0,1,0]
	v_pk_fma_f16 v136, v17, v35, v136 op_sel_hi:[1,0,1]
	v_pk_fma_f16 v137, v17, v35, v137 op_sel:[0,1,0]
	v_pk_fma_f16 v138, v17, v36, v138 op_sel_hi:[1,0,1]
	v_pk_fma_f16 v41, v17, v36, v41 op_sel:[0,1,0]
	s_waitcnt lgkmcnt(0)
	v_pk_fma_f16 v139, v17, v37, v139 op_sel_hi:[1,0,1]
	v_pk_fma_f16 v42, v17, v37, v42 op_sel:[0,1,0]
	v_pk_fma_f16 v43, v17, v38, v43 op_sel_hi:[1,0,1]
	v_pk_fma_f16 v132, v17, v38, v132 op_sel:[0,1,0]
	v_pk_fma_f16 v131, v17, v39, v131 op_sel_hi:[1,0,1]
	v_pk_fma_f16 v130, v17, v39, v130 op_sel:[0,1,0]
	v_pk_fma_f16 v129, v17, v40, v129 op_sel_hi:[1,0,1]
	v_pk_fma_f16 v140, v17, v40, v16 op_sel:[0,1,0]
	ds_load_2addr_b32 v[16:17], v123 offset0:64 offset1:96
	ds_load_b128 v[33:36], v115 offset:416
	ds_load_b128 v[37:40], v115 offset:1440
	s_waitcnt lgkmcnt(1)
	v_pk_fma_f16 v128, v16, v33, v128 op_sel_hi:[1,0,1]
	v_pk_fma_f16 v133, v16, v33, v133 op_sel:[0,1,0]
	v_pk_fma_f16 v135, v16, v34, v135 op_sel_hi:[1,0,1]
	v_pk_fma_f16 v134, v16, v34, v134 op_sel:[0,1,0]
	v_pk_fma_f16 v136, v16, v35, v136 op_sel_hi:[1,0,1]
	v_pk_fma_f16 v137, v16, v35, v137 op_sel:[0,1,0]
	v_pk_fma_f16 v138, v16, v36, v138 op_sel_hi:[1,0,1]
	v_pk_fma_f16 v41, v16, v36, v41 op_sel:[0,1,0]
	s_waitcnt lgkmcnt(0)
	v_pk_fma_f16 v139, v16, v37, v139 op_sel_hi:[1,0,1]
	v_pk_fma_f16 v42, v16, v37, v42 op_sel:[0,1,0]
	v_pk_fma_f16 v43, v16, v38, v43 op_sel_hi:[1,0,1]
	v_pk_fma_f16 v132, v16, v38, v132 op_sel:[0,1,0]
	v_pk_fma_f16 v131, v16, v39, v131 op_sel_hi:[1,0,1]
	v_pk_fma_f16 v130, v16, v39, v130 op_sel:[0,1,0]
	v_pk_fma_f16 v129, v16, v40, v129 op_sel_hi:[1,0,1]
	v_pk_fma_f16 v16, v16, v40, v140 op_sel:[0,1,0]
	ds_load_b128 v[33:36], v115 offset:432
	ds_load_b128 v[37:40], v115 offset:1456
	s_waitcnt lgkmcnt(1)
	v_pk_fma_f16 v128, v17, v33, v128 op_sel_hi:[1,0,1]
	v_pk_fma_f16 v133, v17, v33, v133 op_sel:[0,1,0]
	v_pk_fma_f16 v135, v17, v34, v135 op_sel_hi:[1,0,1]
	v_pk_fma_f16 v134, v17, v34, v134 op_sel:[0,1,0]
	v_pk_fma_f16 v136, v17, v35, v136 op_sel_hi:[1,0,1]
	v_pk_fma_f16 v137, v17, v35, v137 op_sel:[0,1,0]
	v_pk_fma_f16 v138, v17, v36, v138 op_sel_hi:[1,0,1]
	v_pk_fma_f16 v41, v17, v36, v41 op_sel:[0,1,0]
	s_waitcnt lgkmcnt(0)
	v_pk_fma_f16 v139, v17, v37, v139 op_sel_hi:[1,0,1]
	v_pk_fma_f16 v42, v17, v37, v42 op_sel:[0,1,0]
	v_pk_fma_f16 v43, v17, v38, v43 op_sel_hi:[1,0,1]
	v_pk_fma_f16 v132, v17, v38, v132 op_sel:[0,1,0]
	v_pk_fma_f16 v131, v17, v39, v131 op_sel_hi:[1,0,1]
	v_pk_fma_f16 v130, v17, v39, v130 op_sel:[0,1,0]
	v_pk_fma_f16 v129, v17, v40, v129 op_sel_hi:[1,0,1]
	v_pk_fma_f16 v140, v17, v40, v16 op_sel:[0,1,0]
	ds_load_2addr_b32 v[16:17], v123 offset0:128 offset1:160
	;; [unrolled: 41-line block ×3, first 2 shown]
	ds_load_b128 v[33:36], v115 offset:480
	ds_load_b128 v[37:40], v115 offset:1504
	s_waitcnt lgkmcnt(1)
	v_pk_fma_f16 v128, v16, v33, v128 op_sel_hi:[1,0,1]
	v_pk_fma_f16 v133, v16, v33, v133 op_sel:[0,1,0]
	v_pk_fma_f16 v135, v16, v34, v135 op_sel_hi:[1,0,1]
	v_pk_fma_f16 v134, v16, v34, v134 op_sel:[0,1,0]
	;; [unrolled: 2-line block ×4, first 2 shown]
	s_waitcnt lgkmcnt(0)
	v_pk_fma_f16 v139, v16, v37, v139 op_sel_hi:[1,0,1]
	v_pk_fma_f16 v42, v16, v37, v42 op_sel:[0,1,0]
	v_pk_fma_f16 v43, v16, v38, v43 op_sel_hi:[1,0,1]
	v_pk_fma_f16 v132, v16, v38, v132 op_sel:[0,1,0]
	;; [unrolled: 2-line block ×4, first 2 shown]
	ds_load_b128 v[33:36], v115 offset:496
	ds_load_b128 v[37:40], v115 offset:1520
	s_waitcnt lgkmcnt(1)
	v_pk_fma_f16 v128, v17, v33, v128 op_sel_hi:[1,0,1]
	v_pk_fma_f16 v133, v17, v33, v133 op_sel:[0,1,0]
	v_pk_fma_f16 v135, v17, v34, v135 op_sel_hi:[1,0,1]
	v_pk_fma_f16 v134, v17, v34, v134 op_sel:[0,1,0]
	;; [unrolled: 2-line block ×4, first 2 shown]
	s_waitcnt lgkmcnt(0)
	v_pk_fma_f16 v139, v17, v37, v139 op_sel_hi:[1,0,1]
	v_pk_fma_f16 v42, v17, v37, v42 op_sel:[0,1,0]
	v_pk_fma_f16 v43, v17, v38, v43 op_sel_hi:[1,0,1]
	v_pk_fma_f16 v132, v17, v38, v132 op_sel:[0,1,0]
	;; [unrolled: 2-line block ×4, first 2 shown]
	ds_load_2addr_b32 v[16:17], v124 offset1:32
	ds_load_b128 v[33:36], v115 offset:512
	ds_load_b128 v[37:40], v115 offset:1536
	s_waitcnt lgkmcnt(1)
	v_pk_fma_f16 v128, v16, v33, v128 op_sel_hi:[1,0,1]
	v_pk_fma_f16 v133, v16, v33, v133 op_sel:[0,1,0]
	v_pk_fma_f16 v135, v16, v34, v135 op_sel_hi:[1,0,1]
	v_pk_fma_f16 v134, v16, v34, v134 op_sel:[0,1,0]
	v_pk_fma_f16 v136, v16, v35, v136 op_sel_hi:[1,0,1]
	v_pk_fma_f16 v137, v16, v35, v137 op_sel:[0,1,0]
	v_pk_fma_f16 v138, v16, v36, v138 op_sel_hi:[1,0,1]
	v_pk_fma_f16 v41, v16, v36, v41 op_sel:[0,1,0]
	s_waitcnt lgkmcnt(0)
	v_pk_fma_f16 v139, v16, v37, v139 op_sel_hi:[1,0,1]
	v_pk_fma_f16 v42, v16, v37, v42 op_sel:[0,1,0]
	v_pk_fma_f16 v43, v16, v38, v43 op_sel_hi:[1,0,1]
	v_pk_fma_f16 v132, v16, v38, v132 op_sel:[0,1,0]
	v_pk_fma_f16 v131, v16, v39, v131 op_sel_hi:[1,0,1]
	v_pk_fma_f16 v130, v16, v39, v130 op_sel:[0,1,0]
	v_pk_fma_f16 v129, v16, v40, v129 op_sel_hi:[1,0,1]
	v_pk_fma_f16 v16, v16, v40, v140 op_sel:[0,1,0]
	ds_load_b128 v[33:36], v115 offset:528
	ds_load_b128 v[37:40], v115 offset:1552
	s_waitcnt lgkmcnt(1)
	v_pk_fma_f16 v128, v17, v33, v128 op_sel_hi:[1,0,1]
	v_pk_fma_f16 v133, v17, v33, v133 op_sel:[0,1,0]
	v_pk_fma_f16 v135, v17, v34, v135 op_sel_hi:[1,0,1]
	v_pk_fma_f16 v134, v17, v34, v134 op_sel:[0,1,0]
	v_pk_fma_f16 v136, v17, v35, v136 op_sel_hi:[1,0,1]
	v_pk_fma_f16 v137, v17, v35, v137 op_sel:[0,1,0]
	v_pk_fma_f16 v138, v17, v36, v138 op_sel_hi:[1,0,1]
	v_pk_fma_f16 v41, v17, v36, v41 op_sel:[0,1,0]
	s_waitcnt lgkmcnt(0)
	v_pk_fma_f16 v139, v17, v37, v139 op_sel_hi:[1,0,1]
	v_pk_fma_f16 v42, v17, v37, v42 op_sel:[0,1,0]
	v_pk_fma_f16 v43, v17, v38, v43 op_sel_hi:[1,0,1]
	v_pk_fma_f16 v132, v17, v38, v132 op_sel:[0,1,0]
	v_pk_fma_f16 v131, v17, v39, v131 op_sel_hi:[1,0,1]
	v_pk_fma_f16 v130, v17, v39, v130 op_sel:[0,1,0]
	v_pk_fma_f16 v129, v17, v40, v129 op_sel_hi:[1,0,1]
	v_pk_fma_f16 v140, v17, v40, v16 op_sel:[0,1,0]
	ds_load_2addr_b32 v[16:17], v124 offset0:64 offset1:96
	ds_load_b128 v[33:36], v115 offset:544
	ds_load_b128 v[37:40], v115 offset:1568
	s_waitcnt lgkmcnt(1)
	v_pk_fma_f16 v128, v16, v33, v128 op_sel_hi:[1,0,1]
	v_pk_fma_f16 v133, v16, v33, v133 op_sel:[0,1,0]
	v_pk_fma_f16 v135, v16, v34, v135 op_sel_hi:[1,0,1]
	v_pk_fma_f16 v134, v16, v34, v134 op_sel:[0,1,0]
	v_pk_fma_f16 v136, v16, v35, v136 op_sel_hi:[1,0,1]
	v_pk_fma_f16 v137, v16, v35, v137 op_sel:[0,1,0]
	v_pk_fma_f16 v138, v16, v36, v138 op_sel_hi:[1,0,1]
	v_pk_fma_f16 v41, v16, v36, v41 op_sel:[0,1,0]
	s_waitcnt lgkmcnt(0)
	v_pk_fma_f16 v139, v16, v37, v139 op_sel_hi:[1,0,1]
	v_pk_fma_f16 v42, v16, v37, v42 op_sel:[0,1,0]
	v_pk_fma_f16 v43, v16, v38, v43 op_sel_hi:[1,0,1]
	v_pk_fma_f16 v132, v16, v38, v132 op_sel:[0,1,0]
	v_pk_fma_f16 v131, v16, v39, v131 op_sel_hi:[1,0,1]
	v_pk_fma_f16 v130, v16, v39, v130 op_sel:[0,1,0]
	v_pk_fma_f16 v129, v16, v40, v129 op_sel_hi:[1,0,1]
	v_pk_fma_f16 v16, v16, v40, v140 op_sel:[0,1,0]
	ds_load_b128 v[33:36], v115 offset:560
	ds_load_b128 v[37:40], v115 offset:1584
	s_waitcnt lgkmcnt(1)
	v_pk_fma_f16 v128, v17, v33, v128 op_sel_hi:[1,0,1]
	v_pk_fma_f16 v133, v17, v33, v133 op_sel:[0,1,0]
	v_pk_fma_f16 v135, v17, v34, v135 op_sel_hi:[1,0,1]
	v_pk_fma_f16 v134, v17, v34, v134 op_sel:[0,1,0]
	v_pk_fma_f16 v136, v17, v35, v136 op_sel_hi:[1,0,1]
	v_pk_fma_f16 v137, v17, v35, v137 op_sel:[0,1,0]
	v_pk_fma_f16 v138, v17, v36, v138 op_sel_hi:[1,0,1]
	v_pk_fma_f16 v41, v17, v36, v41 op_sel:[0,1,0]
	s_waitcnt lgkmcnt(0)
	v_pk_fma_f16 v139, v17, v37, v139 op_sel_hi:[1,0,1]
	v_pk_fma_f16 v42, v17, v37, v42 op_sel:[0,1,0]
	v_pk_fma_f16 v43, v17, v38, v43 op_sel_hi:[1,0,1]
	v_pk_fma_f16 v132, v17, v38, v132 op_sel:[0,1,0]
	v_pk_fma_f16 v131, v17, v39, v131 op_sel_hi:[1,0,1]
	v_pk_fma_f16 v130, v17, v39, v130 op_sel:[0,1,0]
	v_pk_fma_f16 v129, v17, v40, v129 op_sel_hi:[1,0,1]
	v_pk_fma_f16 v140, v17, v40, v16 op_sel:[0,1,0]
	ds_load_2addr_b32 v[16:17], v124 offset0:128 offset1:160
	;; [unrolled: 41-line block ×3, first 2 shown]
	ds_load_b128 v[33:36], v115 offset:608
	ds_load_b128 v[37:40], v115 offset:1632
	s_waitcnt lgkmcnt(1)
	v_pk_fma_f16 v128, v16, v33, v128 op_sel_hi:[1,0,1]
	v_pk_fma_f16 v133, v16, v33, v133 op_sel:[0,1,0]
	v_pk_fma_f16 v135, v16, v34, v135 op_sel_hi:[1,0,1]
	v_pk_fma_f16 v134, v16, v34, v134 op_sel:[0,1,0]
	;; [unrolled: 2-line block ×4, first 2 shown]
	s_waitcnt lgkmcnt(0)
	v_pk_fma_f16 v139, v16, v37, v139 op_sel_hi:[1,0,1]
	v_pk_fma_f16 v42, v16, v37, v42 op_sel:[0,1,0]
	v_pk_fma_f16 v43, v16, v38, v43 op_sel_hi:[1,0,1]
	v_pk_fma_f16 v132, v16, v38, v132 op_sel:[0,1,0]
	;; [unrolled: 2-line block ×4, first 2 shown]
	ds_load_b128 v[33:36], v115 offset:624
	ds_load_b128 v[37:40], v115 offset:1648
	s_waitcnt lgkmcnt(1)
	v_pk_fma_f16 v128, v17, v33, v128 op_sel_hi:[1,0,1]
	v_pk_fma_f16 v133, v17, v33, v133 op_sel:[0,1,0]
	v_pk_fma_f16 v135, v17, v34, v135 op_sel_hi:[1,0,1]
	v_pk_fma_f16 v134, v17, v34, v134 op_sel:[0,1,0]
	;; [unrolled: 2-line block ×4, first 2 shown]
	s_waitcnt lgkmcnt(0)
	v_pk_fma_f16 v139, v17, v37, v139 op_sel_hi:[1,0,1]
	v_pk_fma_f16 v42, v17, v37, v42 op_sel:[0,1,0]
	v_pk_fma_f16 v43, v17, v38, v43 op_sel_hi:[1,0,1]
	v_pk_fma_f16 v132, v17, v38, v132 op_sel:[0,1,0]
	;; [unrolled: 2-line block ×4, first 2 shown]
	ds_load_2addr_b32 v[16:17], v125 offset1:32
	ds_load_b128 v[33:36], v115 offset:640
	ds_load_b128 v[37:40], v115 offset:1664
	s_waitcnt lgkmcnt(1)
	v_pk_fma_f16 v128, v16, v33, v128 op_sel_hi:[1,0,1]
	v_pk_fma_f16 v133, v16, v33, v133 op_sel:[0,1,0]
	v_pk_fma_f16 v135, v16, v34, v135 op_sel_hi:[1,0,1]
	v_pk_fma_f16 v134, v16, v34, v134 op_sel:[0,1,0]
	v_pk_fma_f16 v136, v16, v35, v136 op_sel_hi:[1,0,1]
	v_pk_fma_f16 v137, v16, v35, v137 op_sel:[0,1,0]
	v_pk_fma_f16 v138, v16, v36, v138 op_sel_hi:[1,0,1]
	v_pk_fma_f16 v41, v16, v36, v41 op_sel:[0,1,0]
	s_waitcnt lgkmcnt(0)
	v_pk_fma_f16 v139, v16, v37, v139 op_sel_hi:[1,0,1]
	v_pk_fma_f16 v42, v16, v37, v42 op_sel:[0,1,0]
	v_pk_fma_f16 v43, v16, v38, v43 op_sel_hi:[1,0,1]
	v_pk_fma_f16 v132, v16, v38, v132 op_sel:[0,1,0]
	v_pk_fma_f16 v131, v16, v39, v131 op_sel_hi:[1,0,1]
	v_pk_fma_f16 v130, v16, v39, v130 op_sel:[0,1,0]
	v_pk_fma_f16 v129, v16, v40, v129 op_sel_hi:[1,0,1]
	v_pk_fma_f16 v16, v16, v40, v140 op_sel:[0,1,0]
	ds_load_b128 v[33:36], v115 offset:656
	ds_load_b128 v[37:40], v115 offset:1680
	s_waitcnt lgkmcnt(1)
	v_pk_fma_f16 v128, v17, v33, v128 op_sel_hi:[1,0,1]
	v_pk_fma_f16 v133, v17, v33, v133 op_sel:[0,1,0]
	v_pk_fma_f16 v135, v17, v34, v135 op_sel_hi:[1,0,1]
	v_pk_fma_f16 v134, v17, v34, v134 op_sel:[0,1,0]
	v_pk_fma_f16 v136, v17, v35, v136 op_sel_hi:[1,0,1]
	v_pk_fma_f16 v137, v17, v35, v137 op_sel:[0,1,0]
	v_pk_fma_f16 v138, v17, v36, v138 op_sel_hi:[1,0,1]
	v_pk_fma_f16 v41, v17, v36, v41 op_sel:[0,1,0]
	s_waitcnt lgkmcnt(0)
	v_pk_fma_f16 v139, v17, v37, v139 op_sel_hi:[1,0,1]
	v_pk_fma_f16 v42, v17, v37, v42 op_sel:[0,1,0]
	v_pk_fma_f16 v43, v17, v38, v43 op_sel_hi:[1,0,1]
	v_pk_fma_f16 v132, v17, v38, v132 op_sel:[0,1,0]
	v_pk_fma_f16 v131, v17, v39, v131 op_sel_hi:[1,0,1]
	v_pk_fma_f16 v130, v17, v39, v130 op_sel:[0,1,0]
	v_pk_fma_f16 v129, v17, v40, v129 op_sel_hi:[1,0,1]
	v_pk_fma_f16 v140, v17, v40, v16 op_sel:[0,1,0]
	ds_load_2addr_b32 v[16:17], v125 offset0:64 offset1:96
	ds_load_b128 v[33:36], v115 offset:672
	ds_load_b128 v[37:40], v115 offset:1696
	s_waitcnt lgkmcnt(1)
	v_pk_fma_f16 v128, v16, v33, v128 op_sel_hi:[1,0,1]
	v_pk_fma_f16 v133, v16, v33, v133 op_sel:[0,1,0]
	v_pk_fma_f16 v135, v16, v34, v135 op_sel_hi:[1,0,1]
	v_pk_fma_f16 v134, v16, v34, v134 op_sel:[0,1,0]
	v_pk_fma_f16 v136, v16, v35, v136 op_sel_hi:[1,0,1]
	v_pk_fma_f16 v137, v16, v35, v137 op_sel:[0,1,0]
	v_pk_fma_f16 v138, v16, v36, v138 op_sel_hi:[1,0,1]
	v_pk_fma_f16 v41, v16, v36, v41 op_sel:[0,1,0]
	s_waitcnt lgkmcnt(0)
	v_pk_fma_f16 v139, v16, v37, v139 op_sel_hi:[1,0,1]
	v_pk_fma_f16 v42, v16, v37, v42 op_sel:[0,1,0]
	v_pk_fma_f16 v43, v16, v38, v43 op_sel_hi:[1,0,1]
	v_pk_fma_f16 v132, v16, v38, v132 op_sel:[0,1,0]
	v_pk_fma_f16 v131, v16, v39, v131 op_sel_hi:[1,0,1]
	v_pk_fma_f16 v130, v16, v39, v130 op_sel:[0,1,0]
	v_pk_fma_f16 v129, v16, v40, v129 op_sel_hi:[1,0,1]
	v_pk_fma_f16 v16, v16, v40, v140 op_sel:[0,1,0]
	ds_load_b128 v[33:36], v115 offset:688
	ds_load_b128 v[37:40], v115 offset:1712
	s_waitcnt lgkmcnt(1)
	v_pk_fma_f16 v128, v17, v33, v128 op_sel_hi:[1,0,1]
	v_pk_fma_f16 v133, v17, v33, v133 op_sel:[0,1,0]
	v_pk_fma_f16 v135, v17, v34, v135 op_sel_hi:[1,0,1]
	v_pk_fma_f16 v134, v17, v34, v134 op_sel:[0,1,0]
	v_pk_fma_f16 v136, v17, v35, v136 op_sel_hi:[1,0,1]
	v_pk_fma_f16 v137, v17, v35, v137 op_sel:[0,1,0]
	v_pk_fma_f16 v138, v17, v36, v138 op_sel_hi:[1,0,1]
	v_pk_fma_f16 v41, v17, v36, v41 op_sel:[0,1,0]
	s_waitcnt lgkmcnt(0)
	v_pk_fma_f16 v139, v17, v37, v139 op_sel_hi:[1,0,1]
	v_pk_fma_f16 v42, v17, v37, v42 op_sel:[0,1,0]
	v_pk_fma_f16 v43, v17, v38, v43 op_sel_hi:[1,0,1]
	v_pk_fma_f16 v132, v17, v38, v132 op_sel:[0,1,0]
	v_pk_fma_f16 v131, v17, v39, v131 op_sel_hi:[1,0,1]
	v_pk_fma_f16 v130, v17, v39, v130 op_sel:[0,1,0]
	v_pk_fma_f16 v129, v17, v40, v129 op_sel_hi:[1,0,1]
	v_pk_fma_f16 v140, v17, v40, v16 op_sel:[0,1,0]
	ds_load_2addr_b32 v[16:17], v125 offset0:128 offset1:160
	;; [unrolled: 41-line block ×3, first 2 shown]
	ds_load_b128 v[33:36], v115 offset:736
	ds_load_b128 v[37:40], v115 offset:1760
	s_waitcnt lgkmcnt(1)
	v_pk_fma_f16 v128, v16, v33, v128 op_sel_hi:[1,0,1]
	v_pk_fma_f16 v133, v16, v33, v133 op_sel:[0,1,0]
	v_pk_fma_f16 v135, v16, v34, v135 op_sel_hi:[1,0,1]
	v_pk_fma_f16 v134, v16, v34, v134 op_sel:[0,1,0]
	;; [unrolled: 2-line block ×4, first 2 shown]
	s_waitcnt lgkmcnt(0)
	v_pk_fma_f16 v139, v16, v37, v139 op_sel_hi:[1,0,1]
	v_pk_fma_f16 v42, v16, v37, v42 op_sel:[0,1,0]
	v_pk_fma_f16 v43, v16, v38, v43 op_sel_hi:[1,0,1]
	v_pk_fma_f16 v132, v16, v38, v132 op_sel:[0,1,0]
	;; [unrolled: 2-line block ×4, first 2 shown]
	ds_load_b128 v[33:36], v115 offset:752
	ds_load_b128 v[37:40], v115 offset:1776
	s_waitcnt lgkmcnt(1)
	v_pk_fma_f16 v128, v17, v33, v128 op_sel_hi:[1,0,1]
	v_pk_fma_f16 v133, v17, v33, v133 op_sel:[0,1,0]
	v_pk_fma_f16 v135, v17, v34, v135 op_sel_hi:[1,0,1]
	v_pk_fma_f16 v134, v17, v34, v134 op_sel:[0,1,0]
	;; [unrolled: 2-line block ×4, first 2 shown]
	s_waitcnt lgkmcnt(0)
	v_pk_fma_f16 v139, v17, v37, v139 op_sel_hi:[1,0,1]
	v_pk_fma_f16 v42, v17, v37, v42 op_sel:[0,1,0]
	v_pk_fma_f16 v43, v17, v38, v43 op_sel_hi:[1,0,1]
	v_pk_fma_f16 v132, v17, v38, v132 op_sel:[0,1,0]
	;; [unrolled: 2-line block ×4, first 2 shown]
	ds_load_2addr_b32 v[16:17], v126 offset1:32
	ds_load_b128 v[33:36], v115 offset:768
	ds_load_b128 v[37:40], v115 offset:1792
	s_waitcnt lgkmcnt(1)
	v_pk_fma_f16 v128, v16, v33, v128 op_sel_hi:[1,0,1]
	v_pk_fma_f16 v133, v16, v33, v133 op_sel:[0,1,0]
	v_pk_fma_f16 v135, v16, v34, v135 op_sel_hi:[1,0,1]
	v_pk_fma_f16 v134, v16, v34, v134 op_sel:[0,1,0]
	v_pk_fma_f16 v136, v16, v35, v136 op_sel_hi:[1,0,1]
	v_pk_fma_f16 v137, v16, v35, v137 op_sel:[0,1,0]
	v_pk_fma_f16 v138, v16, v36, v138 op_sel_hi:[1,0,1]
	v_pk_fma_f16 v41, v16, v36, v41 op_sel:[0,1,0]
	s_waitcnt lgkmcnt(0)
	v_pk_fma_f16 v139, v16, v37, v139 op_sel_hi:[1,0,1]
	v_pk_fma_f16 v42, v16, v37, v42 op_sel:[0,1,0]
	v_pk_fma_f16 v43, v16, v38, v43 op_sel_hi:[1,0,1]
	v_pk_fma_f16 v132, v16, v38, v132 op_sel:[0,1,0]
	v_pk_fma_f16 v131, v16, v39, v131 op_sel_hi:[1,0,1]
	v_pk_fma_f16 v130, v16, v39, v130 op_sel:[0,1,0]
	v_pk_fma_f16 v129, v16, v40, v129 op_sel_hi:[1,0,1]
	v_pk_fma_f16 v16, v16, v40, v140 op_sel:[0,1,0]
	ds_load_b128 v[33:36], v115 offset:784
	ds_load_b128 v[37:40], v115 offset:1808
	s_waitcnt lgkmcnt(1)
	v_pk_fma_f16 v128, v17, v33, v128 op_sel_hi:[1,0,1]
	v_pk_fma_f16 v133, v17, v33, v133 op_sel:[0,1,0]
	v_pk_fma_f16 v135, v17, v34, v135 op_sel_hi:[1,0,1]
	v_pk_fma_f16 v134, v17, v34, v134 op_sel:[0,1,0]
	v_pk_fma_f16 v136, v17, v35, v136 op_sel_hi:[1,0,1]
	v_pk_fma_f16 v137, v17, v35, v137 op_sel:[0,1,0]
	v_pk_fma_f16 v138, v17, v36, v138 op_sel_hi:[1,0,1]
	v_pk_fma_f16 v41, v17, v36, v41 op_sel:[0,1,0]
	s_waitcnt lgkmcnt(0)
	v_pk_fma_f16 v139, v17, v37, v139 op_sel_hi:[1,0,1]
	v_pk_fma_f16 v42, v17, v37, v42 op_sel:[0,1,0]
	v_pk_fma_f16 v43, v17, v38, v43 op_sel_hi:[1,0,1]
	v_pk_fma_f16 v132, v17, v38, v132 op_sel:[0,1,0]
	v_pk_fma_f16 v131, v17, v39, v131 op_sel_hi:[1,0,1]
	v_pk_fma_f16 v130, v17, v39, v130 op_sel:[0,1,0]
	v_pk_fma_f16 v129, v17, v40, v129 op_sel_hi:[1,0,1]
	v_pk_fma_f16 v140, v17, v40, v16 op_sel:[0,1,0]
	ds_load_2addr_b32 v[16:17], v126 offset0:64 offset1:96
	ds_load_b128 v[33:36], v115 offset:800
	ds_load_b128 v[37:40], v115 offset:1824
	s_waitcnt lgkmcnt(1)
	v_pk_fma_f16 v128, v16, v33, v128 op_sel_hi:[1,0,1]
	v_pk_fma_f16 v133, v16, v33, v133 op_sel:[0,1,0]
	v_pk_fma_f16 v135, v16, v34, v135 op_sel_hi:[1,0,1]
	v_pk_fma_f16 v134, v16, v34, v134 op_sel:[0,1,0]
	v_pk_fma_f16 v136, v16, v35, v136 op_sel_hi:[1,0,1]
	v_pk_fma_f16 v137, v16, v35, v137 op_sel:[0,1,0]
	v_pk_fma_f16 v138, v16, v36, v138 op_sel_hi:[1,0,1]
	v_pk_fma_f16 v41, v16, v36, v41 op_sel:[0,1,0]
	s_waitcnt lgkmcnt(0)
	v_pk_fma_f16 v139, v16, v37, v139 op_sel_hi:[1,0,1]
	v_pk_fma_f16 v42, v16, v37, v42 op_sel:[0,1,0]
	v_pk_fma_f16 v43, v16, v38, v43 op_sel_hi:[1,0,1]
	v_pk_fma_f16 v132, v16, v38, v132 op_sel:[0,1,0]
	v_pk_fma_f16 v131, v16, v39, v131 op_sel_hi:[1,0,1]
	v_pk_fma_f16 v130, v16, v39, v130 op_sel:[0,1,0]
	v_pk_fma_f16 v129, v16, v40, v129 op_sel_hi:[1,0,1]
	v_pk_fma_f16 v16, v16, v40, v140 op_sel:[0,1,0]
	ds_load_b128 v[33:36], v115 offset:816
	ds_load_b128 v[37:40], v115 offset:1840
	s_waitcnt lgkmcnt(1)
	v_pk_fma_f16 v128, v17, v33, v128 op_sel_hi:[1,0,1]
	v_pk_fma_f16 v133, v17, v33, v133 op_sel:[0,1,0]
	v_pk_fma_f16 v135, v17, v34, v135 op_sel_hi:[1,0,1]
	v_pk_fma_f16 v134, v17, v34, v134 op_sel:[0,1,0]
	v_pk_fma_f16 v136, v17, v35, v136 op_sel_hi:[1,0,1]
	v_pk_fma_f16 v137, v17, v35, v137 op_sel:[0,1,0]
	v_pk_fma_f16 v138, v17, v36, v138 op_sel_hi:[1,0,1]
	v_pk_fma_f16 v41, v17, v36, v41 op_sel:[0,1,0]
	s_waitcnt lgkmcnt(0)
	v_pk_fma_f16 v139, v17, v37, v139 op_sel_hi:[1,0,1]
	v_pk_fma_f16 v42, v17, v37, v42 op_sel:[0,1,0]
	v_pk_fma_f16 v43, v17, v38, v43 op_sel_hi:[1,0,1]
	v_pk_fma_f16 v132, v17, v38, v132 op_sel:[0,1,0]
	v_pk_fma_f16 v131, v17, v39, v131 op_sel_hi:[1,0,1]
	v_pk_fma_f16 v130, v17, v39, v130 op_sel:[0,1,0]
	v_pk_fma_f16 v129, v17, v40, v129 op_sel_hi:[1,0,1]
	v_pk_fma_f16 v140, v17, v40, v16 op_sel:[0,1,0]
	ds_load_2addr_b32 v[16:17], v126 offset0:128 offset1:160
	;; [unrolled: 41-line block ×3, first 2 shown]
	ds_load_b128 v[33:36], v115 offset:864
	ds_load_b128 v[37:40], v115 offset:1888
	s_waitcnt lgkmcnt(1)
	v_pk_fma_f16 v128, v16, v33, v128 op_sel_hi:[1,0,1]
	v_pk_fma_f16 v133, v16, v33, v133 op_sel:[0,1,0]
	v_pk_fma_f16 v135, v16, v34, v135 op_sel_hi:[1,0,1]
	v_pk_fma_f16 v134, v16, v34, v134 op_sel:[0,1,0]
	;; [unrolled: 2-line block ×4, first 2 shown]
	s_waitcnt lgkmcnt(0)
	v_pk_fma_f16 v139, v16, v37, v139 op_sel_hi:[1,0,1]
	v_pk_fma_f16 v42, v16, v37, v42 op_sel:[0,1,0]
	v_pk_fma_f16 v43, v16, v38, v43 op_sel_hi:[1,0,1]
	v_pk_fma_f16 v132, v16, v38, v132 op_sel:[0,1,0]
	v_pk_fma_f16 v131, v16, v39, v131 op_sel_hi:[1,0,1]
	v_pk_fma_f16 v130, v16, v39, v130 op_sel:[0,1,0]
	v_pk_fma_f16 v129, v16, v40, v129 op_sel_hi:[1,0,1]
	v_pk_fma_f16 v16, v16, v40, v140 op_sel:[0,1,0]
	ds_load_b128 v[33:36], v115 offset:880
	ds_load_b128 v[37:40], v115 offset:1904
	s_waitcnt lgkmcnt(1)
	v_pk_fma_f16 v128, v17, v33, v128 op_sel_hi:[1,0,1]
	v_pk_fma_f16 v133, v17, v33, v133 op_sel:[0,1,0]
	v_pk_fma_f16 v135, v17, v34, v135 op_sel_hi:[1,0,1]
	v_pk_fma_f16 v134, v17, v34, v134 op_sel:[0,1,0]
	;; [unrolled: 2-line block ×4, first 2 shown]
	s_waitcnt lgkmcnt(0)
	v_pk_fma_f16 v139, v17, v37, v139 op_sel_hi:[1,0,1]
	v_pk_fma_f16 v42, v17, v37, v42 op_sel:[0,1,0]
	v_pk_fma_f16 v43, v17, v38, v43 op_sel_hi:[1,0,1]
	v_pk_fma_f16 v132, v17, v38, v132 op_sel:[0,1,0]
	;; [unrolled: 2-line block ×4, first 2 shown]
	ds_load_2addr_b32 v[16:17], v127 offset1:32
	ds_load_b128 v[33:36], v115 offset:896
	ds_load_b128 v[37:40], v115 offset:1920
	s_waitcnt lgkmcnt(1)
	v_pk_fma_f16 v128, v16, v33, v128 op_sel_hi:[1,0,1]
	v_pk_fma_f16 v133, v16, v33, v133 op_sel:[0,1,0]
	v_pk_fma_f16 v135, v16, v34, v135 op_sel_hi:[1,0,1]
	v_pk_fma_f16 v134, v16, v34, v134 op_sel:[0,1,0]
	v_pk_fma_f16 v136, v16, v35, v136 op_sel_hi:[1,0,1]
	v_pk_fma_f16 v137, v16, v35, v137 op_sel:[0,1,0]
	v_pk_fma_f16 v138, v16, v36, v138 op_sel_hi:[1,0,1]
	v_pk_fma_f16 v41, v16, v36, v41 op_sel:[0,1,0]
	s_waitcnt lgkmcnt(0)
	v_pk_fma_f16 v139, v16, v37, v139 op_sel_hi:[1,0,1]
	v_pk_fma_f16 v42, v16, v37, v42 op_sel:[0,1,0]
	v_pk_fma_f16 v43, v16, v38, v43 op_sel_hi:[1,0,1]
	v_pk_fma_f16 v132, v16, v38, v132 op_sel:[0,1,0]
	v_pk_fma_f16 v131, v16, v39, v131 op_sel_hi:[1,0,1]
	v_pk_fma_f16 v130, v16, v39, v130 op_sel:[0,1,0]
	v_pk_fma_f16 v129, v16, v40, v129 op_sel_hi:[1,0,1]
	v_pk_fma_f16 v16, v16, v40, v140 op_sel:[0,1,0]
	ds_load_b128 v[33:36], v115 offset:912
	ds_load_b128 v[37:40], v115 offset:1936
	s_waitcnt lgkmcnt(1)
	v_pk_fma_f16 v128, v17, v33, v128 op_sel_hi:[1,0,1]
	v_pk_fma_f16 v133, v17, v33, v133 op_sel:[0,1,0]
	v_pk_fma_f16 v135, v17, v34, v135 op_sel_hi:[1,0,1]
	v_pk_fma_f16 v134, v17, v34, v134 op_sel:[0,1,0]
	v_pk_fma_f16 v136, v17, v35, v136 op_sel_hi:[1,0,1]
	v_pk_fma_f16 v137, v17, v35, v137 op_sel:[0,1,0]
	v_pk_fma_f16 v138, v17, v36, v138 op_sel_hi:[1,0,1]
	v_pk_fma_f16 v41, v17, v36, v41 op_sel:[0,1,0]
	s_waitcnt lgkmcnt(0)
	v_pk_fma_f16 v139, v17, v37, v139 op_sel_hi:[1,0,1]
	v_pk_fma_f16 v42, v17, v37, v42 op_sel:[0,1,0]
	v_pk_fma_f16 v43, v17, v38, v43 op_sel_hi:[1,0,1]
	v_pk_fma_f16 v132, v17, v38, v132 op_sel:[0,1,0]
	v_pk_fma_f16 v131, v17, v39, v131 op_sel_hi:[1,0,1]
	v_pk_fma_f16 v130, v17, v39, v130 op_sel:[0,1,0]
	v_pk_fma_f16 v129, v17, v40, v129 op_sel_hi:[1,0,1]
	v_pk_fma_f16 v140, v17, v40, v16 op_sel:[0,1,0]
	ds_load_2addr_b32 v[16:17], v127 offset0:64 offset1:96
	ds_load_b128 v[33:36], v115 offset:928
	ds_load_b128 v[37:40], v115 offset:1952
	s_waitcnt lgkmcnt(1)
	v_pk_fma_f16 v128, v16, v33, v128 op_sel_hi:[1,0,1]
	v_pk_fma_f16 v133, v16, v33, v133 op_sel:[0,1,0]
	v_pk_fma_f16 v135, v16, v34, v135 op_sel_hi:[1,0,1]
	v_pk_fma_f16 v134, v16, v34, v134 op_sel:[0,1,0]
	v_pk_fma_f16 v136, v16, v35, v136 op_sel_hi:[1,0,1]
	v_pk_fma_f16 v137, v16, v35, v137 op_sel:[0,1,0]
	v_pk_fma_f16 v138, v16, v36, v138 op_sel_hi:[1,0,1]
	v_pk_fma_f16 v41, v16, v36, v41 op_sel:[0,1,0]
	s_waitcnt lgkmcnt(0)
	v_pk_fma_f16 v139, v16, v37, v139 op_sel_hi:[1,0,1]
	v_pk_fma_f16 v42, v16, v37, v42 op_sel:[0,1,0]
	v_pk_fma_f16 v43, v16, v38, v43 op_sel_hi:[1,0,1]
	v_pk_fma_f16 v132, v16, v38, v132 op_sel:[0,1,0]
	v_pk_fma_f16 v131, v16, v39, v131 op_sel_hi:[1,0,1]
	v_pk_fma_f16 v130, v16, v39, v130 op_sel:[0,1,0]
	v_pk_fma_f16 v129, v16, v40, v129 op_sel_hi:[1,0,1]
	v_pk_fma_f16 v16, v16, v40, v140 op_sel:[0,1,0]
	ds_load_b128 v[33:36], v115 offset:944
	ds_load_b128 v[37:40], v115 offset:1968
	s_waitcnt lgkmcnt(1)
	v_pk_fma_f16 v128, v17, v33, v128 op_sel_hi:[1,0,1]
	v_pk_fma_f16 v133, v17, v33, v133 op_sel:[0,1,0]
	v_pk_fma_f16 v135, v17, v34, v135 op_sel_hi:[1,0,1]
	v_pk_fma_f16 v134, v17, v34, v134 op_sel:[0,1,0]
	v_pk_fma_f16 v136, v17, v35, v136 op_sel_hi:[1,0,1]
	v_pk_fma_f16 v137, v17, v35, v137 op_sel:[0,1,0]
	v_pk_fma_f16 v138, v17, v36, v138 op_sel_hi:[1,0,1]
	v_pk_fma_f16 v41, v17, v36, v41 op_sel:[0,1,0]
	s_waitcnt lgkmcnt(0)
	v_pk_fma_f16 v139, v17, v37, v139 op_sel_hi:[1,0,1]
	v_pk_fma_f16 v42, v17, v37, v42 op_sel:[0,1,0]
	v_pk_fma_f16 v43, v17, v38, v43 op_sel_hi:[1,0,1]
	v_pk_fma_f16 v132, v17, v38, v132 op_sel:[0,1,0]
	v_pk_fma_f16 v131, v17, v39, v131 op_sel_hi:[1,0,1]
	v_pk_fma_f16 v130, v17, v39, v130 op_sel:[0,1,0]
	v_pk_fma_f16 v129, v17, v40, v129 op_sel_hi:[1,0,1]
	v_pk_fma_f16 v140, v17, v40, v16 op_sel:[0,1,0]
	ds_load_2addr_b32 v[16:17], v127 offset0:128 offset1:160
	;; [unrolled: 41-line block ×3, first 2 shown]
	ds_load_b128 v[33:36], v115 offset:992
	ds_load_b128 v[37:40], v115 offset:2016
	s_waitcnt lgkmcnt(1)
	v_pk_fma_f16 v128, v16, v33, v128 op_sel_hi:[1,0,1]
	v_pk_fma_f16 v133, v16, v33, v133 op_sel:[0,1,0]
	v_pk_fma_f16 v135, v16, v34, v135 op_sel_hi:[1,0,1]
	v_pk_fma_f16 v134, v16, v34, v134 op_sel:[0,1,0]
	;; [unrolled: 2-line block ×4, first 2 shown]
	s_waitcnt lgkmcnt(0)
	v_pk_fma_f16 v144, v16, v37, v139 op_sel_hi:[1,0,1]
	v_pk_fma_f16 v42, v16, v37, v42 op_sel:[0,1,0]
	v_pk_fma_f16 v43, v16, v38, v43 op_sel_hi:[1,0,1]
	v_pk_fma_f16 v132, v16, v38, v132 op_sel:[0,1,0]
	;; [unrolled: 2-line block ×4, first 2 shown]
	ds_load_b128 v[33:36], v115 offset:1008
	ds_load_b128 v[37:40], v115 offset:2032
	s_waitcnt lgkmcnt(0)
	s_barrier
	buffer_gl0_inv
	s_load_b32 s17, s[4:5], 0x4
	v_pk_fma_f16 v145, v17, v33, v128 op_sel_hi:[1,0,1]
	v_pk_fma_f16 v142, v17, v33, v133 op_sel:[0,1,0]
	v_pk_fma_f16 v141, v17, v34, v135 op_sel_hi:[1,0,1]
	v_pk_fma_f16 v140, v17, v34, v134 op_sel:[0,1,0]
	v_pk_fma_f16 v139, v17, v35, v136 op_sel_hi:[1,0,1]
	s_waitcnt lgkmcnt(0)
	s_lshl_b32 s17, s17, 6
	v_pk_fma_f16 v138, v17, v35, v137 op_sel:[0,1,0]
	v_pk_fma_f16 v137, v17, v36, v143 op_sel_hi:[1,0,1]
	v_pk_fma_f16 v136, v17, v36, v41 op_sel:[0,1,0]
	v_pk_fma_f16 v135, v17, v37, v144 op_sel_hi:[1,0,1]
	v_pk_fma_f16 v134, v17, v37, v42 op_sel:[0,1,0]
	v_pk_fma_f16 v133, v17, v38, v43 op_sel_hi:[1,0,1]
	v_pk_fma_f16 v132, v17, v38, v132 op_sel:[0,1,0]
	v_pk_fma_f16 v131, v17, v39, v131 op_sel_hi:[1,0,1]
	v_pk_fma_f16 v130, v17, v39, v130 op_sel:[0,1,0]
	v_pk_fma_f16 v129, v17, v40, v129 op_sel_hi:[1,0,1]
	v_pk_fma_f16 v128, v17, v40, v16 op_sel:[0,1,0]
	s_add_i32 s3, s17, s3
	s_delay_alu instid0(SALU_CYCLE_1)
	s_cmp_ge_i32 s3, s34
	s_cbranch_scc0 .LBB33_9
; %bb.10:
	v_mov_b32_e32 v33, v92
.LBB33_11:
	v_cmp_lt_i32_e32 vcc_lo, v98, v94
	s_cmp_lg_u64 s[24:25], 0
	s_cselect_b32 s3, -1, 0
	s_cmp_eq_u32 s14, 0
	v_cndmask_b32_e32 v16, v33, v98, vcc_lo
	v_cmp_lt_i32_e32 vcc_lo, v99, v94
	v_lshlrev_b32_e32 v58, 1, v90
	s_cselect_b32 s4, -1, 0
	s_delay_alu instid0(SALU_CYCLE_1) | instskip(SKIP_2) | instid1(VALU_DEP_2)
	s_and_b32 s3, s4, s3
	v_cndmask_b32_e32 v17, v33, v99, vcc_lo
	v_cmp_lt_i32_e32 vcc_lo, v96, v94
	v_dual_cndmask_b32 v34, v33, v96 :: v_dual_lshlrev_b32 v17, 2, v17
	v_cmp_lt_i32_e32 vcc_lo, v97, v94
	v_dual_cndmask_b32 v35, v33, v97 :: v_dual_lshlrev_b32 v16, 2, v16
	ds_bpermute_b32 v36, v16, v18
	ds_bpermute_b32 v37, v16, v19
	;; [unrolled: 1-line block ×5, first 2 shown]
	v_cmp_lt_i32_e32 vcc_lo, v95, v94
	ds_bpermute_b32 v41, v16, v23
	ds_bpermute_b32 v45, v16, v27
	v_lshlrev_b32_e32 v35, 2, v35
	ds_bpermute_b32 v42, v16, v24
	v_dual_cndmask_b32 v33, v33, v95 :: v_dual_lshlrev_b32 v34, 2, v34
	ds_bpermute_b32 v46, v16, v28
	ds_bpermute_b32 v43, v16, v25
	;; [unrolled: 1-line block ×3, first 2 shown]
	v_lshlrev_b32_e32 v33, 2, v33
	ds_bpermute_b32 v47, v16, v29
	ds_bpermute_b32 v48, v16, v30
	;; [unrolled: 1-line block ×3, first 2 shown]
	s_and_b32 vcc_lo, exec_lo, s3
	s_waitcnt lgkmcnt(12)
	v_dual_add_f32 v18, v18, v36 :: v_dual_add_f32 v19, v19, v37
	s_waitcnt lgkmcnt(10)
	v_dual_add_f32 v20, v20, v38 :: v_dual_add_f32 v21, v21, v39
	s_waitcnt lgkmcnt(9)
	v_add_f32_e32 v22, v22, v40
	ds_bpermute_b32 v37, v17, v18
	ds_bpermute_b32 v36, v16, v32
	;; [unrolled: 1-line block ×6, first 2 shown]
	s_waitcnt lgkmcnt(12)
	v_dual_add_f32 v23, v23, v41 :: v_dual_add_f32 v24, v24, v42
	s_waitcnt lgkmcnt(11)
	v_dual_add_f32 v27, v27, v45 :: v_dual_add_f32 v28, v28, v46
	ds_bpermute_b32 v41, v17, v22
	ds_bpermute_b32 v42, v17, v23
	s_waitcnt lgkmcnt(11)
	v_dual_add_f32 v25, v25, v43 :: v_dual_add_f32 v26, v26, v44
	ds_bpermute_b32 v46, v17, v27
	s_waitcnt lgkmcnt(10)
	v_dual_add_f32 v29, v29, v47 :: v_dual_add_f32 v30, v30, v48
	ds_bpermute_b32 v43, v17, v24
	ds_bpermute_b32 v44, v17, v25
	s_waitcnt lgkmcnt(11)
	v_add_f32_e32 v31, v31, v49
	s_waitcnt lgkmcnt(10)
	v_add_f32_e32 v18, v18, v37
	;; [unrolled: 2-line block ×3, first 2 shown]
	s_waitcnt lgkmcnt(7)
	v_dual_add_f32 v20, v20, v39 :: v_dual_add_f32 v21, v21, v40
	s_waitcnt lgkmcnt(5)
	v_dual_add_f32 v16, v93, v16 :: v_dual_add_f32 v19, v19, v38
	ds_bpermute_b32 v39, v34, v18
	ds_bpermute_b32 v36, v34, v20
	;; [unrolled: 1-line block ×4, first 2 shown]
	s_waitcnt lgkmcnt(8)
	v_add_f32_e32 v22, v22, v41
	ds_bpermute_b32 v41, v34, v21
	ds_bpermute_b32 v38, v17, v29
	;; [unrolled: 1-line block ×3, first 2 shown]
	s_waitcnt lgkmcnt(9)
	v_add_f32_e32 v27, v27, v46
	ds_bpermute_b32 v48, v17, v30
	ds_bpermute_b32 v40, v17, v31
	v_add_f32_e32 v23, v23, v42
	ds_bpermute_b32 v49, v17, v32
	ds_bpermute_b32 v17, v17, v16
	s_waitcnt lgkmcnt(11)
	v_dual_add_f32 v24, v24, v43 :: v_dual_add_f32 v25, v25, v44
	ds_bpermute_b32 v42, v34, v24
	s_waitcnt lgkmcnt(11)
	v_add_f32_e32 v18, v18, v39
	s_waitcnt lgkmcnt(10)
	v_add_f32_e32 v20, v20, v36
	;; [unrolled: 2-line block ×4, first 2 shown]
	ds_bpermute_b32 v37, v34, v22
	s_waitcnt lgkmcnt(8)
	v_add_f32_e32 v21, v21, v41
	s_waitcnt lgkmcnt(7)
	v_add_f32_e32 v29, v29, v38
	;; [unrolled: 2-line block ×3, first 2 shown]
	ds_bpermute_b32 v38, v34, v23
	ds_bpermute_b32 v41, v34, v27
	s_waitcnt lgkmcnt(6)
	v_add_f32_e32 v31, v31, v40
	ds_bpermute_b32 v36, v35, v18
	ds_bpermute_b32 v44, v35, v21
	s_waitcnt lgkmcnt(6)
	v_add_f32_e32 v16, v16, v17
	ds_bpermute_b32 v17, v34, v25
	ds_bpermute_b32 v39, v35, v19
	;; [unrolled: 1-line block ×6, first 2 shown]
	v_add_f32_e32 v30, v30, v48
	v_add_f32_e32 v32, v32, v49
	s_waitcnt lgkmcnt(11)
	v_add_f32_e32 v24, v24, v42
	ds_bpermute_b32 v48, v34, v31
	s_waitcnt lgkmcnt(10)
	v_dual_add_f32 v22, v22, v37 :: v_dual_add_f32 v23, v23, v38
	ds_bpermute_b32 v47, v34, v30
	s_waitcnt lgkmcnt(9)
	v_dual_add_f32 v27, v27, v41 :: v_dual_add_f32 v18, v18, v36
	s_waitcnt lgkmcnt(8)
	v_add_f32_e32 v21, v21, v44
	ds_bpermute_b32 v42, v35, v24
	s_waitcnt lgkmcnt(8)
	v_add_f32_e32 v17, v25, v17
	s_waitcnt lgkmcnt(7)
	v_add_f32_e32 v19, v19, v39
	ds_bpermute_b32 v39, v35, v23
	s_waitcnt lgkmcnt(6)
	v_dual_add_f32 v26, v26, v40 :: v_dual_add_f32 v29, v29, v46
	ds_bpermute_b32 v40, v35, v17
	ds_bpermute_b32 v49, v34, v32
	s_waitcnt lgkmcnt(7)
	v_add_f32_e32 v20, v20, v43
	s_waitcnt lgkmcnt(6)
	v_add_f32_e32 v28, v28, v45
	ds_bpermute_b32 v43, v35, v27
	ds_bpermute_b32 v45, v35, v29
	;; [unrolled: 1-line block ×5, first 2 shown]
	s_waitcnt lgkmcnt(9)
	v_dual_add_f32 v31, v31, v48 :: v_dual_add_f32 v30, v30, v47
	ds_bpermute_b32 v38, v33, v19
	ds_bpermute_b32 v25, v33, v20
	s_waitcnt lgkmcnt(9)
	v_add_f32_e32 v23, v23, v39
	ds_bpermute_b32 v41, v35, v26
	ds_bpermute_b32 v39, v33, v21
	s_waitcnt lgkmcnt(10)
	v_add_f32_e32 v17, v17, v40
	ds_bpermute_b32 v44, v35, v28
	s_waitcnt lgkmcnt(9)
	v_dual_add_f32 v32, v32, v49 :: v_dual_add_f32 v27, v27, v43
	s_waitcnt lgkmcnt(8)
	v_add_f32_e32 v43, v29, v45
	ds_bpermute_b32 v46, v35, v30
	s_waitcnt lgkmcnt(6)
	v_dual_add_f32 v16, v16, v34 :: v_dual_add_f32 v57, v18, v37
	ds_bpermute_b32 v34, v35, v31
	ds_bpermute_b32 v51, v33, v43
	s_waitcnt lgkmcnt(7)
	v_add_f32_e32 v54, v19, v38
	s_waitcnt lgkmcnt(6)
	v_add_f32_e32 v52, v20, v25
	;; [unrolled: 2-line block ×3, first 2 shown]
	ds_bpermute_b32 v41, v33, v17
	s_waitcnt lgkmcnt(5)
	v_add_f32_e32 v50, v21, v39
	s_waitcnt lgkmcnt(4)
	v_add_f32_e32 v28, v28, v44
	ds_bpermute_b32 v29, v33, v26
	s_waitcnt lgkmcnt(4)
	v_add_f32_e32 v45, v30, v46
	ds_bpermute_b32 v49, v33, v28
	v_add_f32_e32 v22, v22, v36
	ds_bpermute_b32 v36, v35, v32
	ds_bpermute_b32 v35, v35, v16
	s_waitcnt lgkmcnt(6)
	v_add_f32_e32 v34, v31, v34
	ds_bpermute_b32 v31, v33, v45
	v_add_f32_e32 v24, v24, v42
	ds_bpermute_b32 v40, v33, v22
	ds_bpermute_b32 v42, v33, v23
	;; [unrolled: 1-line block ×3, first 2 shown]
	s_waitcnt lgkmcnt(5)
	v_add_f32_e32 v32, v32, v36
	s_waitcnt lgkmcnt(4)
	v_add_f32_e32 v16, v16, v35
	ds_bpermute_b32 v35, v33, v34
	s_waitcnt lgkmcnt(4)
	v_add_f32_e32 v31, v45, v31
	ds_bpermute_b32 v47, v33, v24
	ds_bpermute_b32 v53, v33, v32
	;; [unrolled: 1-line block ×3, first 2 shown]
	s_waitcnt lgkmcnt(6)
	v_add_f32_e32 v48, v22, v40
	s_waitcnt lgkmcnt(5)
	v_add_f32_e32 v46, v23, v42
	v_add_f32_e32 v42, v17, v41
	;; [unrolled: 1-line block ×3, first 2 shown]
	s_waitcnt lgkmcnt(4)
	v_dual_add_f32 v38, v27, v30 :: v_dual_add_f32 v29, v28, v49
	v_add_f32_e32 v30, v43, v51
	s_waitcnt lgkmcnt(3)
	v_add_f32_e32 v36, v34, v35
	s_waitcnt lgkmcnt(2)
	;; [unrolled: 2-line block ×4, first 2 shown]
	v_add_f32_e32 v32, v16, v18
	s_cbranch_vccz .LBB33_13
; %bb.12:
	s_ashr_i32 s3, s2, 31
	v_dual_mov_b32 v16, 0 :: v_dual_max_f32 v17, v1, v1
	s_lshl_b64 s[4:5], s[2:3], 2
	v_dual_max_f32 v18, v2, v2 :: v_dual_max_f32 v21, v5, v5
	s_add_u32 s4, s24, s4
	s_addc_u32 s5, s25, s5
	v_max_f32_e32 v19, v3, v3
	global_load_b64 v[55:56], v16, s[4:5]
	v_max_f32_e32 v16, v0, v0
	v_dual_max_f32 v20, v4, v4 :: v_dual_max_f32 v23, v7, v7
	v_dual_max_f32 v22, v6, v6 :: v_dual_max_f32 v25, v9, v9
	;; [unrolled: 1-line block ×3, first 2 shown]
	v_max_f32_e32 v28, v12, v12
	s_waitcnt vmcnt(0)
	v_dual_max_f32 v26, v10, v10 :: v_dual_max_f32 v35, v55, v55
	v_max_f32_e32 v33, v56, v56
	s_delay_alu instid0(VALU_DEP_1)
	v_dual_max_f32 v16, v16, v35 :: v_dual_max_f32 v17, v17, v33
	v_dual_max_f32 v18, v18, v35 :: v_dual_max_f32 v19, v19, v33
	;; [unrolled: 1-line block ×6, first 2 shown]
	v_dual_sub_f32 v0, v0, v16 :: v_dual_sub_f32 v1, v1, v17
	v_dual_sub_f32 v39, v56, v17 :: v_dual_sub_f32 v2, v2, v18
	;; [unrolled: 1-line block ×3, first 2 shown]
	s_delay_alu instid0(VALU_DEP_4) | instskip(SKIP_1) | instid1(VALU_DEP_3)
	v_dual_sub_f32 v43, v56, v19 :: v_dual_sub_f32 v10, v10, v26
	v_dual_sub_f32 v45, v55, v20 :: v_dual_sub_f32 v92, v56, v27
	v_dual_sub_f32 v51, v56, v23 :: v_dual_mul_f32 v98, 0x3fb8aa3b, v41
	v_dual_max_f32 v28, v28, v35 :: v_dual_sub_f32 v37, v55, v16
	v_dual_sub_f32 v3, v3, v19 :: v_dual_sub_f32 v6, v6, v22
	v_dual_sub_f32 v47, v56, v21 :: v_dual_mul_f32 v96, 0x3fb8aa3b, v39
	v_dual_sub_f32 v53, v55, v24 :: v_dual_mul_f32 v100, 0x3fb8aa3b, v43
	;; [unrolled: 1-line block ×4, first 2 shown]
	s_delay_alu instid0(VALU_DEP_3) | instskip(NEXT) | instid1(VALU_DEP_3)
	v_dual_mul_f32 v93, 0x3fb8aa3b, v0 :: v_dual_mul_f32 v110, 0x3fb8aa3b, v53
	v_dual_mul_f32 v95, 0x3fb8aa3b, v1 :: v_dual_mul_f32 v112, 0x3fb8aa3b, v59
	s_delay_alu instid0(VALU_DEP_3)
	v_dual_mul_f32 v97, 0x3fb8aa3b, v2 :: v_dual_mul_f32 v114, 0x3fb8aa3b, v91
	v_dual_sub_f32 v7, v7, v23 :: v_dual_mul_f32 v94, 0x3fb8aa3b, v37
	v_dual_sub_f32 v9, v9, v25 :: v_dual_mul_f32 v104, 0x3fb8aa3b, v47
	v_dual_mul_f32 v99, 0x3fb8aa3b, v3 :: v_dual_mul_f32 v116, 0x3fb8aa3b, v92
	v_fma_f32 v118, 0x3fb8aa3b, v0, -v93
	v_rndne_f32_e32 v119, v93
	v_fma_f32 v122, 0x3fb8aa3b, v1, -v95
	v_fma_f32 v126, 0x3fb8aa3b, v2, -v97
	v_rndne_f32_e32 v127, v97
	v_fma_f32 v120, 0x3fb8aa3b, v37, -v94
	v_rndne_f32_e32 v121, v94
	v_mul_f32_e32 v101, 0x3fb8aa3b, v4
	v_fma_f32 v146, 0x3fb8aa3b, v3, -v99
	v_rndne_f32_e32 v147, v99
	v_fma_f32 v156, 0x3fb8aa3b, v47, -v104
	v_sub_f32_e32 v94, v94, v121
	v_dual_fmac_f32 v118, 0x32a5705f, v0 :: v_dual_sub_f32 v93, v93, v119
	v_dual_fmac_f32 v122, 0x32a5705f, v1 :: v_dual_sub_f32 v97, v97, v127
	;; [unrolled: 1-line block ×3, first 2 shown]
	v_rndne_f32_e32 v123, v95
	v_fma_f32 v150, 0x3fb8aa3b, v4, -v101
	v_rndne_f32_e32 v151, v101
	v_fmac_f32_e32 v120, 0x32a5705f, v37
	v_dual_fmac_f32 v146, 0x32a5705f, v3 :: v_dual_add_f32 v93, v93, v118
	v_dual_fmac_f32 v156, 0x32a5705f, v47 :: v_dual_add_f32 v97, v97, v126
	v_fma_f32 v124, 0x3fb8aa3b, v39, -v96
	v_rndne_f32_e32 v125, v96
	v_fma_f32 v148, 0x3fb8aa3b, v43, -v100
	v_fma_f32 v164, 0x3fb8aa3b, v51, -v108
	v_sub_f32_e32 v95, v95, v123
	v_dual_mul_f32 v111, 0x3fb8aa3b, v9 :: v_dual_add_f32 v94, v94, v120
	v_dual_fmac_f32 v150, 0x32a5705f, v4 :: v_dual_sub_f32 v101, v101, v151
	v_exp_f32_e32 v93, v93
	v_exp_f32_e32 v97, v97
	v_dual_mul_f32 v105, 0x3fb8aa3b, v6 :: v_dual_sub_f32 v96, v96, v125
	v_fma_f32 v143, 0x3fb8aa3b, v41, -v98
	v_rndne_f32_e32 v157, v104
	v_mul_f32_e32 v113, 0x3fb8aa3b, v10
	v_cvt_i32_f32_e32 v119, v119
	s_delay_alu instid0(VALU_DEP_4)
	v_dual_fmac_f32 v124, 0x32a5705f, v39 :: v_dual_fmac_f32 v143, 0x32a5705f, v41
	v_cvt_i32_f32_e32 v127, v127
	v_dual_fmac_f32 v148, 0x32a5705f, v43 :: v_dual_add_f32 v95, v95, v122
	v_dual_fmac_f32 v164, 0x32a5705f, v51 :: v_dual_add_f32 v101, v101, v150
	v_exp_f32_e32 v94, v94
	v_dual_sub_f32 v5, v5, v21 :: v_dual_sub_f32 v8, v8, v24
	v_rndne_f32_e32 v144, v98
	v_cvt_i32_f32_e32 v121, v121
	v_sub_f32_e32 v104, v104, v157
	v_fma_f32 v174, 0x3fb8aa3b, v10, -v113
	v_exp_f32_e32 v95, v95
	v_exp_f32_e32 v101, v101
	v_ldexp_f32 v93, v93, v119
	v_ldexp_f32 v97, v97, v127
	v_add_f32_e32 v96, v96, v124
	v_cmp_ngt_f32_e32 vcc_lo, 0xc2ce8ed0, v0
	v_dual_mul_f32 v103, 0x3fb8aa3b, v5 :: v_dual_sub_f32 v98, v98, v144
	v_rndne_f32_e32 v149, v100
	v_mul_f32_e32 v107, 0x3fb8aa3b, v7
	v_cvt_i32_f32_e32 v123, v123
	v_cvt_i32_f32_e32 v151, v151
	v_dual_fmac_f32 v174, 0x32a5705f, v10 :: v_dual_cndmask_b32 v93, 0, v93
	v_exp_f32_e32 v96, v96
	v_ldexp_f32 v94, v94, v121
	v_cmp_ngt_f32_e32 vcc_lo, 0xc2ce8ed0, v37
	v_rndne_f32_e32 v181, v116
	v_cvt_i32_f32_e32 v125, v125
	v_sub_f32_e32 v100, v100, v149
	v_fma_f32 v162, 0x3fb8aa3b, v7, -v107
	v_ldexp_f32 v95, v95, v123
	v_ldexp_f32 v101, v101, v151
	v_add_f32_e32 v98, v98, v143
	v_cndmask_b32_e32 v94, 0, v94, vcc_lo
	v_cmp_ngt_f32_e32 vcc_lo, 0xc2ce8ed0, v1
	v_fma_f32 v152, 0x3fb8aa3b, v45, -v102
	v_fma_f32 v154, 0x3fb8aa3b, v5, -v103
	v_rndne_f32_e32 v155, v103
	v_fma_f32 v180, 0x3fb8aa3b, v92, -v116
	v_dual_fmac_f32 v162, 0x32a5705f, v7 :: v_dual_add_f32 v99, v99, v146
	v_dual_sub_f32 v116, v116, v181 :: v_dual_cndmask_b32 v95, 0, v95
	v_exp_f32_e32 v98, v98
	v_ldexp_f32 v96, v96, v125
	v_cmp_ngt_f32_e32 vcc_lo, 0xc2ce8ed0, v39
	v_rndne_f32_e32 v159, v105
	v_fma_f32 v170, 0x3fb8aa3b, v9, -v111
	v_cvt_i32_f32_e32 v144, v144
	v_dual_fmac_f32 v152, 0x32a5705f, v45 :: v_dual_sub_f32 v103, v103, v155
	v_fmac_f32_e32 v154, 0x32a5705f, v5
	v_exp_f32_e32 v99, v99
	v_cndmask_b32_e32 v96, 0, v96, vcc_lo
	v_cmp_ngt_f32_e32 vcc_lo, 0xc2ce8ed0, v2
	v_fma_f32 v158, 0x3fb8aa3b, v6, -v105
	v_cvt_i32_f32_e32 v147, v147
	v_dual_sub_f32 v105, v105, v159 :: v_dual_fmac_f32 v170, 0x32a5705f, v9
	v_add_f32_e32 v103, v103, v154
	v_ldexp_f32 v98, v98, v144
	v_cndmask_b32_e32 v97, 0, v97, vcc_lo
	v_cmp_ngt_f32_e32 vcc_lo, 0xc2ce8ed0, v41
	v_rndne_f32_e32 v153, v102
	v_rndne_f32_e32 v163, v107
	v_fma_f32 v172, 0x3fb8aa3b, v59, -v112
	v_fmac_f32_e32 v158, 0x32a5705f, v6
	v_exp_f32_e32 v103, v103
	v_ldexp_f32 v99, v99, v147
	v_dual_sub_f32 v107, v107, v163 :: v_dual_cndmask_b32 v98, 0, v98
	v_cmp_ngt_f32_e32 vcc_lo, 0xc2ce8ed0, v3
	v_dual_add_f32 v100, v100, v148 :: v_dual_sub_f32 v49, v55, v22
	v_sub_f32_e32 v12, v12, v28
	v_dual_mul_f32 v109, 0x3fb8aa3b, v8 :: v_dual_sub_f32 v102, v102, v153
	v_cvt_i32_f32_e32 v155, v155
	v_dual_fmac_f32 v172, 0x32a5705f, v59 :: v_dual_add_f32 v105, v105, v158
	v_cndmask_b32_e32 v99, 0, v99, vcc_lo
	v_exp_f32_e32 v100, v100
	v_dual_sub_f32 v11, v11, v27 :: v_dual_mul_f32 v106, 0x3fb8aa3b, v49
	v_rndne_f32_e32 v173, v112
	v_cvt_i32_f32_e32 v149, v149
	v_exp_f32_e32 v105, v105
	v_ldexp_f32 v103, v103, v155
	v_add_f32_e32 v102, v102, v152
	v_fma_f32 v160, 0x3fb8aa3b, v49, -v106
	v_fma_f32 v166, 0x3fb8aa3b, v8, -v109
	v_rndne_f32_e32 v167, v109
	v_cvt_i32_f32_e32 v159, v159
	v_dual_sub_f32 v112, v112, v173 :: v_dual_add_f32 v107, v107, v162
	v_exp_f32_e32 v102, v102
	v_ldexp_f32 v100, v100, v149
	v_cmp_ngt_f32_e32 vcc_lo, 0xc2ce8ed0, v43
	v_rndne_f32_e32 v161, v106
	v_rndne_f32_e32 v171, v111
	v_fma_f32 v176, 0x3fb8aa3b, v91, -v114
	v_cvt_i32_f32_e32 v153, v153
	v_dual_fmac_f32 v160, 0x32a5705f, v49 :: v_dual_sub_f32 v109, v109, v167
	s_delay_alu instid0(VALU_DEP_4)
	v_dual_fmac_f32 v166, 0x32a5705f, v8 :: v_dual_sub_f32 v111, v111, v171
	v_exp_f32_e32 v107, v107
	v_ldexp_f32 v105, v105, v159
	v_add_f32_e32 v104, v104, v156
	v_cndmask_b32_e32 v100, 0, v100, vcc_lo
	v_cmp_ngt_f32_e32 vcc_lo, 0xc2ce8ed0, v4
	v_dual_mul_f32 v115, 0x3fb8aa3b, v11 :: v_dual_sub_f32 v106, v106, v161
	v_cvt_i32_f32_e32 v163, v163
	v_dual_fmac_f32 v176, 0x32a5705f, v91 :: v_dual_add_f32 v109, v109, v166
	v_exp_f32_e32 v104, v104
	v_ldexp_f32 v102, v102, v153
	v_cndmask_b32_e32 v101, 0, v101, vcc_lo
	v_cmp_ngt_f32_e32 vcc_lo, 0xc2ce8ed0, v45
	v_rndne_f32_e32 v165, v108
	v_rndne_f32_e32 v177, v114
	v_cvt_i32_f32_e32 v157, v157
	v_exp_f32_e32 v109, v109
	v_ldexp_f32 v107, v107, v163
	v_add_f32_e32 v106, v106, v160
	v_cndmask_b32_e32 v102, 0, v102, vcc_lo
	v_cmp_ngt_f32_e32 vcc_lo, 0xc2ce8ed0, v5
	v_dual_mul_f32 v117, 0x3fb8aa3b, v12 :: v_dual_sub_f32 v108, v108, v165
	v_fma_f32 v168, 0x3fb8aa3b, v53, -v110
	v_rndne_f32_e32 v175, v113
	v_cvt_i32_f32_e32 v167, v167
	v_dual_sub_f32 v114, v114, v177 :: v_dual_add_f32 v111, v111, v170
	v_exp_f32_e32 v106, v106
	v_ldexp_f32 v104, v104, v157
	v_cndmask_b32_e32 v103, 0, v103, vcc_lo
	v_cmp_ngt_f32_e32 vcc_lo, 0xc2ce8ed0, v47
	v_rndne_f32_e32 v169, v110
	v_fma_f32 v178, 0x3fb8aa3b, v11, -v115
	v_cvt_i32_f32_e32 v161, v161
	v_dual_fmac_f32 v168, 0x32a5705f, v53 :: v_dual_sub_f32 v113, v113, v175
	v_exp_f32_e32 v111, v111
	v_ldexp_f32 v109, v109, v167
	v_add_f32_e32 v108, v108, v164
	v_cndmask_b32_e32 v104, 0, v104, vcc_lo
	v_cmp_ngt_f32_e32 vcc_lo, 0xc2ce8ed0, v6
	v_rndne_f32_e32 v179, v115
	v_sub_f32_e32 v110, v110, v169
	v_cvt_i32_f32_e32 v171, v171
	v_dual_fmac_f32 v178, 0x32a5705f, v11 :: v_dual_add_f32 v113, v113, v174
	v_exp_f32_e32 v108, v108
	v_ldexp_f32 v106, v106, v161
	v_cndmask_b32_e32 v105, 0, v105, vcc_lo
	v_cmp_ngt_f32_e32 vcc_lo, 0xc2ce8ed0, v49
	v_cvt_i32_f32_e32 v165, v165
	v_sub_f32_e32 v115, v115, v179
	v_exp_f32_e32 v113, v113
	v_ldexp_f32 v111, v111, v171
	v_add_f32_e32 v110, v110, v168
	v_cndmask_b32_e32 v106, 0, v106, vcc_lo
	v_cmp_ngt_f32_e32 vcc_lo, 0xc2ce8ed0, v7
	v_cvt_i32_f32_e32 v175, v175
	v_ldexp_f32 v108, v108, v165
	v_exp_f32_e32 v110, v110
	v_cvt_i32_f32_e32 v169, v169
	v_cndmask_b32_e32 v107, 0, v107, vcc_lo
	v_cmp_ngt_f32_e32 vcc_lo, 0xc2ce8ed0, v51
	v_ldexp_f32 v113, v113, v175
	v_add_f32_e32 v112, v112, v172
	v_cvt_i32_f32_e32 v173, v173
	v_add_f32_e32 v114, v114, v176
	v_cndmask_b32_e32 v108, 0, v108, vcc_lo
	v_cmp_ngt_f32_e32 vcc_lo, 0xc2ce8ed0, v8
	v_exp_f32_e32 v112, v112
	v_ldexp_f32 v110, v110, v169
	v_exp_f32_e32 v114, v114
	v_cvt_i32_f32_e32 v177, v177
	v_cndmask_b32_e32 v109, 0, v109, vcc_lo
	v_cmp_ngt_f32_e32 vcc_lo, 0xc2ce8ed0, v53
	v_dual_fmac_f32 v180, 0x32a5705f, v92 :: v_dual_add_f32 v115, v115, v178
	v_cvt_i32_f32_e32 v179, v179
	v_cndmask_b32_e32 v110, 0, v110, vcc_lo
	v_cmp_ngt_f32_e32 vcc_lo, 0xc2ce8ed0, v9
	v_ldexp_f32 v112, v112, v173
	s_delay_alu instid0(TRANS32_DEP_1)
	v_ldexp_f32 v114, v114, v177
	v_exp_f32_e32 v115, v115
	v_cndmask_b32_e32 v111, 0, v111, vcc_lo
	v_cmp_ngt_f32_e32 vcc_lo, 0xc2ce8ed0, v59
	v_cndmask_b32_e32 v112, 0, v112, vcc_lo
	v_cmp_ngt_f32_e32 vcc_lo, 0xc2ce8ed0, v10
	;; [unrolled: 2-line block ×3, first 2 shown]
	v_cndmask_b32_e32 v114, 0, v114, vcc_lo
	v_cmp_nlt_f32_e32 vcc_lo, 0x42b17218, v0
	v_cndmask_b32_e32 v0, 0x7f800000, v93, vcc_lo
	v_cmp_nlt_f32_e32 vcc_lo, 0x42b17218, v37
	;; [unrolled: 2-line block ×3, first 2 shown]
	v_dual_add_f32 v116, v116, v180 :: v_dual_cndmask_b32 v1, 0x7f800000, v95
	v_cmp_nlt_f32_e32 vcc_lo, 0x42b17218, v39
	s_delay_alu instid0(VALU_DEP_2)
	v_exp_f32_e32 v116, v116
	v_cndmask_b32_e32 v39, 0x7f800000, v96, vcc_lo
	v_cmp_nlt_f32_e32 vcc_lo, 0x42b17218, v2
	v_cndmask_b32_e32 v2, 0x7f800000, v97, vcc_lo
	v_cmp_nlt_f32_e32 vcc_lo, 0x42b17218, v41
	;; [unrolled: 2-line block ×3, first 2 shown]
	s_delay_alu instid0(VALU_DEP_2) | instskip(SKIP_1) | instid1(VALU_DEP_2)
	v_fmac_f32_e32 v41, v52, v2
	v_cvt_f16_f32_e32 v2, v2
	v_mov_b32_e32 v52, v41
	s_delay_alu instid0(VALU_DEP_2) | instskip(SKIP_1) | instid1(VALU_DEP_1)
	v_pk_mul_f16 v141, v141, v2 op_sel_hi:[1,0]
	v_fma_f32 v2, 0x3fb8aa3b, v12, -v117
	v_fmac_f32_e32 v2, 0x32a5705f, v12
	v_cndmask_b32_e32 v3, 0x7f800000, v99, vcc_lo
	v_cmp_nlt_f32_e32 vcc_lo, 0x42b17218, v43
	v_cndmask_b32_e32 v43, 0x7f800000, v100, vcc_lo
	v_cmp_nlt_f32_e32 vcc_lo, 0x42b17218, v4
	s_delay_alu instid0(VALU_DEP_2) | instskip(SKIP_2) | instid1(VALU_DEP_3)
	v_dual_fmac_f32 v43, v50, v3 :: v_dual_cndmask_b32 v4, 0x7f800000, v101
	v_cmp_nlt_f32_e32 vcc_lo, 0x42b17218, v45
	v_cvt_f16_f32_e32 v3, v3
	v_dual_mov_b32 v50, v43 :: v_dual_cndmask_b32 v45, 0x7f800000, v102
	v_cmp_nlt_f32_e32 vcc_lo, 0x42b17218, v5
	s_delay_alu instid0(VALU_DEP_3)
	v_pk_mul_f16 v140, v140, v3 op_sel_hi:[1,0]
	v_rndne_f32_e32 v3, v117
	v_cndmask_b32_e32 v5, 0x7f800000, v103, vcc_lo
	v_cmp_nlt_f32_e32 vcc_lo, 0x42b17218, v47
	v_cndmask_b32_e32 v47, 0x7f800000, v104, vcc_lo
	v_cmp_nlt_f32_e32 vcc_lo, 0x42b17218, v6
	s_delay_alu instid0(VALU_DEP_2) | instskip(SKIP_3) | instid1(VALU_DEP_4)
	v_fmac_f32_e32 v47, v46, v5
	v_cndmask_b32_e32 v6, 0x7f800000, v105, vcc_lo
	v_cmp_nlt_f32_e32 vcc_lo, 0x42b17218, v49
	v_cvt_f16_f32_e32 v5, v5
	v_dual_mov_b32 v46, v47 :: v_dual_cndmask_b32 v49, 0x7f800000, v106
	v_cmp_nlt_f32_e32 vcc_lo, 0x42b17218, v7
	s_delay_alu instid0(VALU_DEP_3) | instskip(SKIP_1) | instid1(VALU_DEP_4)
	v_pk_mul_f16 v138, v138, v5 op_sel_hi:[1,0]
	v_sub_f32_e32 v5, v55, v28
	v_fmac_f32_e32 v49, v44, v6
	v_cndmask_b32_e32 v7, 0x7f800000, v107, vcc_lo
	v_cmp_nlt_f32_e32 vcc_lo, 0x42b17218, v51
	v_cvt_f16_f32_e32 v6, v6
	s_delay_alu instid0(VALU_DEP_4) | instskip(SKIP_1) | instid1(VALU_DEP_3)
	v_dual_mov_b32 v44, v49 :: v_dual_cndmask_b32 v51, 0x7f800000, v108
	v_cmp_nlt_f32_e32 vcc_lo, 0x42b17218, v8
	v_pk_mul_f16 v137, v137, v6 op_sel_hi:[1,0]
	v_max_f32_e32 v6, v13, v13
	v_cndmask_b32_e32 v8, 0x7f800000, v109, vcc_lo
	v_cmp_nlt_f32_e32 vcc_lo, 0x42b17218, v53
	v_cndmask_b32_e32 v53, 0x7f800000, v110, vcc_lo
	v_cmp_nlt_f32_e32 vcc_lo, 0x42b17218, v9
	s_delay_alu instid0(VALU_DEP_2) | instskip(SKIP_3) | instid1(VALU_DEP_4)
	v_fmac_f32_e32 v53, v40, v8
	v_cndmask_b32_e32 v9, 0x7f800000, v111, vcc_lo
	v_cmp_nlt_f32_e32 vcc_lo, 0x42b17218, v59
	v_cvt_f16_f32_e32 v8, v8
	v_dual_mov_b32 v40, v53 :: v_dual_cndmask_b32 v59, 0x7f800000, v112
	v_cmp_nlt_f32_e32 vcc_lo, 0x42b17218, v10
	s_delay_alu instid0(VALU_DEP_3) | instskip(NEXT) | instid1(VALU_DEP_3)
	v_pk_mul_f16 v135, v135, v8 op_sel_hi:[1,0]
	v_fmac_f32_e32 v59, v38, v9
	v_cndmask_b32_e32 v10, 0x7f800000, v113, vcc_lo
	v_cmp_nlt_f32_e32 vcc_lo, 0x42b17218, v91
	v_cvt_f16_f32_e32 v9, v9
	s_delay_alu instid0(VALU_DEP_4) | instskip(SKIP_1) | instid1(VALU_DEP_3)
	v_dual_mov_b32 v38, v59 :: v_dual_cndmask_b32 v91, 0x7f800000, v114
	v_cmp_ngt_f32_e32 vcc_lo, 0xc2ce8ed0, v11
	v_pk_mul_f16 v134, v134, v9 op_sel_hi:[1,0]
	s_delay_alu instid0(VALU_DEP_3) | instskip(SKIP_3) | instid1(VALU_DEP_3)
	v_fmac_f32_e32 v91, v29, v10
	v_max_f32_e32 v29, v6, v33
	v_fmac_f32_e32 v37, v57, v0
	v_cvt_f16_f32_e32 v0, v0
	v_dual_sub_f32 v8, v13, v29 :: v_dual_fmac_f32 v45, v48, v4
	v_cvt_f16_f32_e32 v4, v4
	s_delay_alu instid0(VALU_DEP_3)
	v_pk_mul_f16 v145, v145, v0 op_sel_hi:[1,0]
	v_ldexp_f32 v0, v115, v179
	v_mov_b32_e32 v57, v37
	v_mov_b32_e32 v48, v45
	v_pk_mul_f16 v139, v139, v4 op_sel_hi:[1,0]
	v_dual_sub_f32 v4, v117, v3 :: v_dual_fmac_f32 v39, v54, v1
	v_cvt_f16_f32_e32 v1, v1
	v_cvt_i32_f32_e32 v3, v3
	s_delay_alu instid0(VALU_DEP_3) | instskip(NEXT) | instid1(VALU_DEP_4)
	v_add_f32_e32 v2, v4, v2
	v_mov_b32_e32 v54, v39
	s_delay_alu instid0(VALU_DEP_4) | instskip(SKIP_1) | instid1(VALU_DEP_1)
	v_pk_mul_f16 v142, v142, v1 op_sel_hi:[1,0]
	v_cvt_i32_f32_e32 v1, v181
	v_ldexp_f32 v1, v116, v1
	v_cndmask_b32_e32 v0, 0, v0, vcc_lo
	v_cmp_nlt_f32_e32 vcc_lo, 0x42b17218, v11
	s_delay_alu instid0(VALU_DEP_2) | instskip(SKIP_1) | instid1(VALU_DEP_2)
	v_cndmask_b32_e32 v0, 0x7f800000, v0, vcc_lo
	v_cmp_ngt_f32_e32 vcc_lo, 0xc2ce8ed0, v92
	v_cvt_f16_f32_e32 v6, v0
	v_cndmask_b32_e32 v1, 0, v1, vcc_lo
	v_cmp_nlt_f32_e32 vcc_lo, 0x42b17218, v92
	s_delay_alu instid0(VALU_DEP_3) | instskip(NEXT) | instid1(VALU_DEP_3)
	v_pk_mul_f16 v132, v132, v6 op_sel_hi:[1,0]
	v_cndmask_b32_e32 v92, 0x7f800000, v1, vcc_lo
	v_exp_f32_e32 v1, v2
	v_cmp_ngt_f32_e32 vcc_lo, 0xc2ce8ed0, v12
	s_delay_alu instid0(VALU_DEP_2) | instskip(SKIP_4) | instid1(VALU_DEP_3)
	v_fmac_f32_e32 v92, v30, v0
	s_waitcnt_depctr 0xfff
	v_ldexp_f32 v0, v1, v3
	v_sub_f32_e32 v3, v56, v29
	v_mul_f32_e32 v4, 0x3fb8aa3b, v5
	v_cndmask_b32_e32 v0, 0, v0, vcc_lo
	v_cmp_nlt_f32_e32 vcc_lo, 0x42b17218, v12
	v_max_f32_e32 v12, v14, v14
	v_fmac_f32_e32 v51, v42, v7
	v_cvt_f16_f32_e32 v7, v7
	v_mul_f32_e32 v9, 0x3fb8aa3b, v3
	v_fma_f32 v2, 0x3fb8aa3b, v5, -v4
	v_cndmask_b32_e32 v0, 0x7f800000, v0, vcc_lo
	v_cmp_ngt_f32_e32 vcc_lo, 0xc2ce8ed0, v5
	v_pk_mul_f16 v136, v136, v7 op_sel_hi:[1,0]
	v_rndne_f32_e32 v7, v4
	v_fmac_f32_e32 v2, 0x32a5705f, v5
	v_max_f32_e32 v30, v12, v35
	v_rndne_f32_e32 v11, v9
	v_mov_b32_e32 v42, v51
	v_sub_f32_e32 v4, v4, v7
	v_cvt_i32_f32_e32 v7, v7
	s_delay_alu instid0(VALU_DEP_2) | instskip(NEXT) | instid1(VALU_DEP_1)
	v_add_f32_e32 v1, v4, v2
	v_exp_f32_e32 v1, v1
	s_waitcnt_depctr 0xfff
	v_ldexp_f32 v1, v1, v7
	v_dual_mul_f32 v2, 0x3fb8aa3b, v8 :: v_dual_sub_f32 v7, v14, v30
	s_delay_alu instid0(VALU_DEP_2) | instskip(NEXT) | instid1(VALU_DEP_2)
	v_cndmask_b32_e32 v1, 0, v1, vcc_lo
	v_fma_f32 v4, 0x3fb8aa3b, v8, -v2
	v_rndne_f32_e32 v6, v2
	v_cmp_nlt_f32_e32 vcc_lo, 0x42b17218, v5
	s_delay_alu instid0(VALU_DEP_3) | instskip(NEXT) | instid1(VALU_DEP_3)
	v_fmac_f32_e32 v4, 0x32a5705f, v8
	v_dual_sub_f32 v2, v2, v6 :: v_dual_cndmask_b32 v35, 0x7f800000, v1
	v_cvt_i32_f32_e32 v5, v6
	v_cvt_f16_f32_e32 v1, v0
	v_mul_f32_e32 v6, 0x3fb8aa3b, v7
	s_delay_alu instid0(VALU_DEP_4) | instskip(SKIP_3) | instid1(VALU_DEP_4)
	v_add_f32_e32 v2, v2, v4
	v_dual_fmac_f32 v35, v31, v0 :: v_dual_sub_f32 v4, v9, v11
	v_cmp_ngt_f32_e32 vcc_lo, 0xc2ce8ed0, v8
	v_pk_mul_f16 v131, v131, v1 op_sel_hi:[1,0]
	v_exp_f32_e32 v2, v2
	v_cvt_i32_f32_e32 v1, v11
	s_waitcnt_depctr 0xfff
	v_ldexp_f32 v0, v2, v5
	v_max_f32_e32 v5, v15, v15
	v_fma_f32 v2, 0x3fb8aa3b, v7, -v6
	s_delay_alu instid0(VALU_DEP_2) | instskip(SKIP_1) | instid1(VALU_DEP_3)
	v_dual_cndmask_b32 v0, 0, v0 :: v_dual_max_f32 v31, v5, v33
	v_cmp_nlt_f32_e32 vcc_lo, 0x42b17218, v8
	v_fmac_f32_e32 v2, 0x32a5705f, v7
	s_delay_alu instid0(VALU_DEP_3) | instskip(SKIP_3) | instid1(VALU_DEP_3)
	v_sub_f32_e32 v5, v15, v31
	v_cvt_f16_f32_e32 v10, v10
	v_cndmask_b32_e32 v0, 0x7f800000, v0, vcc_lo
	v_cmp_ngt_f32_e32 vcc_lo, 0xc2ce8ed0, v3
	v_pk_mul_f16 v133, v133, v10 op_sel_hi:[1,0]
	v_fma_f32 v10, 0x3fb8aa3b, v3, -v9
	v_rndne_f32_e32 v9, v6
	s_delay_alu instid0(VALU_DEP_2) | instskip(NEXT) | instid1(VALU_DEP_1)
	v_fmac_f32_e32 v10, 0x32a5705f, v3
	v_add_f32_e32 v4, v4, v10
	s_delay_alu instid0(VALU_DEP_1)
	v_exp_f32_e32 v4, v4
	s_waitcnt_depctr 0xfff
	v_ldexp_f32 v1, v4, v1
	v_sub_f32_e32 v4, v6, v9
	v_mul_f32_e32 v6, 0x3fb8aa3b, v5
	v_cvt_i32_f32_e32 v9, v9
	s_delay_alu instid0(VALU_DEP_3)
	v_dual_cndmask_b32 v1, 0, v1 :: v_dual_add_f32 v2, v4, v2
	v_cmp_nlt_f32_e32 vcc_lo, 0x42b17218, v3
	v_sub_f32_e32 v4, v55, v30
	v_fma_f32 v8, 0x3fb8aa3b, v5, -v6
	v_rndne_f32_e32 v10, v6
	v_exp_f32_e32 v2, v2
	v_cndmask_b32_e32 v33, 0x7f800000, v1, vcc_lo
	v_mul_f32_e32 v3, 0x3fb8aa3b, v4
	v_fmac_f32_e32 v8, 0x32a5705f, v5
	v_sub_f32_e32 v6, v6, v10
	v_cmp_ngt_f32_e32 vcc_lo, 0xc2ce8ed0, v7
	v_sub_f32_e32 v1, v56, v31
	v_fma_f32 v12, 0x3fb8aa3b, v4, -v3
	v_rndne_f32_e32 v13, v3
	v_add_f32_e32 v6, v6, v8
	v_ldexp_f32 v2, v2, v9
	v_cvt_i32_f32_e32 v9, v10
	s_delay_alu instid0(VALU_DEP_4) | instskip(NEXT) | instid1(VALU_DEP_4)
	v_dual_fmac_f32 v12, 0x32a5705f, v4 :: v_dual_sub_f32 v3, v3, v13
	v_exp_f32_e32 v6, v6
	s_delay_alu instid0(VALU_DEP_3)
	v_cndmask_b32_e32 v2, 0, v2, vcc_lo
	v_cmp_nlt_f32_e32 vcc_lo, 0x42b17218, v7
	v_mul_f32_e32 v11, 0x3fb8aa3b, v1
	v_add_f32_e32 v3, v3, v12
	v_cvt_i32_f32_e32 v10, v13
	v_cndmask_b32_e32 v2, 0x7f800000, v2, vcc_lo
	v_cmp_ngt_f32_e32 vcc_lo, 0xc2ce8ed0, v5
	s_delay_alu instid0(VALU_DEP_4) | instskip(NEXT) | instid1(TRANS32_DEP_2)
	v_exp_f32_e32 v3, v3
	v_ldexp_f32 v6, v6, v9
	v_fma_f32 v14, 0x3fb8aa3b, v1, -v11
	v_rndne_f32_e32 v15, v11
	s_delay_alu instid0(VALU_DEP_3) | instskip(SKIP_1) | instid1(VALU_DEP_4)
	v_cndmask_b32_e32 v6, 0, v6, vcc_lo
	v_cmp_ngt_f32_e32 vcc_lo, 0xc2ce8ed0, v4
	v_fmac_f32_e32 v14, 0x32a5705f, v1
	s_delay_alu instid0(VALU_DEP_4) | instskip(NEXT) | instid1(TRANS32_DEP_1)
	v_cvt_i32_f32_e32 v9, v15
	v_ldexp_f32 v3, v3, v10
	s_delay_alu instid0(VALU_DEP_1) | instskip(SKIP_2) | instid1(VALU_DEP_1)
	v_cndmask_b32_e32 v3, 0, v3, vcc_lo
	v_cmp_nlt_f32_e32 vcc_lo, 0x42b17218, v5
	v_dual_sub_f32 v8, v11, v15 :: v_dual_cndmask_b32 v5, 0x7f800000, v6
	v_add_f32_e32 v8, v8, v14
	v_cmp_ngt_f32_e32 vcc_lo, 0xc2ce8ed0, v1
	s_delay_alu instid0(VALU_DEP_2) | instskip(SKIP_2) | instid1(VALU_DEP_1)
	v_exp_f32_e32 v8, v8
	s_waitcnt_depctr 0xfff
	v_ldexp_f32 v7, v8, v9
	v_cndmask_b32_e32 v6, 0, v7, vcc_lo
	v_cmp_nlt_f32_e32 vcc_lo, 0x42b17218, v4
	v_cndmask_b32_e32 v55, 0x7f800000, v3, vcc_lo
	v_cmp_nlt_f32_e32 vcc_lo, 0x42b17218, v1
	v_cvt_f16_f32_e32 v3, v2
	v_cvt_f16_f32_e32 v1, v5
	s_delay_alu instid0(VALU_DEP_4) | instskip(SKIP_4) | instid1(VALU_DEP_4)
	v_fmac_f32_e32 v55, v34, v2
	v_dual_cndmask_b32 v56, 0x7f800000, v6 :: v_dual_fmac_f32 v33, v36, v0
	v_cvt_f16_f32_e32 v0, v0
	v_pk_mul_f16 v129, v129, v3 op_sel_hi:[1,0]
	v_pk_mul_f16 v128, v128, v1 op_sel_hi:[1,0]
	v_fmac_f32_e32 v56, v32, v5
	v_mov_b32_e32 v36, v33
	v_pk_mul_f16 v130, v130, v0 op_sel_hi:[1,0]
	v_dual_mov_b32 v0, v16 :: v_dual_mov_b32 v1, v17
	v_dual_mov_b32 v2, v18 :: v_dual_mov_b32 v3, v19
	;; [unrolled: 1-line block ×8, first 2 shown]
	v_mov_b32_e32 v31, v35
	v_dual_mov_b32 v29, v91 :: v_dual_mov_b32 v30, v92
	v_mov_b32_e32 v34, v55
	v_mov_b32_e32 v32, v56
.LBB33_13:
	s_mov_b32 s3, exec_lo
	v_cmpx_gt_i32_e64 s6, v89
	s_cbranch_execz .LBB33_92
; %bb.14:
	s_load_b32 s1, s[0:1], 0xd4
	v_mov_b32_e32 v18, 1.0
	s_waitcnt lgkmcnt(0)
	s_cmp_lg_u32 s1, 1
	s_cselect_b32 s4, -1, 0
	s_cmp_eq_u32 s1, 1
	s_cselect_b32 s5, -1, 0
	s_and_b32 vcc_lo, exec_lo, s4
	s_cbranch_vccnz .LBB33_16
; %bb.15:
	v_div_scale_f32 v16, null, v57, v57, 1.0
	s_delay_alu instid0(VALU_DEP_1) | instskip(SKIP_2) | instid1(VALU_DEP_1)
	v_rcp_f32_e32 v17, v16
	s_waitcnt_depctr 0xfff
	v_fma_f32 v18, -v16, v17, 1.0
	v_fmac_f32_e32 v17, v18, v17
	v_div_scale_f32 v18, vcc_lo, 1.0, v57, 1.0
	s_delay_alu instid0(VALU_DEP_1) | instskip(NEXT) | instid1(VALU_DEP_1)
	v_mul_f32_e32 v19, v18, v17
	v_fma_f32 v20, -v16, v19, v18
	s_delay_alu instid0(VALU_DEP_1) | instskip(NEXT) | instid1(VALU_DEP_1)
	v_fmac_f32_e32 v19, v20, v17
	v_fma_f32 v16, -v16, v19, v18
	s_delay_alu instid0(VALU_DEP_1) | instskip(NEXT) | instid1(VALU_DEP_1)
	v_div_fmas_f32 v16, v16, v17, v19
	v_div_fixup_f32 v18, v16, v57, 1.0
.LBB33_16:
	s_mul_i32 s3, s12, s6
	v_cvt_f32_f16_e64 v22, v145
	s_add_i32 s3, s3, s15
	v_cmp_eq_u32_e32 vcc_lo, 0, v90
	v_dual_mov_b32 v21, 0 :: v_dual_add_nc_u32 v16, s3, v88
	s_and_b32 s4, vcc_lo, s4
	s_delay_alu instid0(VALU_DEP_1) | instskip(NEXT) | instid1(VALU_DEP_1)
	v_mul_lo_u32 v19, v16, s7
	v_add_nc_u32_e32 v20, s2, v19
	s_delay_alu instid0(VALU_DEP_1) | instskip(SKIP_1) | instid1(VALU_DEP_1)
	v_mad_u64_u32 v[16:17], null, s1, v20, s[14:15]
	v_lshrrev_b32_e32 v17, 16, v145
	v_cvt_f32_f16_e32 v23, v17
	v_mul_f32_e32 v17, v18, v22
	s_delay_alu instid0(VALU_DEP_4) | instskip(NEXT) | instid1(VALU_DEP_3)
	v_lshl_add_u32 v20, v16, 6, v58
	v_mul_f32_e32 v18, v18, v23
	s_delay_alu instid0(VALU_DEP_2) | instskip(NEXT) | instid1(VALU_DEP_1)
	v_lshlrev_b64 v[20:21], 2, v[20:21]
	v_add_co_u32 v20, s0, s28, v20
	s_delay_alu instid0(VALU_DEP_1)
	v_add_co_ci_u32_e64 v21, s0, s29, v21, s0
	global_store_b64 v[20:21], v[17:18], off
	s_and_saveexec_b32 s0, s4
	s_cbranch_execz .LBB33_18
; %bb.17:
	v_ashrrev_i32_e32 v17, 31, v16
	v_mov_b32_e32 v56, v0
	s_delay_alu instid0(VALU_DEP_2) | instskip(NEXT) | instid1(VALU_DEP_1)
	v_lshlrev_b64 v[16:17], 3, v[16:17]
	v_add_co_u32 v16, vcc_lo, s30, v16
	s_delay_alu instid0(VALU_DEP_2)
	v_add_co_ci_u32_e32 v17, vcc_lo, s31, v17, vcc_lo
	global_store_b64 v[16:17], v[56:57], off
.LBB33_18:
	s_or_b32 exec_lo, exec_lo, s0
	v_cndmask_b32_e64 v18, 0, 1, s5
	v_mov_b32_e32 v0, 1.0
	s_and_not1_b32 vcc_lo, exec_lo, s5
	s_cbranch_vccnz .LBB33_20
; %bb.19:
	v_div_scale_f32 v0, null, v54, v54, 1.0
	s_delay_alu instid0(VALU_DEP_1) | instskip(SKIP_2) | instid1(VALU_DEP_1)
	v_rcp_f32_e32 v16, v0
	s_waitcnt_depctr 0xfff
	v_fma_f32 v17, -v0, v16, 1.0
	v_fmac_f32_e32 v16, v17, v16
	v_div_scale_f32 v17, vcc_lo, 1.0, v54, 1.0
	s_delay_alu instid0(VALU_DEP_1) | instskip(NEXT) | instid1(VALU_DEP_1)
	v_mul_f32_e32 v20, v17, v16
	v_fma_f32 v21, -v0, v20, v17
	s_delay_alu instid0(VALU_DEP_1) | instskip(NEXT) | instid1(VALU_DEP_1)
	v_fmac_f32_e32 v20, v21, v16
	v_fma_f32 v0, -v0, v20, v17
	s_delay_alu instid0(VALU_DEP_1) | instskip(NEXT) | instid1(VALU_DEP_1)
	v_div_fmas_f32 v0, v0, v16, v20
	v_div_fixup_f32 v0, v0, v54, 1.0
.LBB33_20:
	s_add_i32 s0, s2, 1
	v_cvt_f32_f16_e64 v21, v142
	v_dual_mov_b32 v20, 0 :: v_dual_add_nc_u32 v19, s0, v19
	s_delay_alu instid0(VALU_DEP_2) | instskip(NEXT) | instid1(VALU_DEP_2)
	v_mul_f32_e32 v21, v0, v21
	v_mad_u64_u32 v[16:17], null, s1, v19, s[14:15]
	v_lshrrev_b32_e32 v17, 16, v142
	s_delay_alu instid0(VALU_DEP_1) | instskip(NEXT) | instid1(VALU_DEP_3)
	v_cvt_f32_f16_e32 v17, v17
	v_lshl_add_u32 v19, v16, 6, v58
	s_delay_alu instid0(VALU_DEP_2) | instskip(NEXT) | instid1(VALU_DEP_2)
	v_mul_f32_e32 v22, v0, v17
	v_lshlrev_b64 v[19:20], 2, v[19:20]
	s_delay_alu instid0(VALU_DEP_1) | instskip(NEXT) | instid1(VALU_DEP_2)
	v_add_co_u32 v19, vcc_lo, s28, v19
	v_add_co_ci_u32_e32 v20, vcc_lo, s29, v20, vcc_lo
	global_store_b64 v[19:20], v[21:22], off
	s_and_saveexec_b32 s5, s4
	s_cbranch_execz .LBB33_22
; %bb.21:
	v_ashrrev_i32_e32 v17, 31, v16
	v_mov_b32_e32 v53, v1
	s_delay_alu instid0(VALU_DEP_2) | instskip(NEXT) | instid1(VALU_DEP_1)
	v_lshlrev_b64 v[16:17], 3, v[16:17]
	v_add_co_u32 v16, vcc_lo, s30, v16
	s_delay_alu instid0(VALU_DEP_2)
	v_add_co_ci_u32_e32 v17, vcc_lo, s31, v17, vcc_lo
	global_store_b64 v[16:17], v[53:54], off
.LBB33_22:
	s_or_b32 exec_lo, exec_lo, s5
	v_cmp_gt_i32_e32 vcc_lo, s6, v87
	s_and_b32 exec_lo, exec_lo, vcc_lo
	s_cbranch_execz .LBB33_92
; %bb.23:
	v_cmp_ne_u32_e32 vcc_lo, 1, v18
	v_mov_b32_e32 v16, 1.0
	s_cbranch_vccnz .LBB33_25
; %bb.24:
	v_div_scale_f32 v0, null, v52, v52, 1.0
	s_delay_alu instid0(VALU_DEP_1) | instskip(SKIP_2) | instid1(VALU_DEP_1)
	v_rcp_f32_e32 v1, v0
	s_waitcnt_depctr 0xfff
	v_fma_f32 v16, -v0, v1, 1.0
	v_fmac_f32_e32 v1, v16, v1
	v_div_scale_f32 v16, vcc_lo, 1.0, v52, 1.0
	s_delay_alu instid0(VALU_DEP_1) | instskip(NEXT) | instid1(VALU_DEP_1)
	v_mul_f32_e32 v17, v16, v1
	v_fma_f32 v19, -v0, v17, v16
	s_delay_alu instid0(VALU_DEP_1) | instskip(NEXT) | instid1(VALU_DEP_1)
	v_fmac_f32_e32 v17, v19, v1
	v_fma_f32 v0, -v0, v17, v16
	s_delay_alu instid0(VALU_DEP_1) | instskip(NEXT) | instid1(VALU_DEP_1)
	v_div_fmas_f32 v0, v0, v1, v17
	v_div_fixup_f32 v16, v0, v52, 1.0
.LBB33_25:
	v_add_nc_u32_e32 v0, s3, v85
	v_cvt_f32_f16_e64 v17, v141
	s_delay_alu instid0(VALU_DEP_2) | instskip(NEXT) | instid1(VALU_DEP_2)
	v_mad_u64_u32 v[19:20], null, v0, s7, s[2:3]
	v_dual_mov_b32 v20, 0 :: v_dual_mul_f32 v21, v16, v17
	s_delay_alu instid0(VALU_DEP_2) | instskip(SKIP_1) | instid1(VALU_DEP_1)
	v_mad_u64_u32 v[0:1], null, s1, v19, s[14:15]
	v_lshrrev_b32_e32 v1, 16, v141
	v_cvt_f32_f16_e32 v1, v1
	s_delay_alu instid0(VALU_DEP_3) | instskip(NEXT) | instid1(VALU_DEP_2)
	v_lshl_add_u32 v19, v0, 6, v58
	v_mul_f32_e32 v22, v16, v1
	s_delay_alu instid0(VALU_DEP_2) | instskip(NEXT) | instid1(VALU_DEP_1)
	v_lshlrev_b64 v[19:20], 2, v[19:20]
	v_add_co_u32 v16, vcc_lo, s28, v19
	s_delay_alu instid0(VALU_DEP_2)
	v_add_co_ci_u32_e32 v17, vcc_lo, s29, v20, vcc_lo
	global_store_b64 v[16:17], v[21:22], off
	s_and_saveexec_b32 s5, s4
	s_cbranch_execz .LBB33_27
; %bb.26:
	v_ashrrev_i32_e32 v1, 31, v0
	v_mov_b32_e32 v51, v2
	s_delay_alu instid0(VALU_DEP_2) | instskip(NEXT) | instid1(VALU_DEP_1)
	v_lshlrev_b64 v[0:1], 3, v[0:1]
	v_add_co_u32 v0, vcc_lo, s30, v0
	s_delay_alu instid0(VALU_DEP_2)
	v_add_co_ci_u32_e32 v1, vcc_lo, s31, v1, vcc_lo
	global_store_b64 v[0:1], v[51:52], off
.LBB33_27:
	s_or_b32 exec_lo, exec_lo, s5
	v_cmp_gt_i32_e32 vcc_lo, s6, v86
	s_and_b32 exec_lo, exec_lo, vcc_lo
	s_cbranch_execz .LBB33_92
; %bb.28:
	v_cmp_ne_u32_e32 vcc_lo, 1, v18
	v_mov_b32_e32 v2, 1.0
	s_cbranch_vccnz .LBB33_30
; %bb.29:
	v_div_scale_f32 v0, null, v50, v50, 1.0
	s_delay_alu instid0(VALU_DEP_1) | instskip(SKIP_2) | instid1(VALU_DEP_1)
	v_rcp_f32_e32 v1, v0
	s_waitcnt_depctr 0xfff
	v_fma_f32 v2, -v0, v1, 1.0
	v_fmac_f32_e32 v1, v2, v1
	v_div_scale_f32 v2, vcc_lo, 1.0, v50, 1.0
	s_delay_alu instid0(VALU_DEP_1) | instskip(NEXT) | instid1(VALU_DEP_1)
	v_mul_f32_e32 v16, v2, v1
	v_fma_f32 v17, -v0, v16, v2
	s_delay_alu instid0(VALU_DEP_1) | instskip(NEXT) | instid1(VALU_DEP_1)
	v_fmac_f32_e32 v16, v17, v1
	v_fma_f32 v0, -v0, v16, v2
	s_delay_alu instid0(VALU_DEP_1) | instskip(NEXT) | instid1(VALU_DEP_1)
	v_div_fmas_f32 v0, v0, v1, v16
	v_div_fixup_f32 v2, v0, v50, 1.0
.LBB33_30:
	v_add_nc_u32_e32 v0, s3, v84
	v_cvt_f32_f16_e64 v19, v140
	s_delay_alu instid0(VALU_DEP_2) | instskip(SKIP_1) | instid1(VALU_DEP_2)
	v_mad_u64_u32 v[16:17], null, v0, s7, s[0:1]
	v_mov_b32_e32 v17, 0
	v_mad_u64_u32 v[0:1], null, s1, v16, s[14:15]
	v_lshrrev_b32_e32 v1, 16, v140
	s_delay_alu instid0(VALU_DEP_1) | instskip(NEXT) | instid1(VALU_DEP_3)
	v_cvt_f32_f16_e32 v20, v1
	v_lshl_add_u32 v16, v0, 6, v58
	v_mul_f32_e32 v1, v2, v19
	s_delay_alu instid0(VALU_DEP_3) | instskip(NEXT) | instid1(VALU_DEP_3)
	v_mul_f32_e32 v2, v2, v20
	v_lshlrev_b64 v[16:17], 2, v[16:17]
	s_delay_alu instid0(VALU_DEP_1) | instskip(NEXT) | instid1(VALU_DEP_2)
	v_add_co_u32 v16, vcc_lo, s28, v16
	v_add_co_ci_u32_e32 v17, vcc_lo, s29, v17, vcc_lo
	global_store_b64 v[16:17], v[1:2], off
	s_and_saveexec_b32 s5, s4
	s_cbranch_execz .LBB33_32
; %bb.31:
	v_ashrrev_i32_e32 v1, 31, v0
	v_mov_b32_e32 v49, v3
	s_delay_alu instid0(VALU_DEP_2) | instskip(NEXT) | instid1(VALU_DEP_1)
	v_lshlrev_b64 v[0:1], 3, v[0:1]
	v_add_co_u32 v0, vcc_lo, s30, v0
	s_delay_alu instid0(VALU_DEP_2)
	v_add_co_ci_u32_e32 v1, vcc_lo, s31, v1, vcc_lo
	global_store_b64 v[0:1], v[49:50], off
.LBB33_32:
	s_or_b32 exec_lo, exec_lo, s5
	v_cmp_gt_i32_e32 vcc_lo, s6, v83
	s_and_b32 exec_lo, exec_lo, vcc_lo
	s_cbranch_execz .LBB33_92
; %bb.33:
	v_cmp_ne_u32_e32 vcc_lo, 1, v18
	v_mov_b32_e32 v2, 1.0
	s_cbranch_vccnz .LBB33_35
; %bb.34:
	v_div_scale_f32 v0, null, v48, v48, 1.0
	s_delay_alu instid0(VALU_DEP_1) | instskip(SKIP_2) | instid1(VALU_DEP_1)
	v_rcp_f32_e32 v1, v0
	s_waitcnt_depctr 0xfff
	v_fma_f32 v2, -v0, v1, 1.0
	v_fmac_f32_e32 v1, v2, v1
	v_div_scale_f32 v2, vcc_lo, 1.0, v48, 1.0
	s_delay_alu instid0(VALU_DEP_1) | instskip(NEXT) | instid1(VALU_DEP_1)
	v_mul_f32_e32 v3, v2, v1
	v_fma_f32 v16, -v0, v3, v2
	s_delay_alu instid0(VALU_DEP_1) | instskip(NEXT) | instid1(VALU_DEP_1)
	v_fmac_f32_e32 v3, v16, v1
	v_fma_f32 v0, -v0, v3, v2
	s_delay_alu instid0(VALU_DEP_1) | instskip(NEXT) | instid1(VALU_DEP_1)
	v_div_fmas_f32 v0, v0, v1, v3
	v_div_fixup_f32 v2, v0, v48, 1.0
.LBB33_35:
	v_add_nc_u32_e32 v0, s3, v81
	v_cvt_f32_f16_e64 v3, v139
	s_delay_alu instid0(VALU_DEP_2) | instskip(SKIP_1) | instid1(VALU_DEP_2)
	v_mad_u64_u32 v[16:17], null, v0, s7, s[2:3]
	v_mov_b32_e32 v17, 0
	v_mad_u64_u32 v[0:1], null, s1, v16, s[14:15]
	v_lshrrev_b32_e32 v1, 16, v139
	s_delay_alu instid0(VALU_DEP_1) | instskip(NEXT) | instid1(VALU_DEP_3)
	v_cvt_f32_f16_e32 v19, v1
	v_lshl_add_u32 v16, v0, 6, v58
	v_mul_f32_e32 v1, v2, v3
	s_delay_alu instid0(VALU_DEP_3) | instskip(NEXT) | instid1(VALU_DEP_3)
	v_mul_f32_e32 v2, v2, v19
	v_lshlrev_b64 v[16:17], 2, v[16:17]
	s_delay_alu instid0(VALU_DEP_1) | instskip(NEXT) | instid1(VALU_DEP_2)
	v_add_co_u32 v16, vcc_lo, s28, v16
	v_add_co_ci_u32_e32 v17, vcc_lo, s29, v17, vcc_lo
	global_store_b64 v[16:17], v[1:2], off
	s_and_saveexec_b32 s5, s4
	s_cbranch_execz .LBB33_37
; %bb.36:
	v_ashrrev_i32_e32 v1, 31, v0
	v_mov_b32_e32 v47, v4
	s_delay_alu instid0(VALU_DEP_2) | instskip(NEXT) | instid1(VALU_DEP_1)
	v_lshlrev_b64 v[0:1], 3, v[0:1]
	v_add_co_u32 v0, vcc_lo, s30, v0
	s_delay_alu instid0(VALU_DEP_2)
	v_add_co_ci_u32_e32 v1, vcc_lo, s31, v1, vcc_lo
	global_store_b64 v[0:1], v[47:48], off
.LBB33_37:
	s_or_b32 exec_lo, exec_lo, s5
	v_cmp_gt_i32_e32 vcc_lo, s6, v82
	s_and_b32 exec_lo, exec_lo, vcc_lo
	s_cbranch_execz .LBB33_92
; %bb.38:
	v_cmp_ne_u32_e32 vcc_lo, 1, v18
	v_mov_b32_e32 v2, 1.0
	s_cbranch_vccnz .LBB33_40
; %bb.39:
	v_div_scale_f32 v0, null, v46, v46, 1.0
	s_delay_alu instid0(VALU_DEP_1) | instskip(SKIP_2) | instid1(VALU_DEP_1)
	v_rcp_f32_e32 v1, v0
	s_waitcnt_depctr 0xfff
	v_fma_f32 v2, -v0, v1, 1.0
	v_fmac_f32_e32 v1, v2, v1
	v_div_scale_f32 v2, vcc_lo, 1.0, v46, 1.0
	s_delay_alu instid0(VALU_DEP_1) | instskip(NEXT) | instid1(VALU_DEP_1)
	v_mul_f32_e32 v3, v2, v1
	v_fma_f32 v4, -v0, v3, v2
	s_delay_alu instid0(VALU_DEP_1) | instskip(NEXT) | instid1(VALU_DEP_1)
	v_fmac_f32_e32 v3, v4, v1
	v_fma_f32 v0, -v0, v3, v2
	s_delay_alu instid0(VALU_DEP_1) | instskip(NEXT) | instid1(VALU_DEP_1)
	v_div_fmas_f32 v0, v0, v1, v3
	v_div_fixup_f32 v2, v0, v46, 1.0
.LBB33_40:
	v_cvt_f32_f16_e64 v16, v138
	v_add_nc_u32_e32 v0, s3, v79
	s_delay_alu instid0(VALU_DEP_1) | instskip(SKIP_1) | instid1(VALU_DEP_2)
	v_mad_u64_u32 v[3:4], null, v0, s7, s[0:1]
	v_mov_b32_e32 v4, 0
	v_mad_u64_u32 v[0:1], null, s1, v3, s[14:15]
	v_lshrrev_b32_e32 v1, 16, v138
	s_delay_alu instid0(VALU_DEP_1) | instskip(SKIP_1) | instid1(VALU_DEP_4)
	v_cvt_f32_f16_e32 v17, v1
	v_mul_f32_e32 v1, v2, v16
	v_lshl_add_u32 v3, v0, 6, v58
	s_delay_alu instid0(VALU_DEP_3) | instskip(NEXT) | instid1(VALU_DEP_2)
	v_mul_f32_e32 v2, v2, v17
	v_lshlrev_b64 v[3:4], 2, v[3:4]
	s_delay_alu instid0(VALU_DEP_1) | instskip(NEXT) | instid1(VALU_DEP_2)
	v_add_co_u32 v3, vcc_lo, s28, v3
	v_add_co_ci_u32_e32 v4, vcc_lo, s29, v4, vcc_lo
	global_store_b64 v[3:4], v[1:2], off
	s_and_saveexec_b32 s5, s4
	s_cbranch_execz .LBB33_42
; %bb.41:
	v_ashrrev_i32_e32 v1, 31, v0
	v_mov_b32_e32 v45, v5
	s_delay_alu instid0(VALU_DEP_2) | instskip(NEXT) | instid1(VALU_DEP_1)
	v_lshlrev_b64 v[0:1], 3, v[0:1]
	v_add_co_u32 v0, vcc_lo, s30, v0
	s_delay_alu instid0(VALU_DEP_2)
	v_add_co_ci_u32_e32 v1, vcc_lo, s31, v1, vcc_lo
	global_store_b64 v[0:1], v[45:46], off
.LBB33_42:
	s_or_b32 exec_lo, exec_lo, s5
	v_cmp_gt_i32_e32 vcc_lo, s6, v80
	s_and_b32 exec_lo, exec_lo, vcc_lo
	s_cbranch_execz .LBB33_92
; %bb.43:
	v_cmp_ne_u32_e32 vcc_lo, 1, v18
	v_mov_b32_e32 v2, 1.0
	s_cbranch_vccnz .LBB33_45
; %bb.44:
	v_div_scale_f32 v0, null, v44, v44, 1.0
	s_delay_alu instid0(VALU_DEP_1) | instskip(SKIP_2) | instid1(VALU_DEP_1)
	v_rcp_f32_e32 v1, v0
	s_waitcnt_depctr 0xfff
	v_fma_f32 v2, -v0, v1, 1.0
	v_fmac_f32_e32 v1, v2, v1
	v_div_scale_f32 v2, vcc_lo, 1.0, v44, 1.0
	s_delay_alu instid0(VALU_DEP_1) | instskip(NEXT) | instid1(VALU_DEP_1)
	v_mul_f32_e32 v3, v2, v1
	v_fma_f32 v4, -v0, v3, v2
	s_delay_alu instid0(VALU_DEP_1) | instskip(NEXT) | instid1(VALU_DEP_1)
	v_fmac_f32_e32 v3, v4, v1
	v_fma_f32 v0, -v0, v3, v2
	s_delay_alu instid0(VALU_DEP_1) | instskip(NEXT) | instid1(VALU_DEP_1)
	v_div_fmas_f32 v0, v0, v1, v3
	v_div_fixup_f32 v2, v0, v44, 1.0
.LBB33_45:
	v_cvt_f32_f16_e64 v5, v137
	v_add_nc_u32_e32 v0, s3, v78
	s_delay_alu instid0(VALU_DEP_1) | instskip(SKIP_1) | instid1(VALU_DEP_2)
	v_mad_u64_u32 v[3:4], null, v0, s7, s[2:3]
	v_mov_b32_e32 v4, 0
	v_mad_u64_u32 v[0:1], null, s1, v3, s[14:15]
	v_lshrrev_b32_e32 v1, 16, v137
	s_delay_alu instid0(VALU_DEP_1) | instskip(SKIP_1) | instid1(VALU_DEP_4)
	v_cvt_f32_f16_e32 v16, v1
	v_mul_f32_e32 v1, v2, v5
	v_lshl_add_u32 v3, v0, 6, v58
	s_delay_alu instid0(VALU_DEP_3) | instskip(NEXT) | instid1(VALU_DEP_2)
	;; [unrolled: 56-line block ×11, first 2 shown]
	v_mul_f32_e32 v2, v2, v6
	v_lshlrev_b64 v[3:4], 2, v[3:4]
	s_delay_alu instid0(VALU_DEP_1) | instskip(NEXT) | instid1(VALU_DEP_2)
	v_add_co_u32 v3, vcc_lo, s28, v3
	v_add_co_ci_u32_e32 v4, vcc_lo, s29, v4, vcc_lo
	global_store_b64 v[3:4], v[1:2], off
	s_and_b32 exec_lo, exec_lo, s4
	s_cbranch_execz .LBB33_92
; %bb.91:
	v_ashrrev_i32_e32 v1, 31, v0
	v_mov_b32_e32 v31, v15
	s_delay_alu instid0(VALU_DEP_2) | instskip(NEXT) | instid1(VALU_DEP_1)
	v_lshlrev_b64 v[0:1], 3, v[0:1]
	v_add_co_u32 v0, vcc_lo, s30, v0
	s_delay_alu instid0(VALU_DEP_2)
	v_add_co_ci_u32_e32 v1, vcc_lo, s31, v1, vcc_lo
	global_store_b64 v[0:1], v[31:32], off
.LBB33_92:
	s_nop 0
	s_sendmsg sendmsg(MSG_DEALLOC_VGPRS)
	s_endpgm
	.section	.rodata,"a",@progbits
	.p2align	6, 0x0
	.amdhsa_kernel _ZL15flash_attn_tileILi64ELi64ELi32ELi2ELb0EEvPKcS1_S1_S1_S1_PKiPfP15HIP_vector_typeIfLj2EEffffjfiS5_IjLj3EEiiiiiiiiiiiliiliiiiil
		.amdhsa_group_segment_fixed_size 25600
		.amdhsa_private_segment_fixed_size 0
		.amdhsa_kernarg_size 464
		.amdhsa_user_sgpr_count 13
		.amdhsa_user_sgpr_dispatch_ptr 0
		.amdhsa_user_sgpr_queue_ptr 0
		.amdhsa_user_sgpr_kernarg_segment_ptr 1
		.amdhsa_user_sgpr_dispatch_id 0
		.amdhsa_user_sgpr_private_segment_size 0
		.amdhsa_wavefront_size32 1
		.amdhsa_uses_dynamic_stack 0
		.amdhsa_enable_private_segment 0
		.amdhsa_system_sgpr_workgroup_id_x 1
		.amdhsa_system_sgpr_workgroup_id_y 1
		.amdhsa_system_sgpr_workgroup_id_z 1
		.amdhsa_system_sgpr_workgroup_info 0
		.amdhsa_system_vgpr_workitem_id 1
		.amdhsa_next_free_vgpr 246
		.amdhsa_next_free_sgpr 57
		.amdhsa_reserve_vcc 1
		.amdhsa_float_round_mode_32 0
		.amdhsa_float_round_mode_16_64 0
		.amdhsa_float_denorm_mode_32 3
		.amdhsa_float_denorm_mode_16_64 3
		.amdhsa_dx10_clamp 1
		.amdhsa_ieee_mode 1
		.amdhsa_fp16_overflow 0
		.amdhsa_workgroup_processor_mode 1
		.amdhsa_memory_ordered 1
		.amdhsa_forward_progress 0
		.amdhsa_shared_vgpr_count 0
		.amdhsa_exception_fp_ieee_invalid_op 0
		.amdhsa_exception_fp_denorm_src 0
		.amdhsa_exception_fp_ieee_div_zero 0
		.amdhsa_exception_fp_ieee_overflow 0
		.amdhsa_exception_fp_ieee_underflow 0
		.amdhsa_exception_fp_ieee_inexact 0
		.amdhsa_exception_int_div_zero 0
	.end_amdhsa_kernel
	.section	.text._ZL15flash_attn_tileILi64ELi64ELi32ELi2ELb0EEvPKcS1_S1_S1_S1_PKiPfP15HIP_vector_typeIfLj2EEffffjfiS5_IjLj3EEiiiiiiiiiiiliiliiiiil,"axG",@progbits,_ZL15flash_attn_tileILi64ELi64ELi32ELi2ELb0EEvPKcS1_S1_S1_S1_PKiPfP15HIP_vector_typeIfLj2EEffffjfiS5_IjLj3EEiiiiiiiiiiiliiliiiiil,comdat
.Lfunc_end33:
	.size	_ZL15flash_attn_tileILi64ELi64ELi32ELi2ELb0EEvPKcS1_S1_S1_S1_PKiPfP15HIP_vector_typeIfLj2EEffffjfiS5_IjLj3EEiiiiiiiiiiiliiliiiiil, .Lfunc_end33-_ZL15flash_attn_tileILi64ELi64ELi32ELi2ELb0EEvPKcS1_S1_S1_S1_PKiPfP15HIP_vector_typeIfLj2EEffffjfiS5_IjLj3EEiiiiiiiiiiiliiliiiiil
                                        ; -- End function
	.section	.AMDGPU.csdata,"",@progbits
; Kernel info:
; codeLenInByte = 55584
; NumSgprs: 59
; NumVgprs: 246
; ScratchSize: 0
; MemoryBound: 0
; FloatMode: 240
; IeeeMode: 1
; LDSByteSize: 25600 bytes/workgroup (compile time only)
; SGPRBlocks: 7
; VGPRBlocks: 30
; NumSGPRsForWavesPerEU: 59
; NumVGPRsForWavesPerEU: 246
; Occupancy: 5
; WaveLimiterHint : 0
; COMPUTE_PGM_RSRC2:SCRATCH_EN: 0
; COMPUTE_PGM_RSRC2:USER_SGPR: 13
; COMPUTE_PGM_RSRC2:TRAP_HANDLER: 0
; COMPUTE_PGM_RSRC2:TGID_X_EN: 1
; COMPUTE_PGM_RSRC2:TGID_Y_EN: 1
; COMPUTE_PGM_RSRC2:TGID_Z_EN: 1
; COMPUTE_PGM_RSRC2:TIDIG_COMP_CNT: 1
	.section	.text._ZL25flash_attn_mask_to_KV_maxILi32EEvPK7__half2Piiii,"axG",@progbits,_ZL25flash_attn_mask_to_KV_maxILi32EEvPK7__half2Piiii,comdat
	.globl	_ZL25flash_attn_mask_to_KV_maxILi32EEvPK7__half2Piiii ; -- Begin function _ZL25flash_attn_mask_to_KV_maxILi32EEvPK7__half2Piiii
	.p2align	8
	.type	_ZL25flash_attn_mask_to_KV_maxILi32EEvPK7__half2Piiii,@function
_ZL25flash_attn_mask_to_KV_maxILi32EEvPK7__half2Piiii: ; @_ZL25flash_attn_mask_to_KV_maxILi32EEvPK7__half2Piiii
; %bb.0:
	s_load_b128 s[4:7], s[0:1], 0x0
	s_mov_b32 s2, exec_lo
	v_cmpx_gt_u32_e32 32, v0
	s_cbranch_execz .LBB34_2
; %bb.1:
	v_dual_mov_b32 v2, 1 :: v_dual_lshlrev_b32 v1, 2, v0
	ds_store_b32 v1, v2
.LBB34_2:
	s_or_b32 exec_lo, exec_lo, s2
	s_clause 0x1
	s_load_b128 s[8:11], s[0:1], 0x10
	s_load_b32 s1, s[0:1], 0x20
	v_dual_mov_b32 v2, 0 :: v_dual_and_b32 v1, 31, v0
	v_lshrrev_b32_e32 v5, 3, v0
	s_waitcnt lgkmcnt(0)
	s_barrier
	s_delay_alu instid0(VALU_DEP_2) | instskip(SKIP_4) | instid1(SALU_CYCLE_1)
	v_lshlrev_b32_e32 v6, 2, v1
	buffer_gl0_inv
	s_mul_i32 s0, s14, s9
	s_mul_i32 s2, s15, s10
	s_lshl_b32 s0, s0, 5
	s_add_i32 s2, s2, s0
	v_cmp_eq_u32_e64 s0, 0, v1
	s_ashr_i32 s3, s2, 31
	s_delay_alu instid0(SALU_CYCLE_1) | instskip(NEXT) | instid1(SALU_CYCLE_1)
	s_lshl_b64 s[10:11], s[2:3], 2
	s_add_u32 s3, s4, s10
	s_addc_u32 s4, s5, s11
	s_lshl_b32 s5, s8, 8
	s_branch .LBB34_4
.LBB34_3:                               ;   in Loop: Header=BB34_4 Depth=1
	s_or_b32 exec_lo, exec_lo, s10
	s_waitcnt lgkmcnt(0)
	s_barrier
	buffer_gl0_inv
	ds_load_b32 v1, v6
	s_waitcnt lgkmcnt(0)
	s_barrier
	buffer_gl0_inv
	;;#ASMSTART
	;;#ASMEND
	v_cmp_ne_u32_e32 vcc_lo, 0, v1
	s_cmp_lg_u32 vcc_lo, exec_lo
	s_cselect_b32 s8, -1, 0
	s_delay_alu instid0(SALU_CYCLE_1)
	s_and_b32 vcc_lo, exec_lo, s8
	s_cbranch_vccnz .LBB34_132
.LBB34_4:                               ; =>This Inner Loop Header: Depth=1
	s_mov_b32 s2, s5
	s_addk_i32 s5, 0xff00
	s_delay_alu instid0(SALU_CYCLE_1)
	s_cmp_lt_i32 s5, 0
	s_cbranch_scc1 .LBB34_131
; %bb.5:                                ;   in Loop: Header=BB34_4 Depth=1
	s_lshr_b32 s8, s5, 1
	s_mov_b32 s10, 0
	v_add_nc_u32_e32 v1, s8, v0
	s_delay_alu instid0(VALU_DEP_1) | instskip(NEXT) | instid1(VALU_DEP_1)
	v_lshlrev_b64 v[3:4], 2, v[1:2]
	v_add_co_u32 v3, vcc_lo, s3, v3
	s_delay_alu instid0(VALU_DEP_2) | instskip(SKIP_4) | instid1(VALU_DEP_2)
	v_add_co_ci_u32_e32 v4, vcc_lo, s4, v4, vcc_lo
	global_load_b32 v3, v[3:4], off
	s_waitcnt vmcnt(0)
	v_lshrrev_b32_e32 v4, 16, v3
	v_cmp_class_f16_e64 s8, v3, 0x204
	v_and_b32_e32 v4, 0x7fff, v4
	s_delay_alu instid0(VALU_DEP_1) | instskip(NEXT) | instid1(VALU_DEP_3)
	v_cmp_eq_f16_e32 vcc_lo, 0x7c00, v4
	s_and_b32 s11, s8, vcc_lo
	s_delay_alu instid0(SALU_CYCLE_1)
	s_and_saveexec_b32 s8, s11
	s_cbranch_execz .LBB34_129
; %bb.6:                                ;   in Loop: Header=BB34_4 Depth=1
	v_add_nc_u32_e32 v3, s9, v1
	s_mov_b32 s11, 0
	s_delay_alu instid0(VALU_DEP_1) | instskip(NEXT) | instid1(VALU_DEP_1)
	v_ashrrev_i32_e32 v4, 31, v3
	v_lshlrev_b64 v[7:8], 2, v[3:4]
	s_delay_alu instid0(VALU_DEP_1) | instskip(NEXT) | instid1(VALU_DEP_2)
	v_add_co_u32 v7, vcc_lo, s3, v7
	v_add_co_ci_u32_e32 v8, vcc_lo, s4, v8, vcc_lo
	global_load_b32 v1, v[7:8], off
	s_waitcnt vmcnt(0)
	v_cmp_class_f16_e64 s12, v1, 0x204
	s_delay_alu instid0(VALU_DEP_1)
	s_and_saveexec_b32 s10, s12
	s_cbranch_execz .LBB34_128
; %bb.7:                                ;   in Loop: Header=BB34_4 Depth=1
	v_lshrrev_b32_e32 v1, 16, v1
	s_mov_b32 s12, 0
	s_delay_alu instid0(VALU_DEP_1) | instskip(NEXT) | instid1(VALU_DEP_1)
	v_cmp_class_f16_e64 s13, v1, 0x204
	s_and_saveexec_b32 s11, s13
	s_cbranch_execz .LBB34_127
; %bb.8:                                ;   in Loop: Header=BB34_4 Depth=1
	v_add_nc_u32_e32 v3, s9, v3
	s_mov_b32 s13, 0
	s_delay_alu instid0(VALU_DEP_1) | instskip(NEXT) | instid1(VALU_DEP_1)
	v_ashrrev_i32_e32 v4, 31, v3
	v_lshlrev_b64 v[7:8], 2, v[3:4]
	s_delay_alu instid0(VALU_DEP_1) | instskip(NEXT) | instid1(VALU_DEP_2)
	v_add_co_u32 v7, vcc_lo, s3, v7
	v_add_co_ci_u32_e32 v8, vcc_lo, s4, v8, vcc_lo
	global_load_b32 v1, v[7:8], off
	s_waitcnt vmcnt(0)
	v_cmp_class_f16_e64 s16, v1, 0x204
	s_delay_alu instid0(VALU_DEP_1)
	s_and_saveexec_b32 s12, s16
	s_cbranch_execz .LBB34_126
; %bb.9:                                ;   in Loop: Header=BB34_4 Depth=1
	v_lshrrev_b32_e32 v1, 16, v1
	s_mov_b32 s16, 0
	s_delay_alu instid0(VALU_DEP_1) | instskip(NEXT) | instid1(VALU_DEP_1)
	v_cmp_class_f16_e64 s17, v1, 0x204
	s_and_saveexec_b32 s13, s17
	s_cbranch_execz .LBB34_125
; %bb.10:                               ;   in Loop: Header=BB34_4 Depth=1
	v_add_nc_u32_e32 v3, s9, v3
	s_mov_b32 s17, 0
	s_delay_alu instid0(VALU_DEP_1) | instskip(NEXT) | instid1(VALU_DEP_1)
	v_ashrrev_i32_e32 v4, 31, v3
	v_lshlrev_b64 v[7:8], 2, v[3:4]
	s_delay_alu instid0(VALU_DEP_1) | instskip(NEXT) | instid1(VALU_DEP_2)
	v_add_co_u32 v7, vcc_lo, s3, v7
	v_add_co_ci_u32_e32 v8, vcc_lo, s4, v8, vcc_lo
	global_load_b32 v1, v[7:8], off
	s_waitcnt vmcnt(0)
	v_cmp_class_f16_e64 s18, v1, 0x204
	s_delay_alu instid0(VALU_DEP_1)
	s_and_saveexec_b32 s16, s18
	s_cbranch_execz .LBB34_124
; %bb.11:                               ;   in Loop: Header=BB34_4 Depth=1
	v_lshrrev_b32_e32 v1, 16, v1
	s_mov_b32 s18, 0
	s_delay_alu instid0(VALU_DEP_1) | instskip(NEXT) | instid1(VALU_DEP_1)
	v_cmp_class_f16_e64 s19, v1, 0x204
	s_and_saveexec_b32 s17, s19
	s_cbranch_execz .LBB34_123
; %bb.12:                               ;   in Loop: Header=BB34_4 Depth=1
	v_add_nc_u32_e32 v3, s9, v3
	s_mov_b32 s19, 0
	s_delay_alu instid0(VALU_DEP_1) | instskip(NEXT) | instid1(VALU_DEP_1)
	v_ashrrev_i32_e32 v4, 31, v3
	v_lshlrev_b64 v[7:8], 2, v[3:4]
	s_delay_alu instid0(VALU_DEP_1) | instskip(NEXT) | instid1(VALU_DEP_2)
	v_add_co_u32 v7, vcc_lo, s3, v7
	v_add_co_ci_u32_e32 v8, vcc_lo, s4, v8, vcc_lo
	global_load_b32 v1, v[7:8], off
	s_waitcnt vmcnt(0)
	v_cmp_class_f16_e64 s20, v1, 0x204
	s_delay_alu instid0(VALU_DEP_1)
	s_and_saveexec_b32 s18, s20
	s_cbranch_execz .LBB34_122
; %bb.13:                               ;   in Loop: Header=BB34_4 Depth=1
	;; [unrolled: 22-line block ×28, first 2 shown]
	v_lshrrev_b32_e32 v1, 16, v1
	s_mov_b32 s73, 0
	s_delay_alu instid0(VALU_DEP_1) | instskip(NEXT) | instid1(VALU_DEP_1)
	v_cmp_class_f16_e64 s74, v1, 0x204
	s_and_saveexec_b32 s72, s74
	s_cbranch_execz .LBB34_69
; %bb.66:                               ;   in Loop: Header=BB34_4 Depth=1
	v_add_nc_u32_e32 v3, s9, v3
	s_delay_alu instid0(VALU_DEP_1) | instskip(NEXT) | instid1(VALU_DEP_1)
	v_ashrrev_i32_e32 v4, 31, v3
	v_lshlrev_b64 v[3:4], 2, v[3:4]
	s_delay_alu instid0(VALU_DEP_1) | instskip(NEXT) | instid1(VALU_DEP_2)
	v_add_co_u32 v3, vcc_lo, s3, v3
	v_add_co_ci_u32_e32 v4, vcc_lo, s4, v4, vcc_lo
	global_load_b32 v1, v[3:4], off
	s_waitcnt vmcnt(0)
	v_cmp_class_f16_e64 s75, v1, 0x204
	s_delay_alu instid0(VALU_DEP_1)
	s_and_saveexec_b32 s74, s75
; %bb.67:                               ;   in Loop: Header=BB34_4 Depth=1
	v_lshrrev_b32_e32 v1, 16, v1
	s_delay_alu instid0(VALU_DEP_1) | instskip(NEXT) | instid1(VALU_DEP_1)
	v_cmp_class_f16_e64 s73, v1, 0x204
	s_and_b32 s73, s73, exec_lo
; %bb.68:                               ;   in Loop: Header=BB34_4 Depth=1
	s_or_b32 exec_lo, exec_lo, s74
	s_delay_alu instid0(SALU_CYCLE_1)
	s_and_b32 s73, s73, exec_lo
.LBB34_69:                              ;   in Loop: Header=BB34_4 Depth=1
	s_or_b32 exec_lo, exec_lo, s72
	s_delay_alu instid0(SALU_CYCLE_1)
	s_and_b32 s72, s73, exec_lo
.LBB34_70:                              ;   in Loop: Header=BB34_4 Depth=1
	s_or_b32 exec_lo, exec_lo, s71
	s_delay_alu instid0(SALU_CYCLE_1)
	s_and_b32 s71, s72, exec_lo
.LBB34_71:                              ;   in Loop: Header=BB34_4 Depth=1
	s_or_b32 exec_lo, exec_lo, s70
	s_delay_alu instid0(SALU_CYCLE_1)
	s_and_b32 s70, s71, exec_lo
.LBB34_72:                              ;   in Loop: Header=BB34_4 Depth=1
	s_or_b32 exec_lo, exec_lo, s69
	s_delay_alu instid0(SALU_CYCLE_1)
	s_and_b32 s69, s70, exec_lo
.LBB34_73:                              ;   in Loop: Header=BB34_4 Depth=1
	s_or_b32 exec_lo, exec_lo, s68
	s_delay_alu instid0(SALU_CYCLE_1)
	s_and_b32 s68, s69, exec_lo
.LBB34_74:                              ;   in Loop: Header=BB34_4 Depth=1
	s_or_b32 exec_lo, exec_lo, s67
	s_delay_alu instid0(SALU_CYCLE_1)
	s_and_b32 s67, s68, exec_lo
.LBB34_75:                              ;   in Loop: Header=BB34_4 Depth=1
	s_or_b32 exec_lo, exec_lo, s66
	s_delay_alu instid0(SALU_CYCLE_1)
	s_and_b32 s66, s67, exec_lo
.LBB34_76:                              ;   in Loop: Header=BB34_4 Depth=1
	s_or_b32 exec_lo, exec_lo, s65
	s_delay_alu instid0(SALU_CYCLE_1)
	s_and_b32 s65, s66, exec_lo
.LBB34_77:                              ;   in Loop: Header=BB34_4 Depth=1
	s_or_b32 exec_lo, exec_lo, s64
	s_delay_alu instid0(SALU_CYCLE_1)
	s_and_b32 s64, s65, exec_lo
.LBB34_78:                              ;   in Loop: Header=BB34_4 Depth=1
	s_or_b32 exec_lo, exec_lo, s63
	s_delay_alu instid0(SALU_CYCLE_1)
	s_and_b32 s63, s64, exec_lo
.LBB34_79:                              ;   in Loop: Header=BB34_4 Depth=1
	s_or_b32 exec_lo, exec_lo, s62
	s_delay_alu instid0(SALU_CYCLE_1)
	s_and_b32 s62, s63, exec_lo
.LBB34_80:                              ;   in Loop: Header=BB34_4 Depth=1
	s_or_b32 exec_lo, exec_lo, s61
	s_delay_alu instid0(SALU_CYCLE_1)
	s_and_b32 s61, s62, exec_lo
.LBB34_81:                              ;   in Loop: Header=BB34_4 Depth=1
	s_or_b32 exec_lo, exec_lo, s60
	s_delay_alu instid0(SALU_CYCLE_1)
	s_and_b32 s60, s61, exec_lo
.LBB34_82:                              ;   in Loop: Header=BB34_4 Depth=1
	s_or_b32 exec_lo, exec_lo, s59
	s_delay_alu instid0(SALU_CYCLE_1)
	s_and_b32 s59, s60, exec_lo
.LBB34_83:                              ;   in Loop: Header=BB34_4 Depth=1
	s_or_b32 exec_lo, exec_lo, s58
	s_delay_alu instid0(SALU_CYCLE_1)
	s_and_b32 s58, s59, exec_lo
.LBB34_84:                              ;   in Loop: Header=BB34_4 Depth=1
	s_or_b32 exec_lo, exec_lo, s57
	s_delay_alu instid0(SALU_CYCLE_1)
	s_and_b32 s57, s58, exec_lo
.LBB34_85:                              ;   in Loop: Header=BB34_4 Depth=1
	s_or_b32 exec_lo, exec_lo, s56
	s_delay_alu instid0(SALU_CYCLE_1)
	s_and_b32 s56, s57, exec_lo
.LBB34_86:                              ;   in Loop: Header=BB34_4 Depth=1
	s_or_b32 exec_lo, exec_lo, s55
	s_delay_alu instid0(SALU_CYCLE_1)
	s_and_b32 s55, s56, exec_lo
.LBB34_87:                              ;   in Loop: Header=BB34_4 Depth=1
	s_or_b32 exec_lo, exec_lo, s54
	s_delay_alu instid0(SALU_CYCLE_1)
	s_and_b32 s54, s55, exec_lo
.LBB34_88:                              ;   in Loop: Header=BB34_4 Depth=1
	s_or_b32 exec_lo, exec_lo, s53
	s_delay_alu instid0(SALU_CYCLE_1)
	s_and_b32 s53, s54, exec_lo
.LBB34_89:                              ;   in Loop: Header=BB34_4 Depth=1
	s_or_b32 exec_lo, exec_lo, s52
	s_delay_alu instid0(SALU_CYCLE_1)
	s_and_b32 s52, s53, exec_lo
.LBB34_90:                              ;   in Loop: Header=BB34_4 Depth=1
	s_or_b32 exec_lo, exec_lo, s51
	s_delay_alu instid0(SALU_CYCLE_1)
	s_and_b32 s51, s52, exec_lo
.LBB34_91:                              ;   in Loop: Header=BB34_4 Depth=1
	s_or_b32 exec_lo, exec_lo, s50
	s_delay_alu instid0(SALU_CYCLE_1)
	s_and_b32 s50, s51, exec_lo
.LBB34_92:                              ;   in Loop: Header=BB34_4 Depth=1
	s_or_b32 exec_lo, exec_lo, s49
	s_delay_alu instid0(SALU_CYCLE_1)
	s_and_b32 s49, s50, exec_lo
.LBB34_93:                              ;   in Loop: Header=BB34_4 Depth=1
	s_or_b32 exec_lo, exec_lo, s48
	s_delay_alu instid0(SALU_CYCLE_1)
	s_and_b32 s48, s49, exec_lo
.LBB34_94:                              ;   in Loop: Header=BB34_4 Depth=1
	s_or_b32 exec_lo, exec_lo, s47
	s_delay_alu instid0(SALU_CYCLE_1)
	s_and_b32 s47, s48, exec_lo
.LBB34_95:                              ;   in Loop: Header=BB34_4 Depth=1
	s_or_b32 exec_lo, exec_lo, s46
	s_delay_alu instid0(SALU_CYCLE_1)
	s_and_b32 s46, s47, exec_lo
.LBB34_96:                              ;   in Loop: Header=BB34_4 Depth=1
	s_or_b32 exec_lo, exec_lo, s45
	s_delay_alu instid0(SALU_CYCLE_1)
	s_and_b32 s45, s46, exec_lo
.LBB34_97:                              ;   in Loop: Header=BB34_4 Depth=1
	s_or_b32 exec_lo, exec_lo, s44
	s_delay_alu instid0(SALU_CYCLE_1)
	s_and_b32 s44, s45, exec_lo
.LBB34_98:                              ;   in Loop: Header=BB34_4 Depth=1
	s_or_b32 exec_lo, exec_lo, s43
	s_delay_alu instid0(SALU_CYCLE_1)
	s_and_b32 s43, s44, exec_lo
.LBB34_99:                              ;   in Loop: Header=BB34_4 Depth=1
	s_or_b32 exec_lo, exec_lo, s42
	s_delay_alu instid0(SALU_CYCLE_1)
	s_and_b32 s42, s43, exec_lo
.LBB34_100:                             ;   in Loop: Header=BB34_4 Depth=1
	s_or_b32 exec_lo, exec_lo, s41
	s_delay_alu instid0(SALU_CYCLE_1)
	s_and_b32 s41, s42, exec_lo
.LBB34_101:                             ;   in Loop: Header=BB34_4 Depth=1
	s_or_b32 exec_lo, exec_lo, s40
	s_delay_alu instid0(SALU_CYCLE_1)
	s_and_b32 s40, s41, exec_lo
.LBB34_102:                             ;   in Loop: Header=BB34_4 Depth=1
	s_or_b32 exec_lo, exec_lo, s39
	s_delay_alu instid0(SALU_CYCLE_1)
	s_and_b32 s39, s40, exec_lo
.LBB34_103:                             ;   in Loop: Header=BB34_4 Depth=1
	s_or_b32 exec_lo, exec_lo, s38
	s_delay_alu instid0(SALU_CYCLE_1)
	s_and_b32 s38, s39, exec_lo
.LBB34_104:                             ;   in Loop: Header=BB34_4 Depth=1
	s_or_b32 exec_lo, exec_lo, s37
	s_delay_alu instid0(SALU_CYCLE_1)
	s_and_b32 s37, s38, exec_lo
.LBB34_105:                             ;   in Loop: Header=BB34_4 Depth=1
	s_or_b32 exec_lo, exec_lo, s36
	s_delay_alu instid0(SALU_CYCLE_1)
	s_and_b32 s36, s37, exec_lo
.LBB34_106:                             ;   in Loop: Header=BB34_4 Depth=1
	s_or_b32 exec_lo, exec_lo, s35
	s_delay_alu instid0(SALU_CYCLE_1)
	s_and_b32 s35, s36, exec_lo
.LBB34_107:                             ;   in Loop: Header=BB34_4 Depth=1
	s_or_b32 exec_lo, exec_lo, s34
	s_delay_alu instid0(SALU_CYCLE_1)
	s_and_b32 s34, s35, exec_lo
.LBB34_108:                             ;   in Loop: Header=BB34_4 Depth=1
	s_or_b32 exec_lo, exec_lo, s33
	s_delay_alu instid0(SALU_CYCLE_1)
	s_and_b32 s33, s34, exec_lo
.LBB34_109:                             ;   in Loop: Header=BB34_4 Depth=1
	s_or_b32 exec_lo, exec_lo, s31
	s_delay_alu instid0(SALU_CYCLE_1)
	s_and_b32 s31, s33, exec_lo
.LBB34_110:                             ;   in Loop: Header=BB34_4 Depth=1
	s_or_b32 exec_lo, exec_lo, s30
	s_delay_alu instid0(SALU_CYCLE_1)
	s_and_b32 s30, s31, exec_lo
.LBB34_111:                             ;   in Loop: Header=BB34_4 Depth=1
	s_or_b32 exec_lo, exec_lo, s29
	s_delay_alu instid0(SALU_CYCLE_1)
	s_and_b32 s29, s30, exec_lo
.LBB34_112:                             ;   in Loop: Header=BB34_4 Depth=1
	s_or_b32 exec_lo, exec_lo, s28
	s_delay_alu instid0(SALU_CYCLE_1)
	s_and_b32 s28, s29, exec_lo
.LBB34_113:                             ;   in Loop: Header=BB34_4 Depth=1
	s_or_b32 exec_lo, exec_lo, s27
	s_delay_alu instid0(SALU_CYCLE_1)
	s_and_b32 s27, s28, exec_lo
.LBB34_114:                             ;   in Loop: Header=BB34_4 Depth=1
	s_or_b32 exec_lo, exec_lo, s26
	s_delay_alu instid0(SALU_CYCLE_1)
	s_and_b32 s26, s27, exec_lo
.LBB34_115:                             ;   in Loop: Header=BB34_4 Depth=1
	s_or_b32 exec_lo, exec_lo, s25
	s_delay_alu instid0(SALU_CYCLE_1)
	s_and_b32 s25, s26, exec_lo
.LBB34_116:                             ;   in Loop: Header=BB34_4 Depth=1
	s_or_b32 exec_lo, exec_lo, s24
	s_delay_alu instid0(SALU_CYCLE_1)
	s_and_b32 s24, s25, exec_lo
.LBB34_117:                             ;   in Loop: Header=BB34_4 Depth=1
	s_or_b32 exec_lo, exec_lo, s23
	s_delay_alu instid0(SALU_CYCLE_1)
	s_and_b32 s23, s24, exec_lo
.LBB34_118:                             ;   in Loop: Header=BB34_4 Depth=1
	s_or_b32 exec_lo, exec_lo, s22
	s_delay_alu instid0(SALU_CYCLE_1)
	s_and_b32 s22, s23, exec_lo
.LBB34_119:                             ;   in Loop: Header=BB34_4 Depth=1
	s_or_b32 exec_lo, exec_lo, s21
	s_delay_alu instid0(SALU_CYCLE_1)
	s_and_b32 s21, s22, exec_lo
.LBB34_120:                             ;   in Loop: Header=BB34_4 Depth=1
	s_or_b32 exec_lo, exec_lo, s20
	s_delay_alu instid0(SALU_CYCLE_1)
	s_and_b32 s20, s21, exec_lo
.LBB34_121:                             ;   in Loop: Header=BB34_4 Depth=1
	s_or_b32 exec_lo, exec_lo, s19
	s_delay_alu instid0(SALU_CYCLE_1)
	s_and_b32 s19, s20, exec_lo
.LBB34_122:                             ;   in Loop: Header=BB34_4 Depth=1
	s_or_b32 exec_lo, exec_lo, s18
	s_delay_alu instid0(SALU_CYCLE_1)
	s_and_b32 s18, s19, exec_lo
.LBB34_123:                             ;   in Loop: Header=BB34_4 Depth=1
	s_or_b32 exec_lo, exec_lo, s17
	s_delay_alu instid0(SALU_CYCLE_1)
	s_and_b32 s17, s18, exec_lo
.LBB34_124:                             ;   in Loop: Header=BB34_4 Depth=1
	s_or_b32 exec_lo, exec_lo, s16
	s_delay_alu instid0(SALU_CYCLE_1)
	s_and_b32 s16, s17, exec_lo
.LBB34_125:                             ;   in Loop: Header=BB34_4 Depth=1
	s_or_b32 exec_lo, exec_lo, s13
	s_delay_alu instid0(SALU_CYCLE_1)
	s_and_b32 s13, s16, exec_lo
.LBB34_126:                             ;   in Loop: Header=BB34_4 Depth=1
	s_or_b32 exec_lo, exec_lo, s12
	s_delay_alu instid0(SALU_CYCLE_1)
	s_and_b32 s12, s13, exec_lo
.LBB34_127:                             ;   in Loop: Header=BB34_4 Depth=1
	s_or_b32 exec_lo, exec_lo, s11
	s_delay_alu instid0(SALU_CYCLE_1)
	s_and_b32 s11, s12, exec_lo
.LBB34_128:                             ;   in Loop: Header=BB34_4 Depth=1
	s_or_b32 exec_lo, exec_lo, s10
	s_delay_alu instid0(SALU_CYCLE_1)
	s_and_b32 s10, s11, exec_lo
.LBB34_129:                             ;   in Loop: Header=BB34_4 Depth=1
	s_or_b32 exec_lo, exec_lo, s8
	v_cndmask_b32_e64 v1, 0, 1, s10
	;;#ASMSTART
	;;#ASMEND
	s_delay_alu instid0(VALU_DEP_1)
	v_cmp_ne_u32_e32 vcc_lo, 0, v1
	s_mov_b32 s8, exec_lo
	s_and_saveexec_b32 s10, s0
	s_cbranch_execz .LBB34_3
; %bb.130:                              ;   in Loop: Header=BB34_4 Depth=1
	s_cmp_eq_u32 vcc_lo, s8
	s_cselect_b32 s8, -1, 0
	s_delay_alu instid0(SALU_CYCLE_1)
	v_cndmask_b32_e64 v1, 0, 1, s8
	ds_store_b32 v5, v1
	s_branch .LBB34_3
.LBB34_131:                             ;   in Loop: Header=BB34_4 Depth=1
                                        ; implicit-def: $sgpr5
	s_cbranch_execz .LBB34_4
.LBB34_132:
	s_mov_b32 s0, exec_lo
	v_cmpx_eq_u32_e32 0, v0
	s_cbranch_execz .LBB34_134
; %bb.133:
	s_mul_i32 s0, s1, s15
	v_dual_mov_b32 v0, 0 :: v_dual_mov_b32 v1, s2
	s_add_i32 s0, s0, s14
	s_delay_alu instid0(SALU_CYCLE_1) | instskip(NEXT) | instid1(SALU_CYCLE_1)
	s_ashr_i32 s1, s0, 31
	s_lshl_b64 s[0:1], s[0:1], 2
	s_delay_alu instid0(SALU_CYCLE_1)
	s_add_u32 s0, s6, s0
	s_addc_u32 s1, s7, s1
	global_store_b32 v0, v1, s[0:1]
.LBB34_134:
	s_nop 0
	s_sendmsg sendmsg(MSG_DEALLOC_VGPRS)
	s_endpgm
	.section	.rodata,"a",@progbits
	.p2align	6, 0x0
	.amdhsa_kernel _ZL25flash_attn_mask_to_KV_maxILi32EEvPK7__half2Piiii
		.amdhsa_group_segment_fixed_size 128
		.amdhsa_private_segment_fixed_size 0
		.amdhsa_kernarg_size 288
		.amdhsa_user_sgpr_count 14
		.amdhsa_user_sgpr_dispatch_ptr 0
		.amdhsa_user_sgpr_queue_ptr 0
		.amdhsa_user_sgpr_kernarg_segment_ptr 1
		.amdhsa_user_sgpr_dispatch_id 0
		.amdhsa_user_sgpr_private_segment_size 0
		.amdhsa_wavefront_size32 1
		.amdhsa_uses_dynamic_stack 0
		.amdhsa_enable_private_segment 0
		.amdhsa_system_sgpr_workgroup_id_x 1
		.amdhsa_system_sgpr_workgroup_id_y 1
		.amdhsa_system_sgpr_workgroup_id_z 0
		.amdhsa_system_sgpr_workgroup_info 0
		.amdhsa_system_vgpr_workitem_id 0
		.amdhsa_next_free_vgpr 9
		.amdhsa_next_free_sgpr 76
		.amdhsa_reserve_vcc 1
		.amdhsa_float_round_mode_32 0
		.amdhsa_float_round_mode_16_64 0
		.amdhsa_float_denorm_mode_32 3
		.amdhsa_float_denorm_mode_16_64 3
		.amdhsa_dx10_clamp 1
		.amdhsa_ieee_mode 1
		.amdhsa_fp16_overflow 0
		.amdhsa_workgroup_processor_mode 1
		.amdhsa_memory_ordered 1
		.amdhsa_forward_progress 0
		.amdhsa_shared_vgpr_count 0
		.amdhsa_exception_fp_ieee_invalid_op 0
		.amdhsa_exception_fp_denorm_src 0
		.amdhsa_exception_fp_ieee_div_zero 0
		.amdhsa_exception_fp_ieee_overflow 0
		.amdhsa_exception_fp_ieee_underflow 0
		.amdhsa_exception_fp_ieee_inexact 0
		.amdhsa_exception_int_div_zero 0
	.end_amdhsa_kernel
	.section	.text._ZL25flash_attn_mask_to_KV_maxILi32EEvPK7__half2Piiii,"axG",@progbits,_ZL25flash_attn_mask_to_KV_maxILi32EEvPK7__half2Piiii,comdat
.Lfunc_end34:
	.size	_ZL25flash_attn_mask_to_KV_maxILi32EEvPK7__half2Piiii, .Lfunc_end34-_ZL25flash_attn_mask_to_KV_maxILi32EEvPK7__half2Piiii
                                        ; -- End function
	.section	.AMDGPU.csdata,"",@progbits
; Kernel info:
; codeLenInByte = 4544
; NumSgprs: 78
; NumVgprs: 9
; ScratchSize: 0
; MemoryBound: 0
; FloatMode: 240
; IeeeMode: 1
; LDSByteSize: 128 bytes/workgroup (compile time only)
; SGPRBlocks: 9
; VGPRBlocks: 1
; NumSGPRsForWavesPerEU: 78
; NumVGPRsForWavesPerEU: 9
; Occupancy: 16
; WaveLimiterHint : 0
; COMPUTE_PGM_RSRC2:SCRATCH_EN: 0
; COMPUTE_PGM_RSRC2:USER_SGPR: 14
; COMPUTE_PGM_RSRC2:TRAP_HANDLER: 0
; COMPUTE_PGM_RSRC2:TGID_X_EN: 1
; COMPUTE_PGM_RSRC2:TGID_Y_EN: 1
; COMPUTE_PGM_RSRC2:TGID_Z_EN: 0
; COMPUTE_PGM_RSRC2:TIDIG_COMP_CNT: 0
	.section	.text._ZL33flash_attn_stream_k_fixup_uniformILi64ELi32ELi2EEvPfPK15HIP_vector_typeIfLj2EEiiiiiiS1_IjLj3EES5_S5_,"axG",@progbits,_ZL33flash_attn_stream_k_fixup_uniformILi64ELi32ELi2EEvPfPK15HIP_vector_typeIfLj2EEiiiiiiS1_IjLj3EES5_S5_,comdat
	.globl	_ZL33flash_attn_stream_k_fixup_uniformILi64ELi32ELi2EEvPfPK15HIP_vector_typeIfLj2EEiiiiiiS1_IjLj3EES5_S5_ ; -- Begin function _ZL33flash_attn_stream_k_fixup_uniformILi64ELi32ELi2EEvPfPK15HIP_vector_typeIfLj2EEiiiiiiS1_IjLj3EES5_S5_
	.p2align	8
	.type	_ZL33flash_attn_stream_k_fixup_uniformILi64ELi32ELi2EEvPfPK15HIP_vector_typeIfLj2EEiiiiiiS1_IjLj3EES5_S5_,@function
_ZL33flash_attn_stream_k_fixup_uniformILi64ELi32ELi2EEvPfPK15HIP_vector_typeIfLj2EEiiiiiiS1_IjLj3EES5_S5_: ; @_ZL33flash_attn_stream_k_fixup_uniformILi64ELi32ELi2EEvPfPK15HIP_vector_typeIfLj2EEiiiiiiS1_IjLj3EES5_S5_
; %bb.0:
	s_clause 0x1
	s_load_b256 s[4:11], s[0:1], 0x1c
	s_load_b128 s[16:19], s[0:1], 0x3c
	s_waitcnt lgkmcnt(0)
	s_mul_hi_u32 s2, s7, s13
	s_delay_alu instid0(SALU_CYCLE_1) | instskip(NEXT) | instid1(SALU_CYCLE_1)
	s_add_i32 s2, s13, s2
	s_lshr_b32 s2, s2, s8
	s_delay_alu instid0(SALU_CYCLE_1) | instskip(SKIP_2) | instid1(SALU_CYCLE_1)
	s_mul_i32 s3, s2, s9
	s_load_b64 s[8:9], s[0:1], 0x10
	s_sub_i32 s7, s13, s3
	s_mul_hi_u32 s3, s7, s10
	s_delay_alu instid0(SALU_CYCLE_1) | instskip(NEXT) | instid1(SALU_CYCLE_1)
	s_add_i32 s3, s7, s3
	s_lshr_b32 s3, s3, s11
	s_delay_alu instid0(SALU_CYCLE_1) | instskip(NEXT) | instid1(SALU_CYCLE_1)
	s_mul_i32 s10, s3, s16
	s_sub_i32 s7, s7, s10
	s_delay_alu instid0(SALU_CYCLE_1) | instskip(NEXT) | instid1(SALU_CYCLE_1)
	s_mul_hi_u32 s10, s7, s17
	s_add_i32 s10, s7, s10
	s_delay_alu instid0(SALU_CYCLE_1) | instskip(NEXT) | instid1(SALU_CYCLE_1)
	s_lshr_b32 s10, s10, s18
	s_mul_i32 s11, s10, s19
	s_lshl_b32 s10, s10, 1
	s_sub_i32 s7, s7, s11
	s_delay_alu instid0(SALU_CYCLE_1) | instskip(NEXT) | instid1(SALU_CYCLE_1)
	s_lshl_b32 s11, s7, 5
	s_add_i32 s11, s11, s14
	s_waitcnt lgkmcnt(0)
	s_cmp_lt_i32 s11, s8
	s_cselect_b32 s11, -1, 0
	s_add_i32 s12, s10, s15
	s_delay_alu instid0(SALU_CYCLE_1) | instskip(SKIP_1) | instid1(SALU_CYCLE_1)
	s_cmp_lt_i32 s12, s5
	s_cselect_b32 s12, -1, 0
	s_and_b32 s11, s11, s12
	s_delay_alu instid0(SALU_CYCLE_1)
	s_and_not1_b32 vcc_lo, exec_lo, s11
	s_cbranch_vccnz .LBB35_6
; %bb.1:
	s_mul_i32 s2, s2, s8
	s_mul_i32 s5, s3, s5
	s_add_i32 s2, s2, s14
	s_mul_i32 s7, s9, s7
	s_mul_i32 s2, s2, s9
	s_lshl_b32 s7, s7, 11
	s_add_i32 s8, s2, s15
	s_load_b128 s[0:3], s[0:1], 0x0
	s_add_i32 s5, s8, s5
	s_lshl_b32 s9, s14, 1
	s_add_i32 s5, s5, s10
	s_delay_alu instid0(SALU_CYCLE_1) | instskip(NEXT) | instid1(SALU_CYCLE_1)
	s_lshl_b32 s5, s5, 6
	s_add_i32 s7, s7, s5
	s_mul_i32 s5, s13, s6
	v_or_b32_e32 v1, s7, v0
	s_add_i32 s10, s5, s6
	s_delay_alu instid0(VALU_DEP_1) | instskip(NEXT) | instid1(VALU_DEP_1)
	v_ashrrev_i32_e32 v2, 31, v1
	v_lshlrev_b64 v[1:2], 2, v[1:2]
	s_waitcnt lgkmcnt(0)
	s_delay_alu instid0(VALU_DEP_1) | instskip(NEXT) | instid1(VALU_DEP_2)
	v_add_co_u32 v1, vcc_lo, s0, v1
	v_add_co_ci_u32_e32 v2, vcc_lo, s1, v2, vcc_lo
	s_add_i32 s0, s9, s15
	s_lshl_b32 s1, s10, 6
	s_delay_alu instid0(SALU_CYCLE_1) | instskip(SKIP_2) | instid1(SALU_CYCLE_1)
	s_add_i32 s0, s0, s1
	global_load_b32 v5, v[1:2], off
	s_sub_i32 s0, s0, 64
	s_ashr_i32 s1, s0, 31
	s_delay_alu instid0(SALU_CYCLE_1) | instskip(NEXT) | instid1(SALU_CYCLE_1)
	s_lshl_b64 s[0:1], s[0:1], 3
	s_add_u32 s0, s2, s0
	s_addc_u32 s1, s3, s1
	s_add_i32 s7, s10, -2
	s_load_b32 s11, s[0:1], 0x4
	s_cmp_lt_i32 s7, s5
	s_cbranch_scc1 .LBB35_4
; %bb.2:
	s_lshl_b32 s16, s4, 8
	s_load_b32 s12, s[0:1], 0x0
	s_ashr_i32 s17, s16, 31
	s_delay_alu instid0(SALU_CYCLE_1) | instskip(NEXT) | instid1(SALU_CYCLE_1)
	s_lshl_b64 s[0:1], s[16:17], 2
	s_add_u32 s7, s2, s0
	s_addc_u32 s8, s3, s1
	s_add_i32 s13, s13, 1
	s_lshl_b32 s0, s14, 7
	s_lshl_b32 s1, s15, 6
	s_mul_i32 s6, s6, s13
	s_add_i32 s0, s1, s0
	s_lshl_b32 s1, s6, 12
	s_delay_alu instid0(SALU_CYCLE_1)
	s_add_i32 s0, s0, s1
	s_lshl_b32 s1, s6, 6
	v_or_b32_e32 v0, s0, v0
	s_lshl_b32 s0, s4, 6
	s_add_i32 s1, s15, s1
	s_waitcnt lgkmcnt(0)
	v_mov_b32_e32 v6, s11
	s_add_i32 s0, s1, s0
	v_dual_mov_b32 v0, s12 :: v_dual_add_nc_u32 v3, 0xffffe000, v0
	s_add_i32 s0, s0, s9
	s_add_i32 s4, s10, -1
	s_addk_i32 s0, 0xff80
.LBB35_3:                               ; =>This Inner Loop Header: Depth=1
	s_delay_alu instid0(VALU_DEP_1) | instskip(SKIP_1) | instid1(SALU_CYCLE_1)
	v_ashrrev_i32_e32 v4, 31, v3
	s_ashr_i32 s1, s0, 31
	s_lshl_b64 s[10:11], s[0:1], 3
	s_delay_alu instid0(SALU_CYCLE_1) | instskip(NEXT) | instid1(VALU_DEP_1)
	s_add_u32 s10, s2, s10
	v_lshlrev_b64 v[7:8], 2, v[3:4]
	s_addc_u32 s11, s3, s11
	s_add_i32 s4, s4, -1
	s_sub_i32 s0, s0, 64
	s_cmp_le_i32 s4, s5
	s_load_b64 s[10:11], s[10:11], 0x0
	v_add_co_u32 v7, vcc_lo, s7, v7
	v_add_co_ci_u32_e32 v8, vcc_lo, s8, v8, vcc_lo
	global_load_b32 v4, v[7:8], off
	v_max_f32_e32 v7, v0, v0
	s_waitcnt lgkmcnt(0)
	v_max_f32_e64 v8, s10, s10
	s_delay_alu instid0(VALU_DEP_1) | instskip(NEXT) | instid1(VALU_DEP_1)
	v_max_f32_e32 v7, v7, v8
	v_sub_f32_e32 v8, s10, v7
	s_delay_alu instid0(VALU_DEP_1) | instskip(NEXT) | instid1(VALU_DEP_1)
	v_dual_sub_f32 v0, v0, v7 :: v_dual_mul_f32 v9, 0x3fb8aa3b, v8
	v_fma_f32 v10, 0x3fb8aa3b, v8, -v9
	v_rndne_f32_e32 v11, v9
	s_delay_alu instid0(VALU_DEP_3) | instskip(NEXT) | instid1(VALU_DEP_2)
	v_mul_f32_e32 v12, 0x3fb8aa3b, v0
	v_dual_fmac_f32 v10, 0x32a5705f, v8 :: v_dual_sub_f32 v9, v9, v11
	v_cvt_i32_f32_e32 v11, v11
	s_delay_alu instid0(VALU_DEP_3) | instskip(SKIP_1) | instid1(VALU_DEP_4)
	v_fma_f32 v13, 0x3fb8aa3b, v0, -v12
	v_rndne_f32_e32 v14, v12
	v_add_f32_e32 v9, v9, v10
	v_cmp_ngt_f32_e32 vcc_lo, 0xc2ce8ed0, v8
	s_delay_alu instid0(VALU_DEP_3) | instskip(NEXT) | instid1(VALU_DEP_3)
	v_sub_f32_e32 v10, v12, v14
	v_exp_f32_e32 v9, v9
	s_waitcnt_depctr 0xfff
	v_ldexp_f32 v9, v9, v11
	v_cvt_i32_f32_e32 v11, v14
	s_delay_alu instid0(VALU_DEP_2) | instskip(SKIP_1) | instid1(VALU_DEP_2)
	v_cndmask_b32_e32 v9, 0, v9, vcc_lo
	v_cmp_nlt_f32_e32 vcc_lo, 0x42b17218, v8
	v_cndmask_b32_e32 v9, 0x7f800000, v9, vcc_lo
	v_cmp_ngt_f32_e32 vcc_lo, 0xc2ce8ed0, v0
	v_fmac_f32_e32 v13, 0x32a5705f, v0
	s_delay_alu instid0(VALU_DEP_1) | instskip(NEXT) | instid1(VALU_DEP_1)
	v_add_f32_e32 v10, v10, v13
	v_exp_f32_e32 v10, v10
	s_waitcnt_depctr 0xfff
	v_ldexp_f32 v10, v10, v11
	s_delay_alu instid0(VALU_DEP_1)
	v_dual_mov_b32 v11, v6 :: v_dual_cndmask_b32 v10, 0, v10
	v_cmp_le_f32_e32 vcc_lo, 0xc1a00000, v8
	s_waitcnt vmcnt(1)
	v_dual_cndmask_b32 v8, 0, v9 :: v_dual_mov_b32 v9, v5
	v_cmp_nlt_f32_e32 vcc_lo, 0x42b17218, v0
	v_cndmask_b32_e32 v5, 0x7f800000, v10, vcc_lo
	s_delay_alu instid0(VALU_DEP_3) | instskip(SKIP_2) | instid1(VALU_DEP_3)
	v_mul_f32_e32 v10, s11, v8
	v_cmp_le_f32_e32 vcc_lo, 0xc1a00000, v0
	v_mov_b32_e32 v0, v7
	v_mov_b32_e32 v6, v10
	s_waitcnt vmcnt(0)
	v_dual_cndmask_b32 v12, 0, v5 :: v_dual_mul_f32 v5, v4, v8
	s_delay_alu instid0(VALU_DEP_1) | instskip(NEXT) | instid1(VALU_DEP_2)
	v_dual_fmac_f32 v6, v11, v12 :: v_dual_add_nc_u32 v3, 0xfffff000, v3
	v_fmac_f32_e32 v5, v9, v12
	s_cbranch_scc0 .LBB35_3
	s_branch .LBB35_5
.LBB35_4:
	s_waitcnt lgkmcnt(0)
	v_mov_b32_e32 v6, s11
.LBB35_5:
	s_waitcnt vmcnt(0)
	s_delay_alu instid0(VALU_DEP_1) | instskip(NEXT) | instid1(VALU_DEP_1)
	v_div_scale_f32 v0, null, v6, v6, v5
	v_rcp_f32_e32 v3, v0
	s_waitcnt_depctr 0xfff
	v_fma_f32 v4, -v0, v3, 1.0
	s_delay_alu instid0(VALU_DEP_1) | instskip(SKIP_1) | instid1(VALU_DEP_1)
	v_fmac_f32_e32 v3, v4, v3
	v_div_scale_f32 v4, vcc_lo, v5, v6, v5
	v_mul_f32_e32 v7, v4, v3
	s_delay_alu instid0(VALU_DEP_1) | instskip(NEXT) | instid1(VALU_DEP_1)
	v_fma_f32 v8, -v0, v7, v4
	v_fmac_f32_e32 v7, v8, v3
	s_delay_alu instid0(VALU_DEP_1) | instskip(NEXT) | instid1(VALU_DEP_1)
	v_fma_f32 v0, -v0, v7, v4
	v_div_fmas_f32 v0, v0, v3, v7
	s_delay_alu instid0(VALU_DEP_1)
	v_div_fixup_f32 v0, v0, v6, v5
	global_store_b32 v[1:2], v0, off
.LBB35_6:
	s_nop 0
	s_sendmsg sendmsg(MSG_DEALLOC_VGPRS)
	s_endpgm
	.section	.rodata,"a",@progbits
	.p2align	6, 0x0
	.amdhsa_kernel _ZL33flash_attn_stream_k_fixup_uniformILi64ELi32ELi2EEvPfPK15HIP_vector_typeIfLj2EEiiiiiiS1_IjLj3EES5_S5_
		.amdhsa_group_segment_fixed_size 0
		.amdhsa_private_segment_fixed_size 0
		.amdhsa_kernarg_size 76
		.amdhsa_user_sgpr_count 13
		.amdhsa_user_sgpr_dispatch_ptr 0
		.amdhsa_user_sgpr_queue_ptr 0
		.amdhsa_user_sgpr_kernarg_segment_ptr 1
		.amdhsa_user_sgpr_dispatch_id 0
		.amdhsa_user_sgpr_private_segment_size 0
		.amdhsa_wavefront_size32 1
		.amdhsa_uses_dynamic_stack 0
		.amdhsa_enable_private_segment 0
		.amdhsa_system_sgpr_workgroup_id_x 1
		.amdhsa_system_sgpr_workgroup_id_y 1
		.amdhsa_system_sgpr_workgroup_id_z 1
		.amdhsa_system_sgpr_workgroup_info 0
		.amdhsa_system_vgpr_workitem_id 0
		.amdhsa_next_free_vgpr 15
		.amdhsa_next_free_sgpr 20
		.amdhsa_reserve_vcc 1
		.amdhsa_float_round_mode_32 0
		.amdhsa_float_round_mode_16_64 0
		.amdhsa_float_denorm_mode_32 3
		.amdhsa_float_denorm_mode_16_64 3
		.amdhsa_dx10_clamp 1
		.amdhsa_ieee_mode 1
		.amdhsa_fp16_overflow 0
		.amdhsa_workgroup_processor_mode 1
		.amdhsa_memory_ordered 1
		.amdhsa_forward_progress 0
		.amdhsa_shared_vgpr_count 0
		.amdhsa_exception_fp_ieee_invalid_op 0
		.amdhsa_exception_fp_denorm_src 0
		.amdhsa_exception_fp_ieee_div_zero 0
		.amdhsa_exception_fp_ieee_overflow 0
		.amdhsa_exception_fp_ieee_underflow 0
		.amdhsa_exception_fp_ieee_inexact 0
		.amdhsa_exception_int_div_zero 0
	.end_amdhsa_kernel
	.section	.text._ZL33flash_attn_stream_k_fixup_uniformILi64ELi32ELi2EEvPfPK15HIP_vector_typeIfLj2EEiiiiiiS1_IjLj3EES5_S5_,"axG",@progbits,_ZL33flash_attn_stream_k_fixup_uniformILi64ELi32ELi2EEvPfPK15HIP_vector_typeIfLj2EEiiiiiiS1_IjLj3EES5_S5_,comdat
.Lfunc_end35:
	.size	_ZL33flash_attn_stream_k_fixup_uniformILi64ELi32ELi2EEvPfPK15HIP_vector_typeIfLj2EEiiiiiiS1_IjLj3EES5_S5_, .Lfunc_end35-_ZL33flash_attn_stream_k_fixup_uniformILi64ELi32ELi2EEvPfPK15HIP_vector_typeIfLj2EEiiiiiiS1_IjLj3EES5_S5_
                                        ; -- End function
	.section	.AMDGPU.csdata,"",@progbits
; Kernel info:
; codeLenInByte = 996
; NumSgprs: 22
; NumVgprs: 15
; ScratchSize: 0
; MemoryBound: 0
; FloatMode: 240
; IeeeMode: 1
; LDSByteSize: 0 bytes/workgroup (compile time only)
; SGPRBlocks: 2
; VGPRBlocks: 1
; NumSGPRsForWavesPerEU: 22
; NumVGPRsForWavesPerEU: 15
; Occupancy: 16
; WaveLimiterHint : 0
; COMPUTE_PGM_RSRC2:SCRATCH_EN: 0
; COMPUTE_PGM_RSRC2:USER_SGPR: 13
; COMPUTE_PGM_RSRC2:TRAP_HANDLER: 0
; COMPUTE_PGM_RSRC2:TGID_X_EN: 1
; COMPUTE_PGM_RSRC2:TGID_Y_EN: 1
; COMPUTE_PGM_RSRC2:TGID_Z_EN: 1
; COMPUTE_PGM_RSRC2:TIDIG_COMP_CNT: 0
	.section	.text._ZL33flash_attn_stream_k_fixup_generalILi64ELi32ELi2EEvPfPK15HIP_vector_typeIfLj2EEiiiiS1_IjLj3EES5_S5_S5_,"axG",@progbits,_ZL33flash_attn_stream_k_fixup_generalILi64ELi32ELi2EEvPfPK15HIP_vector_typeIfLj2EEiiiiS1_IjLj3EES5_S5_S5_,comdat
	.globl	_ZL33flash_attn_stream_k_fixup_generalILi64ELi32ELi2EEvPfPK15HIP_vector_typeIfLj2EEiiiiS1_IjLj3EES5_S5_S5_ ; -- Begin function _ZL33flash_attn_stream_k_fixup_generalILi64ELi32ELi2EEvPfPK15HIP_vector_typeIfLj2EEiiiiS1_IjLj3EES5_S5_S5_
	.p2align	8
	.type	_ZL33flash_attn_stream_k_fixup_generalILi64ELi32ELi2EEvPfPK15HIP_vector_typeIfLj2EEiiiiS1_IjLj3EES5_S5_S5_,@function
_ZL33flash_attn_stream_k_fixup_generalILi64ELi32ELi2EEvPfPK15HIP_vector_typeIfLj2EEiiiiS1_IjLj3EES5_S5_S5_: ; @_ZL33flash_attn_stream_k_fixup_generalILi64ELi32ELi2EEvPfPK15HIP_vector_typeIfLj2EEiiiiS1_IjLj3EES5_S5_S5_
; %bb.0:
	s_clause 0x1
	s_load_b128 s[4:7], s[0:1], 0x10
	s_load_b32 s20, s[0:1], 0x50
	s_mov_b32 s2, 0
	s_waitcnt lgkmcnt(0)
	s_mul_hi_i32 s3, s7, s13
	s_mul_i32 s12, s7, s13
	s_cmp_lg_u64 s[2:3], 0
	s_cbranch_scc0 .LBB36_21
; %bb.1:
	v_cvt_f32_ubyte0_e32 v1, 0
	v_cvt_f32_u32_e32 v2, s20
	s_sub_u32 s10, 0, s20
	s_subb_u32 s11, 0, 0
	s_delay_alu instid0(VALU_DEP_1) | instskip(NEXT) | instid1(VALU_DEP_1)
	v_fmamk_f32 v1, v1, 0x4f800000, v2
	v_rcp_f32_e32 v1, v1
	s_waitcnt_depctr 0xfff
	v_mul_f32_e32 v1, 0x5f7ffffc, v1
	s_delay_alu instid0(VALU_DEP_1) | instskip(NEXT) | instid1(VALU_DEP_1)
	v_mul_f32_e32 v2, 0x2f800000, v1
	v_trunc_f32_e32 v2, v2
	s_delay_alu instid0(VALU_DEP_1) | instskip(SKIP_1) | instid1(VALU_DEP_2)
	v_fmamk_f32 v1, v2, 0xcf800000, v1
	v_cvt_u32_f32_e32 v2, v2
	v_cvt_u32_f32_e32 v1, v1
	s_delay_alu instid0(VALU_DEP_2) | instskip(NEXT) | instid1(VALU_DEP_2)
	v_readfirstlane_b32 s8, v2
	v_readfirstlane_b32 s9, v1
	s_delay_alu instid0(VALU_DEP_2) | instskip(NEXT) | instid1(VALU_DEP_1)
	s_mul_i32 s16, s10, s8
	s_mul_hi_u32 s18, s10, s9
	s_mul_i32 s17, s11, s9
	s_add_i32 s16, s18, s16
	s_mul_i32 s19, s10, s9
	s_add_i32 s16, s16, s17
	s_mul_hi_u32 s18, s9, s19
	s_mul_hi_u32 s21, s8, s19
	s_mul_i32 s17, s8, s19
	s_mul_hi_u32 s19, s9, s16
	s_mul_i32 s9, s9, s16
	s_mul_hi_u32 s22, s8, s16
	s_add_u32 s9, s18, s9
	s_addc_u32 s18, 0, s19
	s_add_u32 s9, s9, s17
	s_mul_i32 s16, s8, s16
	s_addc_u32 s9, s18, s21
	s_addc_u32 s17, s22, 0
	s_add_u32 s9, s9, s16
	s_addc_u32 s16, 0, s17
	v_add_co_u32 v1, s9, v1, s9
	s_delay_alu instid0(VALU_DEP_1) | instskip(SKIP_1) | instid1(VALU_DEP_1)
	s_cmp_lg_u32 s9, 0
	s_addc_u32 s8, s8, s16
	v_readfirstlane_b32 s9, v1
	s_mul_i32 s16, s10, s8
	s_delay_alu instid0(VALU_DEP_1)
	s_mul_hi_u32 s17, s10, s9
	s_mul_i32 s11, s11, s9
	s_add_i32 s16, s17, s16
	s_mul_i32 s10, s10, s9
	s_add_i32 s16, s16, s11
	s_mul_hi_u32 s17, s8, s10
	s_mul_i32 s18, s8, s10
	s_mul_hi_u32 s10, s9, s10
	s_mul_hi_u32 s19, s9, s16
	s_mul_i32 s9, s9, s16
	s_mul_hi_u32 s11, s8, s16
	s_add_u32 s9, s10, s9
	s_addc_u32 s10, 0, s19
	s_add_u32 s9, s9, s18
	s_mul_i32 s16, s8, s16
	s_addc_u32 s9, s10, s17
	s_addc_u32 s10, s11, 0
	s_add_u32 s9, s9, s16
	s_addc_u32 s10, 0, s10
	v_add_co_u32 v1, s9, v1, s9
	s_delay_alu instid0(VALU_DEP_1) | instskip(SKIP_2) | instid1(SALU_CYCLE_1)
	s_cmp_lg_u32 s9, 0
	s_addc_u32 s16, s8, s10
	s_ashr_i32 s8, s3, 31
	s_add_u32 s10, s12, s8
	s_addc_u32 s11, s3, s8
	v_readfirstlane_b32 s3, v1
	s_mov_b32 s9, s8
	s_delay_alu instid0(SALU_CYCLE_1) | instskip(NEXT) | instid1(SALU_CYCLE_1)
	s_xor_b64 s[10:11], s[10:11], s[8:9]
	s_mul_i32 s18, s10, s16
	s_delay_alu instid0(VALU_DEP_1)
	s_mul_hi_u32 s19, s10, s3
	s_mul_hi_u32 s17, s10, s16
	;; [unrolled: 1-line block ×3, first 2 shown]
	s_mul_i32 s3, s11, s3
	s_add_u32 s18, s19, s18
	s_addc_u32 s17, 0, s17
	s_mul_hi_u32 s21, s11, s16
	s_add_u32 s3, s18, s3
	s_mul_i32 s16, s11, s16
	s_addc_u32 s3, s17, s22
	s_addc_u32 s17, s21, 0
	s_add_u32 s3, s3, s16
	s_addc_u32 s16, 0, s17
	s_mul_i32 s18, s20, s3
	s_add_u32 s17, s3, 1
	v_sub_co_u32 v1, s10, s10, s18
	s_mul_hi_u32 s18, s20, s3
	s_addc_u32 s19, s16, 0
	s_mul_i32 s21, s20, s16
	s_delay_alu instid0(VALU_DEP_1)
	v_sub_co_u32 v2, s22, v1, s20
	s_add_u32 s23, s3, 2
	s_addc_u32 s24, s16, 0
	s_add_i32 s18, s18, s21
	s_cmp_lg_u32 s10, 0
	v_readfirstlane_b32 s10, v2
	s_subb_u32 s11, s11, s18
	s_cmp_lg_u32 s22, 0
	s_subb_u32 s18, s11, 0
	s_delay_alu instid0(VALU_DEP_1) | instskip(SKIP_4) | instid1(SALU_CYCLE_1)
	s_cmp_ge_u32 s10, s20
	s_cselect_b32 s10, -1, 0
	s_cmp_eq_u32 s18, 0
	v_readfirstlane_b32 s18, v1
	s_cselect_b32 s10, s10, -1
	s_cmp_lg_u32 s10, 0
	s_cselect_b32 s10, s23, s17
	s_cselect_b32 s17, s24, s19
	s_cmp_ge_u32 s18, s20
	s_cselect_b32 s18, -1, 0
	s_cmp_eq_u32 s11, 0
	s_cselect_b32 s11, s18, -1
	s_delay_alu instid0(SALU_CYCLE_1) | instskip(SKIP_2) | instid1(SALU_CYCLE_1)
	s_cmp_lg_u32 s11, 0
	s_cselect_b32 s11, s17, s16
	s_cselect_b32 s10, s10, s3
	s_xor_b64 s[10:11], s[10:11], s[8:9]
	s_delay_alu instid0(SALU_CYCLE_1)
	s_sub_u32 s16, s10, s8
	s_load_b128 s[8:11], s[0:1], 0x44
	s_and_not1_b32 vcc_lo, exec_lo, s2
	s_cbranch_vccnz .LBB36_3
.LBB36_2:
	v_cvt_f32_u32_e32 v1, s20
	s_sub_i32 s3, 0, s20
	s_delay_alu instid0(VALU_DEP_1) | instskip(SKIP_2) | instid1(VALU_DEP_1)
	v_rcp_iflag_f32_e32 v1, v1
	s_waitcnt_depctr 0xfff
	v_mul_f32_e32 v1, 0x4f7ffffe, v1
	v_cvt_u32_f32_e32 v1, v1
	s_delay_alu instid0(VALU_DEP_1) | instskip(NEXT) | instid1(VALU_DEP_1)
	v_readfirstlane_b32 s2, v1
	s_mul_i32 s3, s3, s2
	s_delay_alu instid0(SALU_CYCLE_1) | instskip(NEXT) | instid1(SALU_CYCLE_1)
	s_mul_hi_u32 s3, s2, s3
	s_add_i32 s2, s2, s3
	s_delay_alu instid0(SALU_CYCLE_1) | instskip(NEXT) | instid1(SALU_CYCLE_1)
	s_mul_hi_u32 s2, s12, s2
	s_mul_i32 s3, s2, s20
	s_waitcnt lgkmcnt(0)
	s_add_i32 s11, s2, 1
	s_sub_i32 s3, s12, s3
	s_delay_alu instid0(SALU_CYCLE_1)
	s_sub_i32 s12, s3, s20
	s_cmp_ge_u32 s3, s20
	s_cselect_b32 s2, s11, s2
	s_cselect_b32 s3, s12, s3
	s_add_i32 s11, s2, 1
	s_cmp_ge_u32 s3, s20
	s_cselect_b32 s16, s11, s2
.LBB36_3:
	s_waitcnt lgkmcnt(0)
	s_add_i32 s11, s13, 1
	s_mov_b32 s2, 0
	s_mul_hi_i32 s3, s7, s11
	s_mul_i32 s11, s7, s11
	s_cmp_lg_u64 s[2:3], 0
	s_cbranch_scc0 .LBB36_22
; %bb.4:
	v_cvt_f32_ubyte0_e32 v1, 0
	v_cvt_f32_u32_e32 v2, s20
	s_sub_u32 s18, 0, s20
	s_subb_u32 s19, 0, 0
	s_delay_alu instid0(VALU_DEP_1) | instskip(NEXT) | instid1(VALU_DEP_1)
	v_fmamk_f32 v1, v1, 0x4f800000, v2
	v_rcp_f32_e32 v1, v1
	s_waitcnt_depctr 0xfff
	v_mul_f32_e32 v1, 0x5f7ffffc, v1
	s_delay_alu instid0(VALU_DEP_1) | instskip(NEXT) | instid1(VALU_DEP_1)
	v_mul_f32_e32 v2, 0x2f800000, v1
	v_trunc_f32_e32 v2, v2
	s_delay_alu instid0(VALU_DEP_1) | instskip(SKIP_1) | instid1(VALU_DEP_2)
	v_fmamk_f32 v1, v2, 0xcf800000, v1
	v_cvt_u32_f32_e32 v2, v2
	v_cvt_u32_f32_e32 v1, v1
	s_delay_alu instid0(VALU_DEP_2) | instskip(NEXT) | instid1(VALU_DEP_2)
	v_readfirstlane_b32 s12, v2
	v_readfirstlane_b32 s17, v1
	s_delay_alu instid0(VALU_DEP_2) | instskip(NEXT) | instid1(VALU_DEP_1)
	s_mul_i32 s21, s18, s12
	s_mul_hi_u32 s23, s18, s17
	s_mul_i32 s22, s19, s17
	s_add_i32 s21, s23, s21
	s_mul_i32 s24, s18, s17
	s_add_i32 s21, s21, s22
	s_mul_hi_u32 s23, s17, s24
	s_mul_hi_u32 s25, s12, s24
	s_mul_i32 s22, s12, s24
	s_mul_hi_u32 s24, s17, s21
	s_mul_i32 s17, s17, s21
	s_mul_hi_u32 s26, s12, s21
	s_add_u32 s17, s23, s17
	s_addc_u32 s23, 0, s24
	s_add_u32 s17, s17, s22
	s_mul_i32 s21, s12, s21
	s_addc_u32 s17, s23, s25
	s_addc_u32 s22, s26, 0
	s_add_u32 s17, s17, s21
	s_addc_u32 s21, 0, s22
	v_add_co_u32 v1, s17, v1, s17
	s_delay_alu instid0(VALU_DEP_1) | instskip(SKIP_1) | instid1(VALU_DEP_1)
	s_cmp_lg_u32 s17, 0
	s_addc_u32 s12, s12, s21
	v_readfirstlane_b32 s17, v1
	s_mul_i32 s21, s18, s12
	s_delay_alu instid0(VALU_DEP_1)
	s_mul_hi_u32 s22, s18, s17
	s_mul_i32 s19, s19, s17
	s_add_i32 s21, s22, s21
	s_mul_i32 s18, s18, s17
	s_add_i32 s21, s21, s19
	s_mul_hi_u32 s22, s12, s18
	s_mul_i32 s23, s12, s18
	s_mul_hi_u32 s18, s17, s18
	s_mul_hi_u32 s24, s17, s21
	s_mul_i32 s17, s17, s21
	s_mul_hi_u32 s19, s12, s21
	s_add_u32 s17, s18, s17
	s_addc_u32 s18, 0, s24
	s_add_u32 s17, s17, s23
	s_mul_i32 s21, s12, s21
	s_addc_u32 s17, s18, s22
	s_addc_u32 s18, s19, 0
	s_add_u32 s17, s17, s21
	s_addc_u32 s18, 0, s18
	v_add_co_u32 v1, s17, v1, s17
	s_delay_alu instid0(VALU_DEP_1) | instskip(SKIP_2) | instid1(SALU_CYCLE_1)
	s_cmp_lg_u32 s17, 0
	s_addc_u32 s12, s12, s18
	s_ashr_i32 s18, s3, 31
	s_add_u32 s22, s11, s18
	s_addc_u32 s23, s3, s18
	v_readfirstlane_b32 s3, v1
	s_mov_b32 s19, s18
	s_delay_alu instid0(SALU_CYCLE_1) | instskip(NEXT) | instid1(SALU_CYCLE_1)
	s_xor_b64 s[22:23], s[22:23], s[18:19]
	s_mul_i32 s21, s22, s12
	s_delay_alu instid0(VALU_DEP_1)
	s_mul_hi_u32 s24, s22, s3
	s_mul_hi_u32 s17, s22, s12
	;; [unrolled: 1-line block ×3, first 2 shown]
	s_mul_i32 s3, s23, s3
	s_add_u32 s21, s24, s21
	s_addc_u32 s17, 0, s17
	s_mul_hi_u32 s25, s23, s12
	s_add_u32 s3, s21, s3
	s_mul_i32 s12, s23, s12
	s_addc_u32 s3, s17, s26
	s_addc_u32 s17, s25, 0
	s_add_u32 s3, s3, s12
	s_addc_u32 s12, 0, s17
	s_mul_i32 s21, s20, s3
	s_add_u32 s17, s3, 1
	v_sub_co_u32 v1, s21, s22, s21
	s_mul_hi_u32 s22, s20, s3
	s_addc_u32 s24, s12, 0
	s_mul_i32 s25, s20, s12
	s_delay_alu instid0(VALU_DEP_1)
	v_sub_co_u32 v2, s26, v1, s20
	s_add_u32 s27, s3, 2
	s_addc_u32 s28, s12, 0
	s_add_i32 s22, s22, s25
	s_cmp_lg_u32 s21, 0
	v_readfirstlane_b32 s21, v2
	s_subb_u32 s22, s23, s22
	s_cmp_lg_u32 s26, 0
	s_subb_u32 s23, s22, 0
	s_delay_alu instid0(VALU_DEP_1) | instskip(SKIP_4) | instid1(SALU_CYCLE_1)
	s_cmp_ge_u32 s21, s20
	s_cselect_b32 s21, -1, 0
	s_cmp_eq_u32 s23, 0
	v_readfirstlane_b32 s23, v1
	s_cselect_b32 s21, s21, -1
	s_cmp_lg_u32 s21, 0
	s_cselect_b32 s17, s27, s17
	s_cselect_b32 s21, s28, s24
	s_cmp_ge_u32 s23, s20
	s_cselect_b32 s23, -1, 0
	s_cmp_eq_u32 s22, 0
	s_cselect_b32 s22, s23, -1
	s_delay_alu instid0(SALU_CYCLE_1) | instskip(SKIP_2) | instid1(SALU_CYCLE_1)
	s_cmp_lg_u32 s22, 0
	s_cselect_b32 s23, s21, s12
	s_cselect_b32 s22, s17, s3
	s_xor_b64 s[22:23], s[22:23], s[18:19]
	s_delay_alu instid0(SALU_CYCLE_1)
	s_sub_u32 s18, s22, s18
	s_and_not1_b32 vcc_lo, exec_lo, s2
	s_cbranch_vccnz .LBB36_6
.LBB36_5:
	v_cvt_f32_u32_e32 v1, s20
	s_sub_i32 s3, 0, s20
	s_delay_alu instid0(VALU_DEP_1) | instskip(SKIP_2) | instid1(VALU_DEP_1)
	v_rcp_iflag_f32_e32 v1, v1
	s_waitcnt_depctr 0xfff
	v_mul_f32_e32 v1, 0x4f7ffffe, v1
	v_cvt_u32_f32_e32 v1, v1
	s_delay_alu instid0(VALU_DEP_1) | instskip(NEXT) | instid1(VALU_DEP_1)
	v_readfirstlane_b32 s2, v1
	s_mul_i32 s3, s3, s2
	s_delay_alu instid0(SALU_CYCLE_1) | instskip(NEXT) | instid1(SALU_CYCLE_1)
	s_mul_hi_u32 s3, s2, s3
	s_add_i32 s2, s2, s3
	s_delay_alu instid0(SALU_CYCLE_1) | instskip(NEXT) | instid1(SALU_CYCLE_1)
	s_mul_hi_u32 s2, s11, s2
	s_mul_i32 s3, s2, s20
	s_delay_alu instid0(SALU_CYCLE_1)
	s_sub_i32 s3, s11, s3
	s_add_i32 s11, s2, 1
	s_sub_i32 s12, s3, s20
	s_cmp_ge_u32 s3, s20
	s_cselect_b32 s2, s11, s2
	s_cselect_b32 s3, s12, s3
	s_add_i32 s11, s2, 1
	s_cmp_ge_u32 s3, s20
	s_cselect_b32 s18, s11, s2
.LBB36_6:
	s_delay_alu instid0(SALU_CYCLE_1) | instskip(SKIP_3) | instid1(SALU_CYCLE_1)
	s_cmp_eq_u32 s16, s18
	s_mul_hi_u32 s2, s16, s8
	s_cselect_b32 s3, -1, 0
	s_add_i32 s2, s2, s16
	s_lshr_b32 s11, s2, s9
	s_delay_alu instid0(SALU_CYCLE_1) | instskip(NEXT) | instid1(SALU_CYCLE_1)
	s_mul_i32 s2, s11, s10
	s_cmp_eq_u32 s2, s16
	s_mul_hi_u32 s2, s18, s8
	s_cselect_b32 s12, -1, 0
	s_add_i32 s2, s2, s18
	s_delay_alu instid0(SALU_CYCLE_1) | instskip(NEXT) | instid1(SALU_CYCLE_1)
	s_lshr_b32 s2, s2, s9
	s_cmp_eq_u32 s11, s2
	s_mul_i32 s2, s2, s10
	s_cselect_b32 s17, -1, 0
	s_cmp_lg_u32 s2, s18
	s_cselect_b32 s2, -1, 0
	s_or_b32 s3, s3, s12
	s_and_b32 s2, s17, s2
	s_delay_alu instid0(SALU_CYCLE_1) | instskip(NEXT) | instid1(SALU_CYCLE_1)
	s_or_b32 s2, s3, s2
	s_and_b32 vcc_lo, exec_lo, s2
	s_cbranch_vccnz .LBB36_24
; %bb.7:
	s_load_b256 s[24:31], s[0:1], 0x20
	s_waitcnt lgkmcnt(0)
	s_mul_hi_u32 s2, s16, s24
	s_delay_alu instid0(SALU_CYCLE_1) | instskip(NEXT) | instid1(SALU_CYCLE_1)
	s_add_i32 s2, s2, s16
	s_lshr_b32 s17, s2, s25
	s_load_b32 s2, s[0:1], 0x40
	s_mul_i32 s3, s17, s26
	s_delay_alu instid0(SALU_CYCLE_1) | instskip(NEXT) | instid1(SALU_CYCLE_1)
	s_sub_i32 s3, s16, s3
	s_mul_hi_u32 s12, s3, s27
	s_delay_alu instid0(SALU_CYCLE_1) | instskip(NEXT) | instid1(SALU_CYCLE_1)
	s_add_i32 s12, s3, s12
	s_lshr_b32 s21, s12, s28
	s_delay_alu instid0(SALU_CYCLE_1) | instskip(NEXT) | instid1(SALU_CYCLE_1)
	s_mul_i32 s12, s21, s29
	s_sub_i32 s3, s3, s12
	s_delay_alu instid0(SALU_CYCLE_1) | instskip(NEXT) | instid1(SALU_CYCLE_1)
	s_mul_hi_u32 s12, s3, s30
	s_add_i32 s12, s3, s12
	s_delay_alu instid0(SALU_CYCLE_1)
	s_lshr_b32 s12, s12, s31
	s_waitcnt lgkmcnt(0)
	s_mul_i32 s2, s12, s2
	s_lshl_b32 s23, s12, 1
	s_sub_i32 s2, s3, s2
	s_mov_b32 s12, 0
	s_mul_hi_u32 s3, s2, s8
	s_delay_alu instid0(SALU_CYCLE_1) | instskip(NEXT) | instid1(SALU_CYCLE_1)
	s_add_i32 s2, s2, s3
	s_lshr_b32 s22, s2, s9
	s_delay_alu instid0(SALU_CYCLE_1) | instskip(NEXT) | instid1(SALU_CYCLE_1)
	s_lshl_b32 s2, s22, 5
	s_add_i32 s2, s2, s14
	s_delay_alu instid0(SALU_CYCLE_1) | instskip(SKIP_2) | instid1(SALU_CYCLE_1)
	s_cmp_lt_i32 s2, s4
	s_cselect_b32 s2, -1, 0
	s_add_i32 s3, s23, s15
	s_cmp_lt_i32 s3, s6
	s_cselect_b32 s3, -1, 0
	s_delay_alu instid0(SALU_CYCLE_1) | instskip(NEXT) | instid1(SALU_CYCLE_1)
	s_and_b32 s2, s2, s3
	s_and_not1_b32 vcc_lo, exec_lo, s2
	s_cbranch_vccnz .LBB36_24
; %bb.8:
	s_load_b128 s[0:3], s[0:1], 0x0
	s_lshl_b32 s18, s20, 8
	s_mov_b32 s19, s12
	s_lshl_b32 s24, s14, 1
	s_lshl_b64 s[18:19], s[18:19], 2
	s_mul_i32 s4, s17, s4
	s_add_i32 s17, s24, s15
	s_mul_i32 s21, s21, s6
	v_cvt_f32_ubyte0_e32 v4, 0
	v_cvt_f32_u32_e32 v5, s20
	s_waitcnt lgkmcnt(0)
	s_add_u32 s18, s2, s18
	s_addc_u32 s19, s3, s19
	s_add_i32 s4, s4, s14
	s_delay_alu instid0(SALU_CYCLE_1) | instskip(SKIP_4) | instid1(SALU_CYCLE_1)
	s_mul_i32 s4, s4, s5
	s_mul_i32 s5, s5, s22
	s_add_i32 s4, s4, s15
	s_lshl_b32 s5, s5, 11
	s_add_i32 s4, s4, s21
	s_add_i32 s4, s4, s23
	s_delay_alu instid0(SALU_CYCLE_1) | instskip(NEXT) | instid1(SALU_CYCLE_1)
	s_lshl_b32 s4, s4, 6
	s_add_i32 s5, s5, s4
	s_delay_alu instid0(SALU_CYCLE_1) | instskip(SKIP_1) | instid1(VALU_DEP_2)
	v_or_b32_e32 v1, s5, v0
	v_lshl_or_b32 v0, s17, 6, v0
	v_ashrrev_i32_e32 v2, 31, v1
	s_delay_alu instid0(VALU_DEP_1) | instskip(NEXT) | instid1(VALU_DEP_1)
	v_lshlrev_b64 v[1:2], 2, v[1:2]
	v_add_co_u32 v1, vcc_lo, s0, v1
	s_delay_alu instid0(VALU_DEP_2) | instskip(SKIP_1) | instid1(SALU_CYCLE_1)
	v_add_co_ci_u32_e32 v2, vcc_lo, s1, v2, vcc_lo
	s_lshl_b32 s0, s13, 6
	s_add_i32 s0, s17, s0
	global_load_b32 v3, v[1:2], off
	s_ashr_i32 s1, s0, 31
	s_delay_alu instid0(SALU_CYCLE_1) | instskip(NEXT) | instid1(SALU_CYCLE_1)
	s_lshl_b64 s[0:1], s[0:1], 3
	s_add_u32 s0, s2, s0
	s_addc_u32 s1, s3, s1
	s_add_i32 s14, s13, -1
	s_load_b64 s[0:1], s[0:1], 0x0
	v_fmac_f32_e32 v5, 0x4f800000, v4
	s_sub_i32 s6, 0, s20
	s_waitcnt lgkmcnt(0)
	v_mov_b32_e32 v8, s0
	s_delay_alu instid0(VALU_DEP_2) | instskip(SKIP_2) | instid1(VALU_DEP_2)
	v_rcp_f32_e32 v4, v5
	v_cvt_f32_u32_e32 v5, s20
	v_mov_b32_e32 v7, s1
	v_rcp_iflag_f32_e32 v5, v5
	s_waitcnt_depctr 0xfff
	v_mul_f32_e32 v4, 0x5f7ffffc, v4
	s_delay_alu instid0(VALU_DEP_1) | instskip(SKIP_1) | instid1(VALU_DEP_2)
	v_mul_f32_e32 v6, 0x2f800000, v4
	v_mul_f32_e32 v9, 0x4f7ffffe, v5
	v_trunc_f32_e32 v6, v6
	s_delay_alu instid0(VALU_DEP_1) | instskip(SKIP_1) | instid1(VALU_DEP_4)
	v_fmac_f32_e32 v4, 0xcf800000, v6
	v_cvt_u32_f32_e32 v5, v6
	v_cvt_u32_f32_e32 v6, v9
	s_delay_alu instid0(VALU_DEP_3)
	v_cvt_u32_f32_e32 v4, v4
.LBB36_9:                               ; =>This Inner Loop Header: Depth=1
	s_mul_hi_i32 s13, s14, s7
	s_mul_i32 s4, s14, s7
	s_cmp_lg_u64 s[12:13], 0
	s_mov_b32 s5, -1
                                        ; implicit-def: $sgpr0_sgpr1
	s_cbranch_scc0 .LBB36_11
; %bb.10:                               ;   in Loop: Header=BB36_9 Depth=1
	v_readfirstlane_b32 s0, v4
	v_readfirstlane_b32 s1, v5
	s_sub_u32 s5, 0, s20
	s_subb_u32 s15, 0, 0
	s_delay_alu instid0(VALU_DEP_2) | instskip(NEXT) | instid1(VALU_DEP_1)
	s_mul_hi_u32 s21, s5, s0
	s_mul_i32 s22, s5, s1
	s_mul_i32 s23, s15, s0
	s_add_i32 s21, s21, s22
	s_mul_i32 s22, s5, s0
	s_add_i32 s21, s21, s23
	s_mul_hi_u32 s23, s0, s22
	s_mul_i32 s24, s0, s21
	s_mul_hi_u32 s0, s0, s21
	s_add_u32 s23, s23, s24
	s_mul_i32 s25, s1, s22
	s_addc_u32 s0, 0, s0
	s_mul_hi_u32 s22, s1, s22
	s_mul_hi_u32 s24, s1, s21
	s_add_u32 s23, s23, s25
	s_addc_u32 s0, s0, s22
	s_mul_i32 s21, s1, s21
	s_addc_u32 s22, s24, 0
	s_add_u32 s0, s0, s21
	s_addc_u32 s21, 0, s22
	v_add_co_u32 v9, s0, v4, s0
	s_delay_alu instid0(VALU_DEP_1) | instskip(SKIP_1) | instid1(VALU_DEP_1)
	s_cmp_lg_u32 s0, 0
	s_addc_u32 s1, s1, s21
	v_readfirstlane_b32 s0, v9
	s_mul_i32 s21, s5, s1
	s_delay_alu instid0(VALU_DEP_1)
	s_mul_hi_u32 s22, s5, s0
	s_mul_i32 s15, s15, s0
	s_add_i32 s21, s22, s21
	s_mul_i32 s5, s5, s0
	s_add_i32 s21, s21, s15
	s_mul_hi_u32 s15, s1, s5
	s_mul_i32 s23, s1, s5
	s_mul_i32 s24, s0, s21
	s_mul_hi_u32 s5, s0, s5
	s_mul_hi_u32 s0, s0, s21
	s_add_u32 s5, s5, s24
	s_addc_u32 s0, 0, s0
	s_mul_hi_u32 s22, s1, s21
	s_add_u32 s5, s5, s23
	s_addc_u32 s0, s0, s15
	s_mul_i32 s5, s1, s21
	s_addc_u32 s15, s22, 0
	s_add_u32 s0, s0, s5
	s_addc_u32 s5, 0, s15
	v_add_co_u32 v9, s0, v9, s0
	s_delay_alu instid0(VALU_DEP_1) | instskip(SKIP_2) | instid1(SALU_CYCLE_1)
	s_cmp_lg_u32 s0, 0
	s_addc_u32 s5, s1, s5
	s_ashr_i32 s0, s13, 31
	s_add_u32 s22, s4, s0
	s_addc_u32 s23, s13, s0
	v_readfirstlane_b32 s13, v9
	s_mov_b32 s1, s0
	s_delay_alu instid0(SALU_CYCLE_1) | instskip(NEXT) | instid1(SALU_CYCLE_1)
	s_xor_b64 s[22:23], s[22:23], s[0:1]
	s_mul_i32 s15, s22, s5
	s_delay_alu instid0(VALU_DEP_1)
	s_mul_hi_u32 s21, s22, s13
	s_mul_hi_u32 s24, s22, s5
	s_add_u32 s15, s21, s15
	s_mul_i32 s25, s23, s13
	s_addc_u32 s21, 0, s24
	s_mul_hi_u32 s13, s23, s13
	s_mul_hi_u32 s24, s23, s5
	s_add_u32 s15, s15, s25
	s_addc_u32 s13, s21, s13
	s_mul_i32 s5, s23, s5
	s_addc_u32 s15, s24, 0
	s_add_u32 s5, s13, s5
	s_addc_u32 s13, 0, s15
	s_mul_i32 s21, s20, s5
	s_add_u32 s15, s5, 1
	v_sub_co_u32 v9, s21, s22, s21
	s_addc_u32 s22, s13, 0
	s_mul_i32 s25, s20, s13
	s_mul_hi_u32 s27, s20, s5
	s_delay_alu instid0(VALU_DEP_1)
	v_sub_co_u32 v10, s26, v9, s20
	s_add_u32 s24, s5, 2
	s_addc_u32 s28, s13, 0
	s_add_i32 s27, s27, s25
	s_cmp_lg_u32 s21, 0
	v_readfirstlane_b32 s21, v10
	s_subb_u32 s23, s23, s27
	s_cmp_lg_u32 s26, 0
	s_subb_u32 s25, s23, 0
	s_delay_alu instid0(VALU_DEP_1) | instskip(SKIP_4) | instid1(SALU_CYCLE_1)
	s_cmp_ge_u32 s21, s20
	s_cselect_b32 s21, -1, 0
	s_cmp_eq_u32 s25, 0
	v_readfirstlane_b32 s25, v9
	s_cselect_b32 s21, s21, -1
	s_cmp_lg_u32 s21, 0
	s_cselect_b32 s15, s24, s15
	s_cselect_b32 s21, s28, s22
	s_cmp_ge_u32 s25, s20
	s_cselect_b32 s22, -1, 0
	s_cmp_eq_u32 s23, 0
	s_cselect_b32 s22, s22, -1
	s_delay_alu instid0(SALU_CYCLE_1) | instskip(SKIP_4) | instid1(SALU_CYCLE_1)
	s_cmp_lg_u32 s22, 0
	s_cselect_b32 s23, s21, s13
	s_cselect_b32 s22, s15, s5
	s_mov_b32 s5, 0
	s_xor_b64 s[22:23], s[22:23], s[0:1]
	s_sub_u32 s0, s22, s0
.LBB36_11:                              ;   in Loop: Header=BB36_9 Depth=1
	s_and_not1_b32 vcc_lo, exec_lo, s5
	s_cbranch_vccnz .LBB36_13
; %bb.12:                               ;   in Loop: Header=BB36_9 Depth=1
	v_readfirstlane_b32 s0, v6
	s_delay_alu instid0(VALU_DEP_1) | instskip(NEXT) | instid1(SALU_CYCLE_1)
	s_mul_i32 s1, s6, s0
	s_mul_hi_u32 s1, s0, s1
	s_delay_alu instid0(SALU_CYCLE_1) | instskip(NEXT) | instid1(SALU_CYCLE_1)
	s_add_i32 s0, s0, s1
	s_mul_hi_u32 s0, s4, s0
	s_delay_alu instid0(SALU_CYCLE_1) | instskip(NEXT) | instid1(SALU_CYCLE_1)
	s_mul_i32 s1, s0, s20
	s_sub_i32 s1, s4, s1
	s_add_i32 s4, s0, 1
	s_sub_i32 s5, s1, s20
	s_cmp_ge_u32 s1, s20
	s_cselect_b32 s0, s4, s0
	s_cselect_b32 s1, s5, s1
	s_add_i32 s4, s0, 1
	s_cmp_ge_u32 s1, s20
	s_cselect_b32 s0, s4, s0
.LBB36_13:                              ;   in Loop: Header=BB36_9 Depth=1
	s_delay_alu instid0(SALU_CYCLE_1)
	s_cmp_lg_u32 s16, s0
	s_cbranch_scc0 .LBB36_17
; %bb.14:                               ;   in Loop: Header=BB36_9 Depth=1
	s_add_i32 s1, s14, s20
	s_mov_b32 s5, s12
	s_lshl_b32 s1, s1, 6
	s_mov_b32 s15, s16
	s_add_i32 s4, s1, s17
	s_mul_hi_u32 s1, s0, s8
	s_lshl_b64 s[4:5], s[4:5], 3
	s_delay_alu instid0(SALU_CYCLE_1) | instskip(SKIP_2) | instid1(SALU_CYCLE_1)
	s_add_u32 s4, s2, s4
	s_addc_u32 s5, s3, s5
	s_add_i32 s1, s1, s0
	s_lshr_b32 s1, s1, s9
	s_delay_alu instid0(SALU_CYCLE_1) | instskip(NEXT) | instid1(SALU_CYCLE_1)
	s_mul_i32 s13, s1, s10
	s_cmp_eq_u32 s13, s0
	s_cselect_b32 s13, -1, 0
	s_cmp_lt_u32 s1, s11
	s_cselect_b32 s1, -1, 0
	s_delay_alu instid0(SALU_CYCLE_1)
	s_or_b32 s1, s1, s13
	s_mov_b32 s13, -1
	s_and_b32 vcc_lo, exec_lo, s1
	s_mov_b32 s1, s14
	s_cbranch_vccnz .LBB36_16
; %bb.15:                               ;   in Loop: Header=BB36_9 Depth=1
	s_add_i32 s1, s14, -1
	s_mov_b32 s13, 0
	s_mov_b32 s15, s0
.LBB36_16:                              ;   in Loop: Header=BB36_9 Depth=1
	v_lshl_add_u32 v9, s14, 12, v0
	s_load_b64 s[4:5], s[4:5], 0x0
	s_delay_alu instid0(VALU_DEP_1) | instskip(NEXT) | instid1(VALU_DEP_1)
	v_ashrrev_i32_e32 v10, 31, v9
	v_lshlrev_b64 v[9:10], 2, v[9:10]
	s_delay_alu instid0(VALU_DEP_1) | instskip(NEXT) | instid1(VALU_DEP_2)
	v_add_co_u32 v9, vcc_lo, s18, v9
	v_add_co_ci_u32_e32 v10, vcc_lo, s19, v10, vcc_lo
	s_waitcnt lgkmcnt(0)
	v_max_f32_e64 v11, s4, s4
	global_load_b32 v10, v[9:10], off
	v_max_f32_e32 v9, v8, v8
	s_delay_alu instid0(VALU_DEP_1) | instskip(NEXT) | instid1(VALU_DEP_1)
	v_max_f32_e32 v9, v9, v11
	v_sub_f32_e32 v12, v8, v9
	s_delay_alu instid0(VALU_DEP_1) | instskip(NEXT) | instid1(VALU_DEP_1)
	v_dual_mul_f32 v14, 0x3fb8aa3b, v12 :: v_dual_sub_f32 v11, s4, v9
	v_rndne_f32_e32 v18, v14
	s_delay_alu instid0(VALU_DEP_2) | instskip(SKIP_2) | instid1(VALU_DEP_4)
	v_mul_f32_e32 v13, 0x3fb8aa3b, v11
	v_fma_f32 v17, 0x3fb8aa3b, v12, -v14
	v_cmp_ngt_f32_e32 vcc_lo, 0xc2ce8ed0, v11
	v_sub_f32_e32 v14, v14, v18
	s_delay_alu instid0(VALU_DEP_4) | instskip(SKIP_2) | instid1(VALU_DEP_3)
	v_fma_f32 v15, 0x3fb8aa3b, v11, -v13
	v_rndne_f32_e32 v16, v13
	v_fmac_f32_e32 v17, 0x32a5705f, v12
	v_fmac_f32_e32 v15, 0x32a5705f, v11
	s_delay_alu instid0(VALU_DEP_2) | instskip(NEXT) | instid1(VALU_DEP_1)
	v_dual_sub_f32 v13, v13, v16 :: v_dual_add_f32 v14, v14, v17
	v_add_f32_e32 v13, v13, v15
	s_delay_alu instid0(VALU_DEP_2) | instskip(SKIP_2) | instid1(VALU_DEP_3)
	v_exp_f32_e32 v14, v14
	v_cvt_i32_f32_e32 v15, v16
	v_cvt_i32_f32_e32 v16, v18
	v_exp_f32_e32 v13, v13
	s_waitcnt_depctr 0xfff
	v_ldexp_f32 v14, v14, v16
	v_ldexp_f32 v13, v13, v15
	s_delay_alu instid0(VALU_DEP_1) | instskip(SKIP_1) | instid1(VALU_DEP_4)
	v_cndmask_b32_e32 v13, 0, v13, vcc_lo
	v_cmp_ngt_f32_e32 vcc_lo, 0xc2ce8ed0, v12
	v_cndmask_b32_e32 v14, 0, v14, vcc_lo
	v_cmp_nlt_f32_e32 vcc_lo, 0x42b17218, v11
	s_delay_alu instid0(VALU_DEP_4) | instskip(SKIP_1) | instid1(VALU_DEP_4)
	v_cndmask_b32_e32 v13, 0x7f800000, v13, vcc_lo
	v_cmp_nlt_f32_e32 vcc_lo, 0x42b17218, v12
	v_cndmask_b32_e32 v14, 0x7f800000, v14, vcc_lo
	v_cmp_le_f32_e32 vcc_lo, 0xc1a00000, v11
	s_delay_alu instid0(VALU_DEP_4) | instskip(SKIP_1) | instid1(VALU_DEP_4)
	v_cndmask_b32_e32 v11, 0, v13, vcc_lo
	v_cmp_le_f32_e32 vcc_lo, 0xc1a00000, v12
	v_cndmask_b32_e32 v12, 0, v14, vcc_lo
	s_waitcnt vmcnt(0)
	s_delay_alu instid0(VALU_DEP_3) | instskip(NEXT) | instid1(VALU_DEP_1)
	v_mul_f32_e32 v10, v10, v11
	v_dual_mul_f32 v11, s5, v11 :: v_dual_fmac_f32 v10, v3, v12
	s_delay_alu instid0(VALU_DEP_1)
	v_fmac_f32_e32 v11, v7, v12
	s_cbranch_execz .LBB36_18
	s_branch .LBB36_19
.LBB36_17:                              ;   in Loop: Header=BB36_9 Depth=1
                                        ; implicit-def: $sgpr13
                                        ; implicit-def: $vgpr10
                                        ; implicit-def: $vgpr9
                                        ; implicit-def: $vgpr11
                                        ; implicit-def: $sgpr1
                                        ; implicit-def: $sgpr15
.LBB36_18:                              ;   in Loop: Header=BB36_9 Depth=1
	v_mov_b32_e32 v11, v7
	s_waitcnt vmcnt(0)
	v_dual_mov_b32 v9, v8 :: v_dual_mov_b32 v10, v3
	s_add_i32 s1, s14, -1
	s_mov_b32 s13, 0
	s_mov_b32 s15, s16
.LBB36_19:                              ;   in Loop: Header=BB36_9 Depth=1
	s_and_not1_b32 vcc_lo, exec_lo, s13
	s_cbranch_vccz .LBB36_23
; %bb.20:                               ;   in Loop: Header=BB36_9 Depth=1
	v_dual_mov_b32 v7, v11 :: v_dual_mov_b32 v8, v9
	s_waitcnt vmcnt(0)
	v_mov_b32_e32 v3, v10
	s_mov_b32 s16, s15
	s_mov_b32 s14, s1
	s_branch .LBB36_9
.LBB36_21:
                                        ; implicit-def: $sgpr16_sgpr17
	s_load_b128 s[8:11], s[0:1], 0x44
	s_branch .LBB36_2
.LBB36_22:
                                        ; implicit-def: $sgpr18_sgpr19
	s_branch .LBB36_5
.LBB36_23:
	v_div_scale_f32 v0, null, v11, v11, v10
	s_waitcnt vmcnt(0)
	s_delay_alu instid0(VALU_DEP_1) | instskip(SKIP_2) | instid1(VALU_DEP_1)
	v_rcp_f32_e32 v3, v0
	s_waitcnt_depctr 0xfff
	v_fma_f32 v4, -v0, v3, 1.0
	v_fmac_f32_e32 v3, v4, v3
	v_div_scale_f32 v4, vcc_lo, v10, v11, v10
	s_delay_alu instid0(VALU_DEP_1) | instskip(NEXT) | instid1(VALU_DEP_1)
	v_mul_f32_e32 v5, v4, v3
	v_fma_f32 v6, -v0, v5, v4
	s_delay_alu instid0(VALU_DEP_1) | instskip(NEXT) | instid1(VALU_DEP_1)
	v_fmac_f32_e32 v5, v6, v3
	v_fma_f32 v0, -v0, v5, v4
	s_delay_alu instid0(VALU_DEP_1) | instskip(NEXT) | instid1(VALU_DEP_1)
	v_div_fmas_f32 v0, v0, v3, v5
	v_div_fixup_f32 v0, v0, v11, v10
	global_store_b32 v[1:2], v0, off
.LBB36_24:
	s_nop 0
	s_sendmsg sendmsg(MSG_DEALLOC_VGPRS)
	s_endpgm
	.section	.rodata,"a",@progbits
	.p2align	6, 0x0
	.amdhsa_kernel _ZL33flash_attn_stream_k_fixup_generalILi64ELi32ELi2EEvPfPK15HIP_vector_typeIfLj2EEiiiiS1_IjLj3EES5_S5_S5_
		.amdhsa_group_segment_fixed_size 0
		.amdhsa_private_segment_fixed_size 0
		.amdhsa_kernarg_size 336
		.amdhsa_user_sgpr_count 13
		.amdhsa_user_sgpr_dispatch_ptr 0
		.amdhsa_user_sgpr_queue_ptr 0
		.amdhsa_user_sgpr_kernarg_segment_ptr 1
		.amdhsa_user_sgpr_dispatch_id 0
		.amdhsa_user_sgpr_private_segment_size 0
		.amdhsa_wavefront_size32 1
		.amdhsa_uses_dynamic_stack 0
		.amdhsa_enable_private_segment 0
		.amdhsa_system_sgpr_workgroup_id_x 1
		.amdhsa_system_sgpr_workgroup_id_y 1
		.amdhsa_system_sgpr_workgroup_id_z 1
		.amdhsa_system_sgpr_workgroup_info 0
		.amdhsa_system_vgpr_workitem_id 0
		.amdhsa_next_free_vgpr 19
		.amdhsa_next_free_sgpr 32
		.amdhsa_reserve_vcc 1
		.amdhsa_float_round_mode_32 0
		.amdhsa_float_round_mode_16_64 0
		.amdhsa_float_denorm_mode_32 3
		.amdhsa_float_denorm_mode_16_64 3
		.amdhsa_dx10_clamp 1
		.amdhsa_ieee_mode 1
		.amdhsa_fp16_overflow 0
		.amdhsa_workgroup_processor_mode 1
		.amdhsa_memory_ordered 1
		.amdhsa_forward_progress 0
		.amdhsa_shared_vgpr_count 0
		.amdhsa_exception_fp_ieee_invalid_op 0
		.amdhsa_exception_fp_denorm_src 0
		.amdhsa_exception_fp_ieee_div_zero 0
		.amdhsa_exception_fp_ieee_overflow 0
		.amdhsa_exception_fp_ieee_underflow 0
		.amdhsa_exception_fp_ieee_inexact 0
		.amdhsa_exception_int_div_zero 0
	.end_amdhsa_kernel
	.section	.text._ZL33flash_attn_stream_k_fixup_generalILi64ELi32ELi2EEvPfPK15HIP_vector_typeIfLj2EEiiiiS1_IjLj3EES5_S5_S5_,"axG",@progbits,_ZL33flash_attn_stream_k_fixup_generalILi64ELi32ELi2EEvPfPK15HIP_vector_typeIfLj2EEiiiiS1_IjLj3EES5_S5_S5_,comdat
.Lfunc_end36:
	.size	_ZL33flash_attn_stream_k_fixup_generalILi64ELi32ELi2EEvPfPK15HIP_vector_typeIfLj2EEiiiiS1_IjLj3EES5_S5_S5_, .Lfunc_end36-_ZL33flash_attn_stream_k_fixup_generalILi64ELi32ELi2EEvPfPK15HIP_vector_typeIfLj2EEiiiiS1_IjLj3EES5_S5_S5_
                                        ; -- End function
	.section	.AMDGPU.csdata,"",@progbits
; Kernel info:
; codeLenInByte = 3224
; NumSgprs: 34
; NumVgprs: 19
; ScratchSize: 0
; MemoryBound: 0
; FloatMode: 240
; IeeeMode: 1
; LDSByteSize: 0 bytes/workgroup (compile time only)
; SGPRBlocks: 4
; VGPRBlocks: 2
; NumSGPRsForWavesPerEU: 34
; NumVGPRsForWavesPerEU: 19
; Occupancy: 16
; WaveLimiterHint : 0
; COMPUTE_PGM_RSRC2:SCRATCH_EN: 0
; COMPUTE_PGM_RSRC2:USER_SGPR: 13
; COMPUTE_PGM_RSRC2:TRAP_HANDLER: 0
; COMPUTE_PGM_RSRC2:TGID_X_EN: 1
; COMPUTE_PGM_RSRC2:TGID_Y_EN: 1
; COMPUTE_PGM_RSRC2:TGID_Z_EN: 1
; COMPUTE_PGM_RSRC2:TIDIG_COMP_CNT: 0
	.section	.text._ZL15flash_attn_tileILi64ELi64ELi16ELi2ELb0EEvPKcS1_S1_S1_S1_PKiPfP15HIP_vector_typeIfLj2EEffffjfiS5_IjLj3EEiiiiiiiiiiiliiliiiiil,"axG",@progbits,_ZL15flash_attn_tileILi64ELi64ELi16ELi2ELb0EEvPKcS1_S1_S1_S1_PKiPfP15HIP_vector_typeIfLj2EEffffjfiS5_IjLj3EEiiiiiiiiiiiliiliiiiil,comdat
	.globl	_ZL15flash_attn_tileILi64ELi64ELi16ELi2ELb0EEvPKcS1_S1_S1_S1_PKiPfP15HIP_vector_typeIfLj2EEffffjfiS5_IjLj3EEiiiiiiiiiiiliiliiiiil ; -- Begin function _ZL15flash_attn_tileILi64ELi64ELi16ELi2ELb0EEvPKcS1_S1_S1_S1_PKiPfP15HIP_vector_typeIfLj2EEffffjfiS5_IjLj3EEiiiiiiiiiiiliiliiiiil
	.p2align	8
	.type	_ZL15flash_attn_tileILi64ELi64ELi16ELi2ELb0EEvPKcS1_S1_S1_S1_PKiPfP15HIP_vector_typeIfLj2EEffffjfiS5_IjLj3EEiiiiiiiiiiiliiliiiiil,@function
_ZL15flash_attn_tileILi64ELi64ELi16ELi2ELb0EEvPKcS1_S1_S1_S1_PKiPfP15HIP_vector_typeIfLj2EEffffjfiS5_IjLj3EEiiiiiiiiiiiliiliiiiil: ; @_ZL15flash_attn_tileILi64ELi64ELi16ELi2ELb0EEvPKcS1_S1_S1_S1_PKiPfP15HIP_vector_typeIfLj2EEffffjfiS5_IjLj3EEiiiiiiiiiiiliiliiiiil
; %bb.0:
	s_clause 0x1
	s_load_b128 s[24:27], s[0:1], 0x5c
	s_load_b64 s[30:31], s[0:1], 0x80
	s_mov_b64 s[34:35], 0
	s_waitcnt lgkmcnt(0)
	s_lshr_b32 s2, s27, 31
	s_delay_alu instid0(SALU_CYCLE_1) | instskip(NEXT) | instid1(SALU_CYCLE_1)
	s_add_i32 s2, s27, s2
	s_ashr_i32 s2, s2, 1
	s_delay_alu instid0(SALU_CYCLE_1) | instskip(SKIP_1) | instid1(VALU_DEP_1)
	v_cvt_f32_u32_e32 v1, s2
	s_sub_i32 s4, 0, s2
	v_rcp_iflag_f32_e32 v1, v1
	s_waitcnt_depctr 0xfff
	v_mul_f32_e32 v1, 0x4f7ffffe, v1
	s_delay_alu instid0(VALU_DEP_1) | instskip(NEXT) | instid1(VALU_DEP_1)
	v_cvt_u32_f32_e32 v1, v1
	v_readfirstlane_b32 s3, v1
	s_delay_alu instid0(VALU_DEP_1) | instskip(NEXT) | instid1(SALU_CYCLE_1)
	s_mul_i32 s4, s4, s3
	s_mul_hi_u32 s4, s3, s4
	s_delay_alu instid0(SALU_CYCLE_1) | instskip(NEXT) | instid1(SALU_CYCLE_1)
	s_add_i32 s3, s3, s4
	s_mul_hi_u32 s3, s15, s3
	s_delay_alu instid0(SALU_CYCLE_1) | instskip(SKIP_2) | instid1(SALU_CYCLE_1)
	s_mul_i32 s4, s3, s2
	s_add_i32 s5, s3, 1
	s_sub_i32 s4, s15, s4
	s_sub_i32 s6, s4, s2
	s_cmp_ge_u32 s4, s2
	s_cselect_b32 s3, s5, s3
	s_cselect_b32 s4, s6, s4
	s_add_i32 s5, s3, 1
	s_cmp_ge_u32 s4, s2
	s_cselect_b32 s33, s5, s3
	s_abs_i32 s2, s31
	s_abs_i32 s7, s27
	v_cvt_f32_u32_e32 v1, s2
	s_sub_i32 s4, 0, s2
	s_lshl_b32 s5, s15, 1
	s_mul_i32 s6, s33, s27
	s_delay_alu instid0(VALU_DEP_1) | instskip(SKIP_3) | instid1(VALU_DEP_1)
	v_rcp_iflag_f32_e32 v1, v1
	s_sub_i32 s28, s5, s6
	s_waitcnt_depctr 0xfff
	v_mul_f32_e32 v1, 0x4f7ffffe, v1
	v_cvt_u32_f32_e32 v1, v1
	s_delay_alu instid0(VALU_DEP_1) | instskip(NEXT) | instid1(VALU_DEP_1)
	v_readfirstlane_b32 s3, v1
	s_mul_i32 s4, s4, s3
	s_delay_alu instid0(SALU_CYCLE_1) | instskip(NEXT) | instid1(SALU_CYCLE_1)
	s_mul_hi_u32 s4, s3, s4
	s_add_i32 s3, s3, s4
	s_xor_b32 s4, s27, s31
	s_mul_hi_u32 s3, s7, s3
	s_ashr_i32 s4, s4, 31
	s_mul_i32 s5, s3, s2
	s_add_i32 s6, s3, 1
	s_sub_i32 s5, s7, s5
	s_delay_alu instid0(SALU_CYCLE_1)
	s_sub_i32 s7, s5, s2
	s_cmp_ge_u32 s5, s2
	s_cselect_b32 s3, s6, s3
	s_cselect_b32 s5, s7, s5
	s_add_i32 s6, s3, 1
	s_cmp_ge_u32 s5, s2
	s_cselect_b32 s2, s6, s3
	s_delay_alu instid0(SALU_CYCLE_1) | instskip(NEXT) | instid1(SALU_CYCLE_1)
	s_xor_b32 s2, s2, s4
	s_sub_i32 s9, s2, s4
	s_clause 0x1
	s_load_b512 s[36:51], s[0:1], 0x0
	s_load_b64 s[2:3], s[0:1], 0xb8
	s_abs_i32 s8, s9
	s_delay_alu instid0(SALU_CYCLE_1) | instskip(NEXT) | instid1(VALU_DEP_1)
	v_cvt_f32_u32_e32 v1, s8
	v_rcp_iflag_f32_e32 v1, v1
	s_waitcnt_depctr 0xfff
	v_mul_f32_e32 v1, 0x4f7ffffe, v1
	s_waitcnt lgkmcnt(0)
	s_cmp_eq_u64 s[42:43], 0
	s_delay_alu instid0(VALU_DEP_1) | instskip(NEXT) | instid1(VALU_DEP_1)
	v_cvt_u32_f32_e32 v1, v1
	v_readfirstlane_b32 s10, v1
	s_cbranch_scc1 .LBB37_2
; %bb.1:
	s_abs_i32 s2, s2
	s_abs_i32 s6, s33
	v_cvt_f32_u32_e32 v1, s2
	s_sub_i32 s5, 0, s2
	s_delay_alu instid0(VALU_DEP_1) | instskip(SKIP_2) | instid1(VALU_DEP_1)
	v_rcp_iflag_f32_e32 v1, v1
	s_waitcnt_depctr 0xfff
	v_mul_f32_e32 v1, 0x4f7ffffe, v1
	v_cvt_u32_f32_e32 v1, v1
	s_delay_alu instid0(VALU_DEP_1) | instskip(NEXT) | instid1(VALU_DEP_1)
	v_readfirstlane_b32 s4, v1
	s_mul_i32 s5, s5, s4
	s_delay_alu instid0(SALU_CYCLE_1) | instskip(NEXT) | instid1(SALU_CYCLE_1)
	s_mul_hi_u32 s5, s4, s5
	s_add_i32 s7, s4, s5
	s_load_b64 s[4:5], s[0:1], 0xc8
	s_mul_hi_u32 s7, s6, s7
	s_delay_alu instid0(SALU_CYCLE_1) | instskip(NEXT) | instid1(SALU_CYCLE_1)
	s_mul_i32 s7, s7, s2
	s_sub_i32 s6, s6, s7
	s_ashr_i32 s7, s33, 31
	s_sub_i32 s11, s6, s2
	s_cmp_ge_u32 s6, s2
	s_cselect_b32 s6, s11, s6
	s_delay_alu instid0(SALU_CYCLE_1) | instskip(SKIP_2) | instid1(SALU_CYCLE_1)
	s_sub_i32 s11, s6, s2
	s_cmp_ge_u32 s6, s2
	s_cselect_b32 s2, s11, s6
	s_xor_b32 s2, s2, s7
	s_delay_alu instid0(SALU_CYCLE_1)
	s_sub_i32 s2, s2, s7
	s_waitcnt lgkmcnt(0)
	s_mul_i32 s5, s2, s5
	s_mul_hi_u32 s6, s2, s4
	s_ashr_i32 s7, s2, 31
	s_add_i32 s5, s6, s5
	s_mul_i32 s7, s7, s4
	s_mul_i32 s2, s2, s4
	s_add_i32 s5, s5, s7
	s_add_u32 s34, s42, s2
	s_addc_u32 s35, s43, s5
.LBB37_2:
	v_bfe_u32 v8, v0, 10, 10
	s_lshl_b32 s31, s13, 4
	s_load_b128 s[4:7], s[0:1], 0x70
	v_and_b32_e32 v200, 0x3ff, v0
	s_delay_alu instid0(VALU_DEP_2) | instskip(SKIP_1) | instid1(VALU_DEP_2)
	v_lshlrev_b32_e32 v197, 2, v8
	v_lshlrev_b32_e32 v7, 3, v8
	v_add_nc_u32_e32 v199, s31, v197
	s_delay_alu instid0(VALU_DEP_2)
	v_or_b32_e32 v22, 2, v7
	v_or_b32_e32 v23, 3, v7
	;; [unrolled: 1-line block ×4, first 2 shown]
	v_mul_hi_u32 v1, v199, s24
	v_lshrrev_b32_e32 v196, 1, v22
	v_lshrrev_b32_e32 v194, 1, v23
	;; [unrolled: 1-line block ×4, first 2 shown]
	v_or_b32_e32 v27, 6, v7
	v_add_nc_u32_e32 v198, s31, v196
	s_waitcnt lgkmcnt(0)
	s_mul_i32 s2, s33, s6
	v_add_nc_u32_e32 v0, v199, v1
	s_mul_i32 s6, s28, s5
	s_ashr_i32 s7, s2, 31
	v_mul_hi_u32 v1, v198, s24
	s_add_u32 s2, s36, s2
	v_lshrrev_b32_e32 v0, s25, v0
	s_addc_u32 s7, s37, s7
	s_ashr_i32 s11, s6, 31
	s_add_u32 s2, s2, s6
	s_addc_u32 s6, s7, s11
	v_mul_lo_u32 v0, v0, s26
	v_add_nc_u32_e32 v1, v198, v1
	s_ashr_i32 s7, s4, 31
	v_add_nc_u32_e32 v195, s31, v194
	v_alignbit_b32 v20, s7, s4, 2
	v_add_nc_u32_e32 v193, s31, v192
	v_lshrrev_b32_e32 v2, s25, v1
	s_lshr_b32 s4, s7, 2
	v_sub_nc_u32_e32 v9, v199, v0
	v_mul_hi_u32 v3, v195, s24
	v_mul_hi_u32 v4, v193, s24
	v_mul_lo_u32 v2, v2, s26
	s_ashr_i32 s7, s5, 31
	v_mad_u64_u32 v[0:1], null, v20, v9, 0
	s_and_b32 s5, s5, -4
	v_add_nc_u32_e32 v190, s31, v188
	v_add_nc_u32_e32 v5, v195, v3
	;; [unrolled: 1-line block ×3, first 2 shown]
	v_sub_nc_u32_e32 v6, v198, v2
	s_add_u32 s5, s2, s5
	v_mad_u64_u32 v[2:3], null, s4, v9, v[1:2]
	v_lshrrev_b32_e32 v1, s25, v5
	s_delay_alu instid0(VALU_DEP_3) | instskip(SKIP_2) | instid1(VALU_DEP_3)
	v_mad_u64_u32 v[3:4], null, v20, v6, 0
	s_addc_u32 s7, s6, s7
	v_lshrrev_b32_e32 v10, s25, v10
	v_mul_lo_u32 v5, v1, s26
	v_dual_mov_b32 v1, v2 :: v_dual_lshlrev_b32 v26, 3, v200
	v_or_b32_e32 v28, 7, v7
	v_mov_b32_e32 v2, v4
	v_mul_lo_u32 v10, v10, s26
	s_delay_alu instid0(VALU_DEP_4)
	v_lshlrev_b64 v[0:1], 2, v[0:1]
	v_mul_hi_u32 v14, v190, s24
	v_sub_nc_u32_e32 v16, v195, v5
	v_mad_u64_u32 v[4:5], null, s4, v6, v[2:3]
	v_lshrrev_b32_e32 v189, 1, v27
	v_add_co_u32 v2, vcc_lo, s2, v0
	v_add_co_ci_u32_e32 v5, vcc_lo, s6, v1, vcc_lo
	v_add_co_u32 v6, vcc_lo, s5, v0
	v_add_co_ci_u32_e32 v11, vcc_lo, s7, v1, vcc_lo
	s_delay_alu instid0(VALU_DEP_4) | instskip(NEXT) | instid1(VALU_DEP_4)
	v_add_co_u32 v0, vcc_lo, v2, v26
	v_add_co_ci_u32_e32 v1, vcc_lo, 0, v5, vcc_lo
	s_delay_alu instid0(VALU_DEP_4) | instskip(NEXT) | instid1(VALU_DEP_4)
	v_add_co_u32 v5, vcc_lo, v6, v26
	v_add_co_ci_u32_e32 v6, vcc_lo, 0, v11, vcc_lo
	s_clause 0x1
	global_load_b64 v[0:1], v[0:1], off
	global_load_b64 v[5:6], v[5:6], off
	v_sub_nc_u32_e32 v17, v193, v10
	v_mad_u64_u32 v[10:11], null, v20, v16, 0
	v_lshrrev_b32_e32 v186, 1, v28
	v_lshlrev_b64 v[2:3], 2, v[3:4]
	s_delay_alu instid0(VALU_DEP_4) | instskip(SKIP_1) | instid1(VALU_DEP_4)
	v_mad_u64_u32 v[12:13], null, v20, v17, 0
	v_add_nc_u32_e32 v191, s31, v189
	v_dual_mov_b32 v4, v11 :: v_dual_add_nc_u32 v187, s31, v186
	v_add_nc_u32_e32 v7, v190, v14
	v_lshlrev_b32_e32 v201, 2, v200
	s_cmp_eq_u64 s[46:47], 0
	s_delay_alu instid0(VALU_DEP_2) | instskip(NEXT) | instid1(VALU_DEP_1)
	v_lshrrev_b32_e32 v7, s25, v7
	v_mul_lo_u32 v7, v7, s26
	s_delay_alu instid0(VALU_DEP_1)
	v_sub_nc_u32_e32 v7, v190, v7
	s_waitcnt vmcnt(0)
	v_mad_u64_u32 v[14:15], null, s4, v16, v[4:5]
	v_mov_b32_e32 v4, v13
	v_mul_hi_u32 v13, v191, s24
	v_mul_hi_u32 v15, v187, s24
	v_add_co_u32 v16, vcc_lo, s2, v2
	v_add_co_ci_u32_e32 v18, vcc_lo, s6, v3, vcc_lo
	v_mov_b32_e32 v11, v14
	v_mad_u64_u32 v[2:3], null, s4, v17, v[4:5]
	v_add_nc_u32_e32 v13, v191, v13
	v_add_nc_u32_e32 v14, v187, v15
	v_add_co_u32 v3, vcc_lo, v16, v26
	v_lshlrev_b64 v[10:11], 2, v[10:11]
	s_delay_alu instid0(VALU_DEP_4) | instskip(NEXT) | instid1(VALU_DEP_4)
	v_lshrrev_b32_e32 v16, s25, v13
	v_lshrrev_b32_e32 v17, s25, v14
	v_mad_u64_u32 v[14:15], null, v20, v7, 0
	v_mov_b32_e32 v13, v2
	s_delay_alu instid0(VALU_DEP_4) | instskip(NEXT) | instid1(VALU_DEP_4)
	v_mul_lo_u32 v16, v16, s26
	v_mul_lo_u32 v17, v17, s26
	v_add_co_ci_u32_e32 v4, vcc_lo, 0, v18, vcc_lo
	v_add_co_u32 v21, vcc_lo, s5, v10
	v_mov_b32_e32 v2, v15
	v_add_co_ci_u32_e32 v29, vcc_lo, s7, v11, vcc_lo
	v_sub_nc_u32_e32 v30, v191, v16
	v_sub_nc_u32_e32 v31, v187, v17
	v_lshlrev_b64 v[10:11], 2, v[12:13]
	v_mad_u64_u32 v[12:13], null, s4, v7, v[2:3]
	s_delay_alu instid0(VALU_DEP_4) | instskip(NEXT) | instid1(VALU_DEP_4)
	v_mad_u64_u32 v[16:17], null, v20, v30, 0
	v_mad_u64_u32 v[18:19], null, v20, v31, 0
	s_delay_alu instid0(VALU_DEP_2) | instskip(NEXT) | instid1(VALU_DEP_2)
	v_dual_mov_b32 v15, v12 :: v_dual_mov_b32 v2, v17
	v_mov_b32_e32 v7, v19
	v_add_co_u32 v20, vcc_lo, v21, v26
	v_add_co_ci_u32_e32 v21, vcc_lo, 0, v29, vcc_lo
	v_add_co_u32 v17, vcc_lo, s2, v10
	v_add_co_ci_u32_e32 v29, vcc_lo, s6, v11, vcc_lo
	v_mad_u64_u32 v[10:11], null, s4, v30, v[2:3]
	v_lshlrev_b64 v[11:12], 2, v[14:15]
	v_mad_u64_u32 v[13:14], null, s4, v31, v[7:8]
	v_add_co_u32 v14, vcc_lo, v17, v26
	v_add_co_ci_u32_e32 v15, vcc_lo, 0, v29, vcc_lo
	v_mov_b32_e32 v17, v10
	v_add_co_u32 v2, vcc_lo, s5, v11
	v_mov_b32_e32 v19, v13
	v_add_co_ci_u32_e32 v7, vcc_lo, s7, v12, vcc_lo
	s_delay_alu instid0(VALU_DEP_4) | instskip(NEXT) | instid1(VALU_DEP_4)
	v_lshlrev_b64 v[10:11], 2, v[16:17]
	v_add_co_u32 v12, vcc_lo, v2, v26
	s_delay_alu instid0(VALU_DEP_4) | instskip(NEXT) | instid1(VALU_DEP_4)
	v_lshlrev_b64 v[16:17], 2, v[18:19]
	v_add_co_ci_u32_e32 v13, vcc_lo, 0, v7, vcc_lo
	s_delay_alu instid0(VALU_DEP_4) | instskip(SKIP_1) | instid1(VALU_DEP_4)
	v_add_co_u32 v2, vcc_lo, s2, v10
	v_add_co_ci_u32_e32 v7, vcc_lo, s6, v11, vcc_lo
	v_add_co_u32 v16, vcc_lo, s5, v16
	v_add_co_ci_u32_e32 v17, vcc_lo, s7, v17, vcc_lo
	s_delay_alu instid0(VALU_DEP_4) | instskip(NEXT) | instid1(VALU_DEP_4)
	v_add_co_u32 v10, vcc_lo, v2, v26
	v_add_co_ci_u32_e32 v11, vcc_lo, 0, v7, vcc_lo
	s_delay_alu instid0(VALU_DEP_4) | instskip(NEXT) | instid1(VALU_DEP_4)
	v_add_co_u32 v16, vcc_lo, v16, v26
	v_add_co_ci_u32_e32 v17, vcc_lo, 0, v17, vcc_lo
	s_clause 0x5
	global_load_b64 v[2:3], v[3:4], off
	global_load_b64 v[18:19], v[20:21], off
	;; [unrolled: 1-line block ×6, first 2 shown]
	s_load_b32 s2, s[0:1], 0x40
	v_lshl_or_b32 v4, v8, 10, v201
	v_lshlrev_b32_e32 v7, 5, v22
	v_lshlrev_b32_e32 v20, 5, v23
	;; [unrolled: 1-line block ×4, first 2 shown]
	v_add_nc_u32_e32 v4, 0x3400, v4
	v_lshl_or_b32 v21, v24, 7, v201
	v_lshlrev_b32_e32 v24, 5, v28
	v_add_lshl_u32 v7, v7, v200, 2
	v_add_lshl_u32 v20, v20, v200, 2
	s_waitcnt lgkmcnt(0)
	v_fma_mixlo_f16 v0, v0, s2, 0
	v_fma_mixlo_f16 v5, v5, s2, 0
	s_delay_alu instid0(VALU_DEP_2) | instskip(NEXT) | instid1(VALU_DEP_2)
	v_fma_mixhi_f16 v0, v1, s2, 0
	v_fma_mixhi_f16 v5, v6, s2, 0
	v_add_lshl_u32 v1, v22, v200, 2
	v_add_lshl_u32 v6, v23, v200, 2
	;; [unrolled: 1-line block ×3, first 2 shown]
	ds_store_2addr_b32 v4, v0, v5 offset1:32
	s_waitcnt vmcnt(5)
	v_fma_mixlo_f16 v0, v2, s2, 0
	s_waitcnt vmcnt(4)
	v_fma_mixlo_f16 v2, v18, s2, 0
	s_waitcnt vmcnt(3)
	v_fma_mixlo_f16 v4, v14, s2, 0
	s_waitcnt vmcnt(2)
	v_fma_mixlo_f16 v5, v12, s2, 0
	s_waitcnt vmcnt(1)
	v_fma_mixlo_f16 v10, v10, s2, 0
	s_waitcnt vmcnt(0)
	v_fma_mixlo_f16 v12, v16, s2, 0
	v_fma_mixhi_f16 v0, v3, s2, 0
	v_fma_mixhi_f16 v2, v19, s2, 0
	;; [unrolled: 1-line block ×6, first 2 shown]
	ds_store_b32 v7, v0 offset:13312
	ds_store_b32 v20, v2 offset:13312
	;; [unrolled: 1-line block ×6, first 2 shown]
	s_waitcnt lgkmcnt(0)
	s_barrier
	buffer_gl0_inv
	s_cbranch_scc1 .LBB37_4
; %bb.3:
	s_load_b32 s2, s[0:1], 0xd0
	s_mov_b32 s5, 0
	s_waitcnt lgkmcnt(0)
	s_mul_i32 s2, s2, s33
	s_delay_alu instid0(SALU_CYCLE_1) | instskip(NEXT) | instid1(SALU_CYCLE_1)
	s_add_i32 s4, s2, s13
	s_lshl_b64 s[4:5], s[4:5], 2
	s_delay_alu instid0(SALU_CYCLE_1)
	s_add_u32 s4, s46, s4
	s_addc_u32 s5, s47, s5
	s_load_b32 s30, s[4:5], 0x0
.LBB37_4:
	v_mbcnt_lo_u32_b32 v202, -1, 0
	s_lshl_b32 s29, s14, 6
	s_waitcnt lgkmcnt(0)
	s_cmp_lt_i32 s29, s30
	s_cbranch_scc1 .LBB37_6
; %bb.5:
	v_mbcnt_lo_u32_b32 v10, -1, 0
	v_mov_b32_e32 v203, 32
	s_mov_b32 s2, 0
	s_mov_b32 s4, 0xfeffffff
	s_delay_alu instid0(VALU_DEP_2)
	v_xor_b32_e32 v208, 16, v10
	v_xor_b32_e32 v207, 8, v10
	;; [unrolled: 1-line block ×5, first 2 shown]
	s_branch .LBB37_7
.LBB37_6:
	s_mov_b32 s2, -1
                                        ; implicit-def: $sgpr4
                                        ; implicit-def: $vgpr10
                                        ; implicit-def: $vgpr203
                                        ; implicit-def: $vgpr208
                                        ; implicit-def: $vgpr207
                                        ; implicit-def: $vgpr206
                                        ; implicit-def: $vgpr205
                                        ; implicit-def: $vgpr204
.LBB37_7:
	s_delay_alu instid0(SALU_CYCLE_1) | instskip(SKIP_2) | instid1(VALU_DEP_3)
	v_cndmask_b32_e64 v0, 0, 1, s2
	v_dual_mov_b32 v7, s4 :: v_dual_mov_b32 v6, s4
	v_dual_mov_b32 v233, s2 :: v_dual_mov_b32 v4, s4
	v_cmp_ne_u32_e32 vcc_lo, 1, v0
	v_dual_mov_b32 v33, s2 :: v_dual_mov_b32 v2, s4
	v_dual_mov_b32 v5, s4 :: v_dual_mov_b32 v0, s4
	;; [unrolled: 1-line block ×9, first 2 shown]
	v_mov_b32_e32 v29, s2
	v_mov_b32_e32 v27, s2
	s_cbranch_vccnz .LBB37_11
; %bb.8:
	s_clause 0x1
	s_load_b128 s[4:7], s[0:1], 0x98
	s_load_b64 s[12:13], s[0:1], 0x8c
	s_sub_i32 s2, 0, s8
	s_abs_i32 s11, s28
	s_mul_i32 s2, s2, s10
	s_ashr_i32 s15, s28, 31
	s_mul_hi_u32 s2, s10, s2
	s_ashr_i32 s9, s9, 31
	s_add_i32 s10, s10, s2
	s_ashr_i32 s2, s3, 1
	s_mul_hi_u32 s3, s11, s10
	s_ashr_i32 s10, s33, 31
	s_load_b64 s[16:17], s[0:1], 0xa8
	s_mul_i32 s18, s3, s8
	v_lshrrev_b32_e32 v0, 3, v200
	v_dual_mov_b32 v31, 0 :: v_dual_add_nc_u32 v14, 3, v199
	v_dual_mov_b32 v203, 32 :: v_dual_add_nc_u32 v12, 1, v199
	v_mov_b32_e32 v29, 0
	s_waitcnt lgkmcnt(0)
	s_ashr_i32 s42, s6, 2
	s_mul_i32 s5, s33, s5
	s_mul_hi_u32 s6, s33, s4
	s_ashr_i32 s43, s12, 2
	s_mul_i32 s12, s10, s4
	s_add_i32 s5, s6, s5
	s_mul_i32 s4, s33, s4
	s_add_i32 s5, s5, s12
	s_add_u32 s4, s38, s4
	s_addc_u32 s5, s39, s5
	s_xor_b32 s6, s15, s9
	s_sub_i32 s9, s11, s18
	s_add_i32 s11, s3, 1
	s_sub_i32 s12, s9, s8
	s_cmp_ge_u32 s9, s8
	v_add_nc_u32_e32 v0, v0, v197
	s_cselect_b32 s3, s11, s3
	s_cselect_b32 s9, s12, s9
	s_add_i32 s11, s3, 1
	s_cmp_ge_u32 s9, s8
	v_mul_lo_u32 v1, s43, v0
	s_cselect_b32 s3, s11, s3
	v_mul_hi_u32 v10, s24, v14
	s_xor_b32 s3, s3, s6
	s_mul_i32 s8, s33, s17
	s_sub_i32 s3, s3, s6
	s_mul_hi_u32 s9, s33, s16
	s_mul_i32 s6, s3, s13
	s_mul_i32 s10, s10, s16
	s_ashr_i32 s12, s6, 31
	s_add_u32 s38, s4, s6
	s_addc_u32 s39, s5, s12
	s_add_i32 s4, s9, s8
	s_mul_i32 s11, s33, s16
	s_mul_i32 s3, s3, s7
	s_add_i32 s4, s4, s10
	s_add_u32 s5, s40, s11
	v_dual_mov_b32 v27, 0 :: v_dual_and_b32 v18, 28, v201
	v_mul_hi_u32 v6, s24, v12
	v_ashrrev_i32_e32 v2, 31, v1
	v_add_nc_u32_e32 v10, v14, v10
	s_addc_u32 s4, s41, s4
	s_ashr_i32 s6, s3, 31
	s_add_u32 s40, s5, s3
	s_addc_u32 s41, s4, s6
	s_lshl_b32 s3, s43, 4
	v_dual_mov_b32 v26, 0 :: v_dual_lshlrev_b32 v11, 2, v18
	v_add_nc_u32_e32 v13, 2, v199
	v_dual_mov_b32 v28, 0 :: v_dual_add_nc_u32 v3, s3, v1
	v_lshlrev_b64 v[136:137], 2, v[1:2]
	v_mov_b32_e32 v1, 0xfeffffff
	v_lshrrev_b32_e32 v10, s25, v10
	v_dual_mov_b32 v32, 0 :: v_dual_add_nc_u32 v15, v12, v6
	v_mad_u32_u24 v209, 0x90, v0, v11
	v_lshl_or_b32 v219, v0, 7, v11
	s_delay_alu instid0(VALU_DEP_4)
	v_mul_lo_u32 v19, v10, s26
	v_mul_lo_u32 v10, s42, v0
	v_mov_b32_e32 v0, 0xfeffffff
	v_mul_hi_u32 v7, s24, v13
	v_lshrrev_b32_e32 v15, s25, v15
	v_dual_mov_b32 v30, 0 :: v_dual_add_nc_u32 v5, s3, v3
	v_mov_b32_e32 v2, 0xfeffffff
	v_ashrrev_i32_e32 v4, 31, v3
	s_delay_alu instid0(VALU_DEP_4)
	v_mul_lo_u32 v15, v15, s26
	v_sub_nc_u32_e32 v14, v14, v19
	v_add_nc_u32_e32 v7, v13, v7
	v_ashrrev_i32_e32 v6, 31, v5
	v_lshlrev_b64 v[138:139], 2, v[3:4]
	v_mov_b32_e32 v3, 0xfeffffff
	v_mul_lo_u32 v218, v14, s2
	v_lshrrev_b32_e32 v16, s25, v7
	v_dual_mov_b32 v4, 0xfeffffff :: v_dual_add_nc_u32 v7, s3, v5
	s_lshl_b32 s3, s42, 4
	v_sub_nc_u32_e32 v15, v12, v15
	v_add_nc_u32_e32 v12, s3, v10
	v_mul_lo_u32 v16, v16, s26
	v_lshlrev_b32_e32 v17, 10, v8
	v_ashrrev_i32_e32 v8, 31, v7
	v_lshlrev_b64 v[140:141], 2, v[5:6]
	v_mov_b32_e32 v6, 0xfeffffff
	v_dual_mov_b32 v5, 0xfeffffff :: v_dual_add_nc_u32 v14, s3, v12
	v_dual_mov_b32 v237, 0 :: v_dual_add_nc_u32 v214, 0x3400, v17
	v_sub_nc_u32_e32 v13, v13, v16
	s_delay_alu instid0(VALU_DEP_3) | instskip(SKIP_2) | instid1(VALU_DEP_4)
	v_add_nc_u32_e32 v16, s3, v14
	v_mul_lo_u32 v216, v15, s2
	v_dual_mov_b32 v239, 0 :: v_dual_add_nc_u32 v220, 0x2400, v17
	v_mul_lo_u32 v217, v13, s2
	v_ashrrev_i32_e32 v11, 31, v10
	v_ashrrev_i32_e32 v13, 31, v12
	;; [unrolled: 1-line block ×3, first 2 shown]
	v_lshlrev_b64 v[142:143], 2, v[7:8]
	v_mov_b32_e32 v7, 0xfeffffff
	v_ashrrev_i32_e32 v17, 31, v16
	v_mul_lo_u32 v215, v9, s2
	v_dual_mov_b32 v238, 0 :: v_dual_lshlrev_b32 v9, 4, v200
	v_lshlrev_b64 v[144:145], 2, v[10:11]
	v_lshlrev_b64 v[146:147], 2, v[12:13]
	;; [unrolled: 1-line block ×4, first 2 shown]
	v_dual_mov_b32 v33, 0 :: v_dual_add_nc_u32 v210, 0x900, v209
	v_dual_mov_b32 v236, 0 :: v_dual_add_nc_u32 v211, 0x1200, v209
	;; [unrolled: 1-line block ×3, first 2 shown]
	v_mul_u32_u24_e32 v213, 0x90, v200
	v_dual_mov_b32 v240, 0 :: v_dual_add_nc_u32 v221, 0x800, v219
	v_dual_mov_b32 v241, 0 :: v_dual_add_nc_u32 v222, 0x1000, v219
	v_add_nc_u32_e32 v223, 0x1800, v219
	v_dual_mov_b32 v233, 0 :: v_dual_lshlrev_b32 v224, 2, v18
	v_xor_b32_e32 v208, 16, v202
	v_xor_b32_e32 v207, 8, v202
	;; [unrolled: 1-line block ×5, first 2 shown]
	v_add_nc_u32_e32 v225, v220, v9
	v_add_nc_u32_e32 v226, 0x400, v201
	;; [unrolled: 1-line block ×8, first 2 shown]
	s_add_u32 s36, s0, 0xd0
	s_addc_u32 s37, s1, 0
.LBB37_9:                               ; =>This Inner Loop Header: Depth=1
	v_cmp_gt_i32_e32 vcc_lo, 32, v208
	v_dual_mov_b32 v44, v2 :: v_dual_mov_b32 v45, v1
	v_mov_b32_e32 v62, 0
	v_dual_mov_b32 v42, v4 :: v_dual_mov_b32 v43, v3
	v_cndmask_b32_e32 v1, v202, v208, vcc_lo
	v_cmp_gt_i32_e32 vcc_lo, 32, v207
	v_dual_mov_b32 v46, v0 :: v_dual_mov_b32 v47, 0
	s_mul_hi_i32 s3, s29, s43
	s_mul_i32 s2, s29, s43
	v_cndmask_b32_e32 v2, v202, v207, vcc_lo
	v_cmp_gt_i32_e32 vcc_lo, 32, v206
	v_add_nc_u32_e32 v0, s29, v200
	s_lshl_b64 s[2:3], s[2:3], 2
	s_mul_hi_i32 s5, s29, s42
	s_mul_i32 s4, s29, s42
	v_cndmask_b32_e32 v3, v202, v206, vcc_lo
	v_cmp_gt_i32_e32 vcc_lo, 32, v205
	v_dual_mov_b32 v38, v235 :: v_dual_mov_b32 v41, v5
	s_add_u32 s8, s38, s2
	s_addc_u32 s9, s39, s3
	v_cndmask_b32_e32 v4, v202, v205, vcc_lo
	v_cmp_gt_i32_e32 vcc_lo, 32, v204
	v_mov_b32_e32 v234, v233
	s_lshl_b64 s[6:7], s[4:5], 2
	v_lshlrev_b32_e32 v65, 2, v3
	v_add_co_u32 v3, s4, s8, v136
	v_cndmask_b32_e32 v5, v202, v204, vcc_lo
	v_dual_mov_b32 v39, v7 :: v_dual_mov_b32 v40, v6
	v_add_nc_u32_e32 v7, v0, v215
	v_add_nc_u32_e32 v9, v0, v216
	;; [unrolled: 1-line block ×4, first 2 shown]
	v_lshlrev_b32_e32 v67, 2, v1
	v_lshlrev_b32_e32 v66, 2, v2
	v_add_co_u32 v0, vcc_lo, s8, v138
	v_add_co_u32 v1, s2, s8, v140
	v_add_co_u32 v2, s3, s8, v142
	s_add_u32 s5, s40, s6
	v_lshlrev_b32_e32 v64, 2, v4
	v_add_co_ci_u32_e64 v4, s4, s9, v137, s4
	v_lshlrev_b32_e32 v63, 2, v5
	v_add_co_ci_u32_e32 v5, vcc_lo, s9, v139, vcc_lo
	v_add_co_ci_u32_e64 v6, vcc_lo, s9, v141, s2
	v_add_co_ci_u32_e64 v17, vcc_lo, s9, v143, s3
	s_addc_u32 s6, s41, s7
	v_add_co_u32 v23, s4, s5, v144
	v_add_co_u32 v18, vcc_lo, s5, v146
	v_add_co_u32 v19, s2, s5, v148
	v_add_co_u32 v22, s3, s5, v150
	v_add_co_ci_u32_e64 v70, s4, s6, v145, s4
	v_add_co_ci_u32_e32 v71, vcc_lo, s6, v147, vcc_lo
	v_add_co_ci_u32_e64 v74, vcc_lo, s6, v149, s2
	v_add_co_ci_u32_e64 v75, vcc_lo, s6, v151, s3
	v_add_co_u32 v15, s4, v3, v224
	v_add_co_u32 v20, vcc_lo, v0, v224
	v_ashrrev_i32_e32 v8, 31, v7
	v_add_co_u32 v68, s2, v1, v224
	v_add_co_u32 v72, s3, v2, v224
	v_add_co_ci_u32_e64 v16, s4, 0, v4, s4
	v_add_co_ci_u32_e32 v21, vcc_lo, 0, v5, vcc_lo
	v_add_co_ci_u32_e64 v69, vcc_lo, 0, v6, s2
	v_add_co_ci_u32_e64 v73, vcc_lo, 0, v17, s3
	v_add_co_u32 v2, vcc_lo, v18, v224
	v_add_co_u32 v4, s2, v19, v224
	v_add_co_u32 v0, s3, v22, v224
	;; [unrolled: 1-line block ×3, first 2 shown]
	v_lshlrev_b64 v[76:77], 1, v[7:8]
	v_add_co_ci_u32_e64 v7, s4, 0, v70, s4
	v_add_co_ci_u32_e32 v3, vcc_lo, 0, v71, vcc_lo
	v_add_co_ci_u32_e64 v5, vcc_lo, 0, v74, s2
	v_add_co_ci_u32_e64 v1, vcc_lo, 0, v75, s3
	s_clause 0x3
	global_load_b128 v[16:19], v[15:16], off
	global_load_b128 v[20:23], v[20:21], off
	global_load_b128 v[68:71], v[68:69], off
	global_load_b128 v[72:75], v[72:73], off
	v_ashrrev_i32_e32 v10, 31, v9
	v_ashrrev_i32_e32 v12, 31, v11
	;; [unrolled: 1-line block ×3, first 2 shown]
	v_add_co_u32 v8, vcc_lo, s34, v76
	s_delay_alu instid0(VALU_DEP_4) | instskip(NEXT) | instid1(VALU_DEP_4)
	v_lshlrev_b64 v[78:79], 1, v[9:10]
	v_lshlrev_b64 v[80:81], 1, v[11:12]
	v_add_co_ci_u32_e32 v9, vcc_lo, s35, v77, vcc_lo
	v_lshlrev_b64 v[82:83], 1, v[13:14]
	v_dual_mov_b32 v48, 0 :: v_dual_mov_b32 v49, 0
	v_add_co_u32 v10, vcc_lo, s34, v78
	v_add_co_ci_u32_e32 v11, vcc_lo, s35, v79, vcc_lo
	v_add_co_u32 v12, vcc_lo, s34, v80
	v_add_co_ci_u32_e32 v13, vcc_lo, s35, v81, vcc_lo
	;; [unrolled: 2-line block ×3, first 2 shown]
	v_dual_mov_b32 v50, 0 :: v_dual_mov_b32 v51, 0
	v_dual_mov_b32 v52, 0 :: v_dual_mov_b32 v53, 0
	;; [unrolled: 1-line block ×9, first 2 shown]
	s_waitcnt vmcnt(3)
	ds_store_b128 v209, v[16:19]
	s_waitcnt vmcnt(2)
	ds_store_b128 v210, v[20:23]
	;; [unrolled: 2-line block ×4, first 2 shown]
	s_waitcnt lgkmcnt(0)
	s_barrier
	buffer_gl0_inv
	ds_load_b128 v[16:19], v213
	ds_load_b128 v[20:23], v214
	ds_load_b128 v[68:71], v214 offset:128
	ds_load_b128 v[72:75], v214 offset:256
	;; [unrolled: 1-line block ×8, first 2 shown]
	s_waitcnt lgkmcnt(8)
	;;#ASMSTART
	v_dot2_f32_f16 v47, v16, v20, v47
	;;#ASMEND
	;;#ASMSTART
	v_dot2_f32_f16 v47, v17, v21, v47
	;;#ASMEND
	;;#ASMSTART
	v_dot2_f32_f16 v47, v18, v22, v47
	;;#ASMEND
	;;#ASMSTART
	v_dot2_f32_f16 v47, v19, v23, v47
	;;#ASMEND
	s_waitcnt lgkmcnt(7)
	;;#ASMSTART
	v_dot2_f32_f16 v48, v16, v68, v48
	;;#ASMEND
	;;#ASMSTART
	v_dot2_f32_f16 v48, v17, v69, v48
	;;#ASMEND
	;;#ASMSTART
	v_dot2_f32_f16 v48, v18, v70, v48
	;;#ASMEND
	;;#ASMSTART
	v_dot2_f32_f16 v48, v19, v71, v48
	;;#ASMEND
	;; [unrolled: 13-line block ×8, first 2 shown]
	;;#ASMSTART
	v_dot2_f32_f16 v55, v80, v20, v55
	;;#ASMEND
	;;#ASMSTART
	v_dot2_f32_f16 v55, v81, v21, v55
	;;#ASMEND
	;; [unrolled: 3-line block ×32, first 2 shown]
	ds_load_b128 v[16:19], v213 offset:16
	ds_load_b128 v[20:23], v214 offset:16
	;; [unrolled: 1-line block ×10, first 2 shown]
	s_waitcnt lgkmcnt(8)
	;;#ASMSTART
	v_dot2_f32_f16 v47, v16, v20, v47
	;;#ASMEND
	;;#ASMSTART
	v_dot2_f32_f16 v47, v17, v21, v47
	;;#ASMEND
	;;#ASMSTART
	v_dot2_f32_f16 v47, v18, v22, v47
	;;#ASMEND
	;;#ASMSTART
	v_dot2_f32_f16 v47, v19, v23, v47
	;;#ASMEND
	s_waitcnt lgkmcnt(7)
	;;#ASMSTART
	v_dot2_f32_f16 v48, v16, v68, v48
	;;#ASMEND
	;;#ASMSTART
	v_dot2_f32_f16 v48, v17, v69, v48
	;;#ASMEND
	;;#ASMSTART
	v_dot2_f32_f16 v48, v18, v70, v48
	;;#ASMEND
	;;#ASMSTART
	v_dot2_f32_f16 v48, v19, v71, v48
	;;#ASMEND
	;; [unrolled: 13-line block ×8, first 2 shown]
	;;#ASMSTART
	v_dot2_f32_f16 v55, v80, v20, v55
	;;#ASMEND
	;;#ASMSTART
	v_dot2_f32_f16 v55, v81, v21, v55
	;;#ASMEND
	;; [unrolled: 3-line block ×32, first 2 shown]
	ds_load_b128 v[16:19], v213 offset:32
	ds_load_b128 v[20:23], v214 offset:32
	;; [unrolled: 1-line block ×10, first 2 shown]
	s_waitcnt lgkmcnt(8)
	;;#ASMSTART
	v_dot2_f32_f16 v47, v16, v20, v47
	;;#ASMEND
	;;#ASMSTART
	v_dot2_f32_f16 v47, v17, v21, v47
	;;#ASMEND
	;;#ASMSTART
	v_dot2_f32_f16 v47, v18, v22, v47
	;;#ASMEND
	;;#ASMSTART
	v_dot2_f32_f16 v47, v19, v23, v47
	;;#ASMEND
	s_waitcnt lgkmcnt(7)
	;;#ASMSTART
	v_dot2_f32_f16 v48, v16, v68, v48
	;;#ASMEND
	;;#ASMSTART
	v_dot2_f32_f16 v48, v17, v69, v48
	;;#ASMEND
	;;#ASMSTART
	v_dot2_f32_f16 v48, v18, v70, v48
	;;#ASMEND
	;;#ASMSTART
	v_dot2_f32_f16 v48, v19, v71, v48
	;;#ASMEND
	;; [unrolled: 13-line block ×8, first 2 shown]
	;;#ASMSTART
	v_dot2_f32_f16 v55, v80, v20, v55
	;;#ASMEND
	;;#ASMSTART
	v_dot2_f32_f16 v55, v81, v21, v55
	;;#ASMEND
	;; [unrolled: 3-line block ×32, first 2 shown]
	ds_load_b128 v[16:19], v213 offset:48
	ds_load_b128 v[20:23], v214 offset:48
	;; [unrolled: 1-line block ×10, first 2 shown]
	s_waitcnt lgkmcnt(8)
	;;#ASMSTART
	v_dot2_f32_f16 v47, v16, v20, v47
	;;#ASMEND
	;;#ASMSTART
	v_dot2_f32_f16 v47, v17, v21, v47
	;;#ASMEND
	;;#ASMSTART
	v_dot2_f32_f16 v47, v18, v22, v47
	;;#ASMEND
	;;#ASMSTART
	v_dot2_f32_f16 v47, v19, v23, v47
	;;#ASMEND
	s_waitcnt lgkmcnt(7)
	;;#ASMSTART
	v_dot2_f32_f16 v48, v16, v68, v48
	;;#ASMEND
	;;#ASMSTART
	v_dot2_f32_f16 v48, v17, v69, v48
	;;#ASMEND
	;;#ASMSTART
	v_dot2_f32_f16 v48, v18, v70, v48
	;;#ASMEND
	;;#ASMSTART
	v_dot2_f32_f16 v48, v19, v71, v48
	;;#ASMEND
	;; [unrolled: 13-line block ×8, first 2 shown]
	;;#ASMSTART
	v_dot2_f32_f16 v55, v80, v20, v55
	;;#ASMEND
	;;#ASMSTART
	v_dot2_f32_f16 v55, v81, v21, v55
	;;#ASMEND
	;; [unrolled: 3-line block ×32, first 2 shown]
	ds_load_b128 v[16:19], v213 offset:64
	ds_load_b128 v[20:23], v214 offset:64
	ds_load_b128 v[68:71], v214 offset:192
	ds_load_b128 v[72:75], v214 offset:320
	ds_load_b128 v[76:79], v214 offset:448
	ds_load_b128 v[80:83], v213 offset:4672
	ds_load_b128 v[84:87], v214 offset:576
	ds_load_b128 v[88:91], v214 offset:704
	ds_load_b128 v[92:95], v214 offset:832
	ds_load_b128 v[96:99], v214 offset:960
	s_waitcnt lgkmcnt(8)
	;;#ASMSTART
	v_dot2_f32_f16 v47, v16, v20, v47
	;;#ASMEND
	;;#ASMSTART
	v_dot2_f32_f16 v47, v17, v21, v47
	;;#ASMEND
	;;#ASMSTART
	v_dot2_f32_f16 v47, v18, v22, v47
	;;#ASMEND
	;;#ASMSTART
	v_dot2_f32_f16 v47, v19, v23, v47
	;;#ASMEND
	s_waitcnt lgkmcnt(7)
	;;#ASMSTART
	v_dot2_f32_f16 v48, v16, v68, v48
	;;#ASMEND
	;;#ASMSTART
	v_dot2_f32_f16 v48, v17, v69, v48
	;;#ASMEND
	;;#ASMSTART
	v_dot2_f32_f16 v48, v18, v70, v48
	;;#ASMEND
	;;#ASMSTART
	v_dot2_f32_f16 v48, v19, v71, v48
	;;#ASMEND
	;; [unrolled: 13-line block ×8, first 2 shown]
	;;#ASMSTART
	v_dot2_f32_f16 v55, v80, v20, v55
	;;#ASMEND
	;;#ASMSTART
	v_dot2_f32_f16 v55, v81, v21, v55
	;;#ASMEND
	;; [unrolled: 3-line block ×32, first 2 shown]
	ds_load_b128 v[16:19], v213 offset:80
	ds_load_b128 v[20:23], v214 offset:80
	;; [unrolled: 1-line block ×10, first 2 shown]
	s_waitcnt lgkmcnt(8)
	;;#ASMSTART
	v_dot2_f32_f16 v47, v16, v20, v47
	;;#ASMEND
	;;#ASMSTART
	v_dot2_f32_f16 v47, v17, v21, v47
	;;#ASMEND
	;;#ASMSTART
	v_dot2_f32_f16 v47, v18, v22, v47
	;;#ASMEND
	;;#ASMSTART
	v_dot2_f32_f16 v47, v19, v23, v47
	;;#ASMEND
	s_waitcnt lgkmcnt(7)
	;;#ASMSTART
	v_dot2_f32_f16 v48, v16, v68, v48
	;;#ASMEND
	;;#ASMSTART
	v_dot2_f32_f16 v48, v17, v69, v48
	;;#ASMEND
	;;#ASMSTART
	v_dot2_f32_f16 v48, v18, v70, v48
	;;#ASMEND
	;;#ASMSTART
	v_dot2_f32_f16 v48, v19, v71, v48
	;;#ASMEND
	;; [unrolled: 13-line block ×8, first 2 shown]
	;;#ASMSTART
	v_dot2_f32_f16 v55, v80, v20, v55
	;;#ASMEND
	;;#ASMSTART
	v_dot2_f32_f16 v55, v81, v21, v55
	;;#ASMEND
	;; [unrolled: 3-line block ×32, first 2 shown]
	ds_load_b128 v[16:19], v213 offset:96
	ds_load_b128 v[20:23], v214 offset:96
	;; [unrolled: 1-line block ×10, first 2 shown]
	s_waitcnt lgkmcnt(8)
	;;#ASMSTART
	v_dot2_f32_f16 v47, v16, v20, v47
	;;#ASMEND
	;;#ASMSTART
	v_dot2_f32_f16 v47, v17, v21, v47
	;;#ASMEND
	;;#ASMSTART
	v_dot2_f32_f16 v47, v18, v22, v47
	;;#ASMEND
	;;#ASMSTART
	v_dot2_f32_f16 v47, v19, v23, v47
	;;#ASMEND
	s_waitcnt lgkmcnt(7)
	;;#ASMSTART
	v_dot2_f32_f16 v48, v16, v68, v48
	;;#ASMEND
	;;#ASMSTART
	v_dot2_f32_f16 v48, v17, v69, v48
	;;#ASMEND
	;;#ASMSTART
	v_dot2_f32_f16 v48, v18, v70, v48
	;;#ASMEND
	;;#ASMSTART
	v_dot2_f32_f16 v48, v19, v71, v48
	;;#ASMEND
	;; [unrolled: 13-line block ×8, first 2 shown]
	;;#ASMSTART
	v_dot2_f32_f16 v55, v80, v20, v55
	;;#ASMEND
	;;#ASMSTART
	v_dot2_f32_f16 v55, v81, v21, v55
	;;#ASMEND
	;; [unrolled: 3-line block ×32, first 2 shown]
	ds_load_b128 v[16:19], v213 offset:112
	ds_load_b128 v[20:23], v214 offset:112
	;; [unrolled: 1-line block ×10, first 2 shown]
	s_waitcnt lgkmcnt(8)
	;;#ASMSTART
	v_dot2_f32_f16 v47, v16, v20, v47
	;;#ASMEND
	;;#ASMSTART
	v_dot2_f32_f16 v47, v17, v21, v47
	;;#ASMEND
	;;#ASMSTART
	v_dot2_f32_f16 v47, v18, v22, v47
	;;#ASMEND
	;;#ASMSTART
	v_dot2_f32_f16 v47, v19, v23, v47
	;;#ASMEND
	s_waitcnt lgkmcnt(7)
	;;#ASMSTART
	v_dot2_f32_f16 v48, v16, v68, v48
	;;#ASMEND
	;;#ASMSTART
	v_dot2_f32_f16 v48, v17, v69, v48
	;;#ASMEND
	;;#ASMSTART
	v_dot2_f32_f16 v48, v18, v70, v48
	;;#ASMEND
	;;#ASMSTART
	v_dot2_f32_f16 v48, v19, v71, v48
	;;#ASMEND
	;; [unrolled: 13-line block ×8, first 2 shown]
	;;#ASMSTART
	v_dot2_f32_f16 v55, v80, v20, v55
	;;#ASMEND
	;;#ASMSTART
	v_dot2_f32_f16 v55, v81, v21, v55
	;;#ASMEND
	;; [unrolled: 3-line block ×32, first 2 shown]
	s_clause 0x7
	flat_load_u16 v68, v[8:9]
	flat_load_u16 v69, v[8:9] offset:64
	flat_load_u16 v70, v[10:11]
	flat_load_u16 v71, v[10:11] offset:64
	;; [unrolled: 2-line block ×4, first 2 shown]
	s_waitcnt vmcnt(0) lgkmcnt(0)
	s_barrier
	buffer_gl0_inv
	s_clause 0x3
	global_load_b128 v[8:11], v[6:7], off
	global_load_b128 v[12:15], v[2:3], off
	;; [unrolled: 1-line block ×4, first 2 shown]
	v_cvt_f32_f16_e32 v0, v68
	v_cvt_f32_f16_e32 v1, v69
	;; [unrolled: 1-line block ×8, first 2 shown]
	v_add_f32_e32 v48, v48, v0
	v_dual_add_f32 v47, v47, v0 :: v_dual_add_f32 v68, v56, v1
	s_delay_alu instid0(VALU_DEP_3)
	v_dual_add_f32 v49, v49, v2 :: v_dual_add_f32 v76, v62, v7
	v_add_f32_e32 v70, v58, v3
	v_dual_add_f32 v58, v57, v3 :: v_dual_add_f32 v55, v55, v1
	v_dual_add_f32 v71, v52, v4 :: v_dual_add_f32 v74, v54, v6
	;; [unrolled: 1-line block ×6, first 2 shown]
	s_delay_alu instid0(VALU_DEP_4) | instskip(SKIP_2) | instid1(VALU_DEP_3)
	v_dual_add_f32 v3, 0x40051340, v68 :: v_dual_add_f32 v54, 0x40051340, v73
	v_dual_add_f32 v51, 0x40051340, v71 :: v_dual_add_f32 v60, 0x40051340, v76
	;; [unrolled: 1-line block ×3, first 2 shown]
	v_max3_f32 v1, v45, v1, v3
	v_max3_f32 v3, v44, v4, v6
	s_delay_alu instid0(VALU_DEP_4) | instskip(NEXT) | instid1(VALU_DEP_4)
	v_max3_f32 v4, v41, v51, v54
	v_dual_add_f32 v2, 0x40051340, v55 :: v_dual_add_f32 v5, 0x40051340, v69
	v_add_f32_e32 v50, 0x40051340, v72
	ds_bpermute_b32 v54, v67, v3
	v_dual_add_f32 v7, 0x40051340, v70 :: v_dual_add_f32 v56, 0x40051340, v75
	v_add_f32_e32 v59, 0x40051340, v77
	v_max3_f32 v0, v46, v0, v2
	v_add_f32_e32 v53, 0x40051340, v52
	s_delay_alu instid0(VALU_DEP_4)
	v_max3_f32 v2, v43, v5, v7
	ds_bpermute_b32 v51, v67, v0
	v_max3_f32 v5, v42, v50, v53
	ds_bpermute_b32 v50, v67, v1
	ds_bpermute_b32 v53, v67, v2
	s_waitcnt lgkmcnt(3)
	v_max_f32_e32 v54, v54, v54
	v_max3_f32 v7, v40, v56, v59
	ds_bpermute_b32 v56, v67, v4
	v_add_f32_e32 v57, 0x40051340, v74
	s_waitcnt lgkmcnt(2)
	v_max_f32_e32 v50, v50, v50
	s_waitcnt lgkmcnt(0)
	v_max_f32_e32 v56, v56, v56
	v_max3_f32 v6, v39, v57, v60
	ds_bpermute_b32 v57, v67, v5
	ds_bpermute_b32 v60, v67, v7
	v_dual_max_f32 v51, v51, v51 :: v_dual_max_f32 v4, v4, v56
	ds_bpermute_b32 v59, v67, v6
	ds_bpermute_b32 v56, v66, v4
	v_max_f32_e32 v3, v3, v54
	s_waitcnt lgkmcnt(2)
	v_dual_max_f32 v57, v57, v57 :: v_dual_max_f32 v60, v60, v60
	v_dual_max_f32 v53, v53, v53 :: v_dual_max_f32 v0, v0, v51
	s_waitcnt lgkmcnt(1)
	s_delay_alu instid0(VALU_DEP_1) | instskip(NEXT) | instid1(VALU_DEP_1)
	v_dual_max_f32 v59, v59, v59 :: v_dual_max_f32 v2, v2, v53
	v_dual_max_f32 v1, v1, v50 :: v_dual_max_f32 v6, v6, v59
	s_waitcnt lgkmcnt(0)
	v_max_f32_e32 v56, v56, v56
	ds_bpermute_b32 v54, v66, v3
	v_max_f32_e32 v7, v7, v60
	ds_bpermute_b32 v50, v66, v1
	;; [unrolled: 2-line block ×3, first 2 shown]
	ds_bpermute_b32 v53, v66, v2
	ds_bpermute_b32 v59, v66, v6
	v_max_f32_e32 v4, v4, v56
	ds_bpermute_b32 v56, v65, v4
	s_waitcnt lgkmcnt(5)
	v_max_f32_e32 v54, v54, v54
	ds_bpermute_b32 v60, v66, v7
	s_waitcnt lgkmcnt(5)
	;; [unrolled: 3-line block ×3, first 2 shown]
	v_max_f32_e32 v51, v51, v51
	s_waitcnt lgkmcnt(2)
	v_dual_max_f32 v3, v3, v54 :: v_dual_max_f32 v56, v56, v56
	ds_bpermute_b32 v54, v65, v3
	v_max_f32_e32 v4, v4, v56
	s_waitcnt lgkmcnt(2)
	v_dual_max_f32 v60, v60, v60 :: v_dual_max_f32 v53, v53, v53
	s_waitcnt lgkmcnt(1)
	v_dual_max_f32 v0, v0, v51 :: v_dual_max_f32 v57, v57, v57
	v_max_f32_e32 v59, v59, v59
	s_delay_alu instid0(VALU_DEP_3)
	v_dual_max_f32 v7, v7, v60 :: v_dual_max_f32 v2, v2, v53
	v_max_f32_e32 v1, v1, v50
	ds_bpermute_b32 v51, v65, v0
	v_max_f32_e32 v6, v6, v59
	ds_bpermute_b32 v56, v64, v4
	ds_bpermute_b32 v53, v65, v2
	;; [unrolled: 1-line block ×3, first 2 shown]
	s_waitcnt lgkmcnt(4)
	v_dual_max_f32 v5, v5, v57 :: v_dual_max_f32 v54, v54, v54
	ds_bpermute_b32 v60, v65, v7
	ds_bpermute_b32 v59, v65, v6
	v_max_f32_e32 v3, v3, v54
	s_waitcnt lgkmcnt(4)
	v_dual_max_f32 v51, v51, v51 :: v_dual_max_f32 v56, v56, v56
	ds_bpermute_b32 v54, v64, v3
	s_waitcnt lgkmcnt(3)
	v_max_f32_e32 v50, v50, v50
	ds_bpermute_b32 v57, v65, v5
	s_waitcnt lgkmcnt(3)
	v_dual_max_f32 v60, v60, v60 :: v_dual_max_f32 v53, v53, v53
	v_max_f32_e32 v0, v0, v51
	s_waitcnt lgkmcnt(2)
	v_dual_max_f32 v59, v59, v59 :: v_dual_max_f32 v4, v4, v56
	s_delay_alu instid0(VALU_DEP_3) | instskip(NEXT) | instid1(VALU_DEP_2)
	v_dual_max_f32 v7, v7, v60 :: v_dual_max_f32 v2, v2, v53
	v_dual_max_f32 v1, v1, v50 :: v_dual_max_f32 v6, v6, v59
	ds_bpermute_b32 v51, v64, v0
	ds_bpermute_b32 v56, v63, v4
	;; [unrolled: 1-line block ×5, first 2 shown]
	s_waitcnt lgkmcnt(6)
	v_max_f32_e32 v54, v54, v54
	ds_bpermute_b32 v60, v64, v7
	s_waitcnt lgkmcnt(6)
	v_max_f32_e32 v57, v57, v57
	s_delay_alu instid0(VALU_DEP_1)
	v_max_f32_e32 v5, v5, v57
	s_waitcnt lgkmcnt(4)
	v_dual_max_f32 v51, v51, v51 :: v_dual_max_f32 v56, v56, v56
	s_waitcnt lgkmcnt(2)
	v_max_f32_e32 v50, v50, v50
	ds_bpermute_b32 v57, v64, v5
	s_waitcnt lgkmcnt(1)
	v_dual_max_f32 v60, v60, v60 :: v_dual_max_f32 v1, v1, v50
	v_dual_max_f32 v50, v3, v54 :: v_dual_max_f32 v53, v53, v53
	v_max_f32_e32 v0, v0, v51
	v_max_f32_e32 v59, v59, v59
	ds_bpermute_b32 v3, v63, v1
	ds_bpermute_b32 v54, v63, v50
	v_dual_max_f32 v2, v2, v53 :: v_dual_max_f32 v53, v7, v60
	v_max_f32_e32 v6, v6, v59
	ds_bpermute_b32 v7, v63, v2
	ds_bpermute_b32 v59, v63, v6
	s_waitcnt lgkmcnt(4)
	v_max_f32_e32 v57, v57, v57
	s_delay_alu instid0(VALU_DEP_1)
	v_max_f32_e32 v51, v5, v57
	ds_bpermute_b32 v5, v63, v0
	ds_bpermute_b32 v57, v63, v51
	s_waitcnt lgkmcnt(4)
	v_max_f32_e32 v54, v54, v54
	ds_bpermute_b32 v60, v63, v53
	v_max_f32_e32 v3, v3, v3
	s_waitcnt lgkmcnt(2)
	v_max_f32_e32 v5, v5, v5
	s_waitcnt lgkmcnt(1)
	;; [unrolled: 2-line block ×3, first 2 shown]
	v_dual_max_f32 v1, v1, v3 :: v_dual_max_f32 v60, v60, v60
	v_dual_max_f32 v7, v7, v7 :: v_dual_max_f32 v0, v0, v5
	v_max_f32_e32 v59, v59, v59
	s_delay_alu instid0(VALU_DEP_2) | instskip(SKIP_1) | instid1(VALU_DEP_3)
	v_max_f32_e32 v3, v2, v7
	v_dual_max_f32 v2, v50, v54 :: v_dual_max_f32 v5, v4, v56
	v_dual_max_f32 v4, v51, v57 :: v_dual_max_f32 v7, v6, v59
	v_sub_f32_e32 v62, v48, v1
	v_max_f32_e32 v6, v53, v60
	v_dual_sub_f32 v56, v46, v0 :: v_dual_sub_f32 v57, v45, v1
	v_sub_f32_e32 v46, v55, v0
	v_dual_sub_f32 v61, v47, v0 :: v_dual_sub_f32 v60, v68, v1
	v_dual_sub_f32 v50, v44, v2 :: v_dual_sub_f32 v59, v69, v3
	v_sub_f32_e32 v58, v58, v2
	v_dual_sub_f32 v55, v49, v2 :: v_dual_sub_f32 v54, v70, v3
	v_dual_sub_f32 v51, v43, v3 :: v_dual_sub_f32 v52, v52, v4
	;; [unrolled: 1-line block ×4, first 2 shown]
	v_dual_sub_f32 v45, v77, v6 :: v_dual_mul_f32 v66, 0x3fb8aa3b, v56
	v_dual_sub_f32 v39, v39, v7 :: v_dual_mul_f32 v64, 0x3fb8aa3b, v62
	v_dual_sub_f32 v41, v76, v7 :: v_dual_mul_f32 v68, 0x3fb8aa3b, v57
	v_dual_mul_f32 v63, 0x3fb8aa3b, v46 :: v_dual_mul_f32 v70, 0x3fb8aa3b, v59
	v_mul_f32_e32 v65, 0x3fb8aa3b, v61
	v_mul_f32_e32 v67, 0x3fb8aa3b, v60
	v_dual_mul_f32 v71, 0x3fb8aa3b, v55 :: v_dual_mul_f32 v80, 0x3fb8aa3b, v44
	v_dual_sub_f32 v49, v72, v4 :: v_dual_sub_f32 v48, v73, v5
	v_dual_sub_f32 v42, v75, v6 :: v_dual_sub_f32 v47, v74, v7
	v_dual_mul_f32 v69, 0x3fb8aa3b, v58 :: v_dual_mul_f32 v76, 0x3fb8aa3b, v53
	v_mul_f32_e32 v72, 0x3fb8aa3b, v50
	v_dual_mul_f32 v73, 0x3fb8aa3b, v54 :: v_dual_mul_f32 v78, 0x3fb8aa3b, v43
	v_mul_f32_e32 v74, 0x3fb8aa3b, v51
	v_rndne_f32_e32 v88, v63
	v_fma_f32 v89, 0x3fb8aa3b, v62, -v64
	v_rndne_f32_e32 v90, v64
	v_fma_f32 v91, 0x3fb8aa3b, v61, -v65
	;; [unrolled: 2-line block ×5, first 2 shown]
	v_rndne_f32_e32 v98, v68
	v_rndne_f32_e32 v122, v80
	v_dual_mul_f32 v81, 0x3fb8aa3b, v45 :: v_dual_sub_f32 v64, v64, v90
	v_dual_mul_f32 v85, 0x3fb8aa3b, v41 :: v_dual_sub_f32 v66, v66, v94
	v_fma_f32 v87, 0x3fb8aa3b, v46, -v63
	v_rndne_f32_e32 v102, v70
	v_rndne_f32_e32 v106, v72
	;; [unrolled: 1-line block ×5, first 2 shown]
	v_fma_f32 v121, 0x3fb8aa3b, v44, -v80
	v_dual_sub_f32 v63, v63, v88 :: v_dual_sub_f32 v68, v68, v98
	v_fmac_f32_e32 v91, 0x32a5705f, v61
	v_sub_f32_e32 v65, v65, v92
	v_fmac_f32_e32 v93, 0x32a5705f, v56
	v_fmac_f32_e32 v95, 0x32a5705f, v60
	v_sub_f32_e32 v67, v67, v96
	v_dual_fmac_f32 v97, 0x32a5705f, v57 :: v_dual_sub_f32 v80, v80, v122
	v_fmac_f32_e32 v89, 0x32a5705f, v62
	v_fma_f32 v101, 0x3fb8aa3b, v59, -v70
	v_fma_f32 v105, 0x3fb8aa3b, v50, -v72
	s_delay_alu instid0(VALU_DEP_4) | instskip(NEXT) | instid1(VALU_DEP_4)
	v_dual_add_f32 v68, v68, v97 :: v_dual_mul_f32 v83, 0x3fb8aa3b, v42
	v_add_f32_e32 v64, v64, v89
	v_fma_f32 v109, 0x3fb8aa3b, v51, -v74
	v_fma_f32 v113, 0x3fb8aa3b, v53, -v76
	;; [unrolled: 1-line block ×3, first 2 shown]
	v_sub_f32_e32 v70, v70, v102
	v_sub_f32_e32 v72, v72, v106
	;; [unrolled: 1-line block ×3, first 2 shown]
	v_dual_fmac_f32 v87, 0x32a5705f, v46 :: v_dual_add_f32 v66, v66, v93
	v_sub_f32_e32 v76, v76, v114
	v_dual_sub_f32 v78, v78, v118 :: v_dual_add_f32 v65, v65, v91
	v_add_f32_e32 v67, v67, v95
	v_exp_f32_e32 v64, v64
	v_exp_f32_e32 v66, v66
	v_cvt_i32_f32_e32 v90, v90
	v_exp_f32_e32 v65, v65
	v_exp_f32_e32 v67, v67
	v_cvt_i32_f32_e32 v92, v92
	v_cvt_i32_f32_e32 v94, v94
	;; [unrolled: 1-line block ×3, first 2 shown]
	v_dual_mul_f32 v75, 0x3fb8aa3b, v52 :: v_dual_mul_f32 v82, 0x3fb8aa3b, v47
	v_dual_mul_f32 v77, 0x3fb8aa3b, v49 :: v_dual_mul_f32 v84, 0x3fb8aa3b, v40
	v_cmp_ngt_f32_e32 vcc_lo, 0xc2ce8ed0, v61
	s_delay_alu instid0(TRANS32_DEP_2)
	v_ldexp_f32 v65, v65, v92
	v_ldexp_f32 v66, v66, v94
	v_cmp_ngt_f32_e64 s2, 0xc2ce8ed0, v56
	v_ldexp_f32 v67, v67, v96
	v_cmp_ngt_f32_e64 s3, 0xc2ce8ed0, v60
	;; [unrolled: 2-line block ×3, first 2 shown]
	v_dual_mul_f32 v79, 0x3fb8aa3b, v48 :: v_dual_mul_f32 v86, 0x3fb8aa3b, v39
	v_fma_f32 v99, 0x3fb8aa3b, v58, -v69
	v_rndne_f32_e32 v100, v69
	v_fma_f32 v103, 0x3fb8aa3b, v55, -v71
	v_rndne_f32_e32 v104, v71
	;; [unrolled: 2-line block ×6, first 2 shown]
	v_fmac_f32_e32 v117, 0x32a5705f, v43
	v_fmac_f32_e32 v121, 0x32a5705f, v44
	;; [unrolled: 1-line block ×3, first 2 shown]
	v_cndmask_b32_e64 v64, 0, v64, s25
	v_cmp_nlt_f32_e64 s25, 0x42b17218, v62
	v_cndmask_b32_e32 v62, 0, v65, vcc_lo
	v_add_f32_e32 v80, v80, v121
	v_cmp_nlt_f32_e32 vcc_lo, 0x42b17218, v61
	v_cndmask_b32_e64 v61, 0, v66, s2
	v_cmp_nlt_f32_e64 s2, 0x42b17218, v56
	v_cndmask_b32_e64 v56, 0, v67, s3
	v_cmp_nlt_f32_e64 s3, 0x42b17218, v60
	v_rndne_f32_e32 v134, v86
	v_dual_sub_f32 v69, v69, v100 :: v_dual_sub_f32 v82, v82, v126
	v_dual_fmac_f32 v101, 0x32a5705f, v59 :: v_dual_sub_f32 v84, v84, v130
	v_fmac_f32_e32 v99, 0x32a5705f, v58
	v_fmac_f32_e32 v103, 0x32a5705f, v55
	v_dual_fmac_f32 v105, 0x32a5705f, v50 :: v_dual_add_f32 v74, v74, v109
	v_sub_f32_e32 v71, v71, v104
	v_dual_sub_f32 v73, v73, v108 :: v_dual_add_f32 v78, v78, v117
	v_fmac_f32_e32 v125, 0x32a5705f, v47
	v_fmac_f32_e32 v111, 0x32a5705f, v52
	;; [unrolled: 1-line block ×3, first 2 shown]
	v_sub_f32_e32 v75, v75, v112
	v_cndmask_b32_e64 v56, 0x7f800000, v56, s3
	v_fmac_f32_e32 v113, 0x32a5705f, v53
	v_fmac_f32_e32 v107, 0x32a5705f, v54
	v_fma_f32 v133, 0x3fb8aa3b, v39, -v86
	v_sub_f32_e32 v86, v86, v134
	v_add_f32_e32 v70, v70, v101
	v_dual_add_f32 v76, v76, v113 :: v_dual_add_f32 v69, v69, v99
	v_dual_add_f32 v72, v72, v105 :: v_dual_add_f32 v71, v71, v103
	;; [unrolled: 1-line block ×4, first 2 shown]
	v_exp_f32_e32 v68, v68
	v_exp_f32_e32 v69, v69
	v_exp_f32_e32 v70, v70
	v_exp_f32_e32 v71, v71
	v_exp_f32_e32 v72, v72
	v_exp_f32_e32 v73, v73
	v_exp_f32_e32 v74, v74
	v_exp_f32_e32 v75, v75
	v_exp_f32_e32 v76, v76
	v_cvt_i32_f32_e32 v98, v98
	v_cvt_i32_f32_e32 v100, v100
	;; [unrolled: 1-line block ×9, first 2 shown]
	v_ldexp_f32 v68, v68, v98
	v_cmp_ngt_f32_e64 s4, 0xc2ce8ed0, v57
	v_ldexp_f32 v69, v69, v100
	v_cmp_ngt_f32_e64 s5, 0xc2ce8ed0, v58
	;; [unrolled: 2-line block ×9, first 2 shown]
	v_fma_f32 v115, 0x3fb8aa3b, v49, -v77
	v_rndne_f32_e32 v116, v77
	v_fma_f32 v119, 0x3fb8aa3b, v48, -v79
	v_rndne_f32_e32 v120, v79
	;; [unrolled: 2-line block ×4, first 2 shown]
	v_cndmask_b32_e64 v60, 0, v68, s4
	v_cmp_nlt_f32_e64 s4, 0x42b17218, v57
	v_cndmask_b32_e64 v57, 0, v69, s5
	v_cmp_nlt_f32_e64 s5, 0x42b17218, v58
	;; [unrolled: 2-line block ×9, first 2 shown]
	v_fma_f32 v131, 0x3fb8aa3b, v41, -v85
	v_rndne_f32_e32 v132, v85
	v_sub_f32_e32 v79, v79, v120
	v_sub_f32_e32 v81, v81, v124
	v_fmac_f32_e32 v127, 0x32a5705f, v42
	v_sub_f32_e32 v83, v83, v128
	v_fmac_f32_e32 v133, 0x32a5705f, v39
	v_sub_f32_e32 v77, v77, v116
	v_cndmask_b32_e64 v60, 0x7f800000, v60, s4
	v_fmac_f32_e32 v123, 0x32a5705f, v45
	v_cndmask_b32_e64 v58, 0x7f800000, v58, s6
	v_cndmask_b32_e64 v50, 0x7f800000, v50, s9
	v_fmac_f32_e32 v115, 0x32a5705f, v49
	v_cndmask_b32_e64 v52, 0x7f800000, v52, s12
	v_fmac_f32_e32 v119, 0x32a5705f, v48
	v_fmac_f32_e32 v131, 0x32a5705f, v41
	v_sub_f32_e32 v85, v85, v132
	v_add_f32_e32 v63, v63, v87
	v_add_f32_e32 v81, v81, v123
	v_add_f32_e32 v79, v79, v119
	v_dual_add_f32 v83, v83, v127 :: v_dual_add_f32 v86, v86, v133
	v_dual_add_f32 v238, v58, v50 :: v_dual_add_f32 v77, v77, v115
	v_add_f32_e32 v85, v85, v131
	v_exp_f32_e32 v63, v63
	v_exp_f32_e32 v78, v78
	;; [unrolled: 1-line block ×11, first 2 shown]
	v_cvt_i32_f32_e32 v88, v88
	v_cvt_i32_f32_e32 v116, v116
	;; [unrolled: 1-line block ×11, first 2 shown]
	v_ldexp_f32 v77, v77, v116
	v_cmp_ngt_f32_e64 s13, 0xc2ce8ed0, v49
	v_ldexp_f32 v78, v78, v118
	v_cmp_ngt_f32_e64 s15, 0xc2ce8ed0, v43
	;; [unrolled: 2-line block ×11, first 2 shown]
	v_cndmask_b32_e64 v53, 0, v77, s13
	v_cmp_nlt_f32_e64 s13, 0x42b17218, v49
	v_cndmask_b32_e64 v49, 0, v78, s15
	v_cmp_nlt_f32_e64 s15, 0x42b17218, v43
	;; [unrolled: 2-line block ×11, first 2 shown]
	v_cndmask_b32_e64 v39, 0x7f800000, v40, s24
	v_cndmask_b32_e64 v40, 0x7f800000, v64, s25
	v_cndmask_b32_e32 v46, 0x7f800000, v62, vcc_lo
	v_cndmask_b32_e64 v57, 0x7f800000, v57, s5
	v_cndmask_b32_e64 v59, 0x7f800000, v59, s7
	;; [unrolled: 1-line block ×12, first 2 shown]
	v_add_f32_e32 v240, v52, v43
	v_cndmask_b32_e64 v61, 0x7f800000, v61, s2
	v_cndmask_b32_e64 v42, 0x7f800000, v42, s21
	v_cndmask_b32_e64 v62, 0x7f800000, v63, s22
	v_cndmask_b32_e64 v242, 0x7f800000, v41, s23
	v_add_f32_e32 v235, v46, v39
	v_cvt_f16_f32_e32 v63, v40
	v_cvt_f16_f32_e32 v46, v46
	v_add_f32_e32 v237, v59, v57
	v_cvt_f16_f32_e32 v64, v55
	v_cvt_f16_f32_e32 v65, v58
	v_cvt_f16_f32_e32 v59, v59
	v_cvt_f16_f32_e32 v58, v54
	v_add_f32_e32 v239, v53, v51
	v_cvt_f16_f32_e32 v66, v49
	v_cvt_f16_f32_e32 v67, v52
	;; [unrolled: 5-line block ×4, first 2 shown]
	v_cvt_f16_f32_e32 v57, v57
	v_cvt_f16_f32_e32 v50, v50
	;; [unrolled: 1-line block ×6, first 2 shown]
	v_add_f32_e32 v233, v45, v62
	v_cvt_f16_f32_e32 v45, v62
	v_cvt_f16_f32_e64 v62, v242
	v_pk_mul_f16 v245, v64, v31 op_sel_hi:[0,1]
	v_pk_mul_f16 v246, v58, v30 op_sel_hi:[0,1]
	;; [unrolled: 1-line block ×4, first 2 shown]
	v_pack_b32_f16 v31, v47, v69
	v_pack_b32_f16 v30, v53, v67
	;; [unrolled: 1-line block ×4, first 2 shown]
	v_pk_mul_f16 v243, v41, v33 op_sel_hi:[0,1]
	v_pk_mul_f16 v244, v56, v32 op_sel_hi:[0,1]
	v_dual_fmac_f32 v238, v35, v54 :: v_dual_fmac_f32 v239, v34, v49
	v_pack_b32_f16 v35, v44, v45
	v_pack_b32_f16 v34, v51, v43
	;; [unrolled: 1-line block ×4, first 2 shown]
	v_pk_mul_f16 v249, v68, v27 op_sel_hi:[0,1]
	v_pk_mul_f16 v250, v62, v26 op_sel_hi:[0,1]
	v_dual_fmac_f32 v235, v38, v61 :: v_dual_fmac_f32 v236, v37, v60
	v_dual_fmac_f32 v237, v36, v55 :: v_dual_fmac_f32 v240, v25, v48
	v_fmac_f32_e32 v241, v24, v42
	ds_store_b128 v225, v[28:31]
	ds_store_b128 v225, v[32:35] offset:512
	s_waitcnt vmcnt(3)
	ds_store_b128 v219, v[8:11]
	s_waitcnt vmcnt(2)
	ds_store_b128 v221, v[12:15]
	;; [unrolled: 2-line block ×4, first 2 shown]
	s_waitcnt lgkmcnt(0)
	s_barrier
	buffer_gl0_inv
	ds_load_2addr_b32 v[160:161], v201 offset1:32
	ds_load_b128 v[20:23], v220
	ds_load_b128 v[24:27], v220 offset:16
	ds_load_b128 v[48:51], v220 offset:32
	;; [unrolled: 1-line block ×3, first 2 shown]
	ds_load_2addr_b32 v[166:167], v201 offset0:64 offset1:96
	ds_load_2addr_b32 v[170:171], v201 offset0:128 offset1:160
	ds_load_b128 v[64:67], v220 offset:64
	ds_load_b128 v[68:71], v220 offset:80
	ds_load_2addr_b32 v[174:175], v201 offset0:192 offset1:224
	ds_load_b128 v[80:83], v220 offset:96
	ds_load_b128 v[84:87], v220 offset:112
	ds_load_2addr_b32 v[178:179], v226 offset1:32
	ds_load_b128 v[96:99], v220 offset:128
	ds_load_b128 v[100:103], v220 offset:144
	ds_load_2addr_b32 v[182:183], v226 offset0:64 offset1:96
	ds_load_b128 v[116:119], v220 offset:160
	ds_load_b128 v[120:123], v220 offset:176
	ds_load_2addr_b32 v[184:185], v226 offset0:128 offset1:160
	ds_load_b128 v[132:135], v220 offset:192
	ds_load_b128 v[128:131], v220 offset:208
	ds_load_2addr_b32 v[180:181], v226 offset0:192 offset1:224
	ds_load_b128 v[124:127], v220 offset:224
	ds_load_b128 v[112:115], v220 offset:240
	ds_load_2addr_b32 v[176:177], v227 offset1:32
	ds_load_b128 v[108:111], v220 offset:256
	ds_load_b128 v[104:107], v220 offset:272
	ds_load_2addr_b32 v[172:173], v227 offset0:64 offset1:96
	ds_load_b128 v[92:95], v220 offset:288
	ds_load_b128 v[88:91], v220 offset:304
	;; [unrolled: 12-line block ×3, first 2 shown]
	ds_load_2addr_b32 v[156:157], v228 offset0:128 offset1:160
	ds_load_b128 v[36:39], v220 offset:448
	ds_load_b128 v[16:19], v220 offset:464
	ds_load_2addr_b32 v[152:153], v228 offset0:192 offset1:224
	ds_load_b128 v[12:15], v220 offset:480
	ds_load_b128 v[8:11], v220 offset:496
	ds_load_2addr_b32 v[154:155], v229 offset1:32
	s_waitcnt lgkmcnt(47)
	v_pk_fma_f16 v243, v160, v20, v243 op_sel_hi:[1,0,1]
	v_pk_fma_f16 v244, v160, v20, v244 op_sel:[0,1,0]
	v_pk_fma_f16 v245, v160, v21, v245 op_sel_hi:[1,0,1]
	v_pk_fma_f16 v246, v160, v21, v246 op_sel:[0,1,0]
	v_pk_fma_f16 v247, v160, v22, v247 op_sel_hi:[1,0,1]
	v_pk_fma_f16 v248, v160, v22, v248 op_sel:[0,1,0]
	v_pk_fma_f16 v249, v160, v23, v249 op_sel_hi:[1,0,1]
	v_pk_fma_f16 v160, v160, v23, v250 op_sel:[0,1,0]
	s_waitcnt lgkmcnt(46)
	v_pk_fma_f16 v243, v161, v24, v243 op_sel_hi:[1,0,1]
	v_pk_fma_f16 v244, v161, v24, v244 op_sel:[0,1,0]
	v_pk_fma_f16 v245, v161, v25, v245 op_sel_hi:[1,0,1]
	v_pk_fma_f16 v246, v161, v25, v246 op_sel:[0,1,0]
	v_pk_fma_f16 v247, v161, v26, v247 op_sel_hi:[1,0,1]
	v_pk_fma_f16 v248, v161, v26, v248 op_sel:[0,1,0]
	v_pk_fma_f16 v249, v161, v27, v249 op_sel_hi:[1,0,1]
	v_pk_fma_f16 v250, v161, v27, v160 op_sel:[0,1,0]
	;; [unrolled: 9-line block ×3, first 2 shown]
	v_pk_fma_f16 v243, v167, v52, v243 op_sel_hi:[1,0,1]
	v_pk_fma_f16 v244, v167, v52, v244 op_sel:[0,1,0]
	v_pk_fma_f16 v245, v167, v53, v245 op_sel_hi:[1,0,1]
	v_pk_fma_f16 v246, v167, v53, v246 op_sel:[0,1,0]
	v_pk_fma_f16 v247, v167, v54, v247 op_sel_hi:[1,0,1]
	v_pk_fma_f16 v248, v167, v54, v248 op_sel:[0,1,0]
	v_pk_fma_f16 v249, v167, v55, v249 op_sel_hi:[1,0,1]
	v_pk_fma_f16 v250, v167, v55, v166 op_sel:[0,1,0]
	s_waitcnt lgkmcnt(41)
	v_pk_fma_f16 v243, v170, v64, v243 op_sel_hi:[1,0,1]
	v_pk_fma_f16 v244, v170, v64, v244 op_sel:[0,1,0]
	v_pk_fma_f16 v245, v170, v65, v245 op_sel_hi:[1,0,1]
	v_pk_fma_f16 v246, v170, v65, v246 op_sel:[0,1,0]
	v_pk_fma_f16 v247, v170, v66, v247 op_sel_hi:[1,0,1]
	v_pk_fma_f16 v248, v170, v66, v248 op_sel:[0,1,0]
	v_pk_fma_f16 v249, v170, v67, v249 op_sel_hi:[1,0,1]
	v_pk_fma_f16 v170, v170, v67, v250 op_sel:[0,1,0]
	s_waitcnt lgkmcnt(40)
	;; [unrolled: 9-line block ×24, first 2 shown]
	v_pk_fma_f16 v243, v159, v28, v243 op_sel_hi:[1,0,1]
	v_pk_fma_f16 v244, v159, v28, v244 op_sel:[0,1,0]
	v_pk_fma_f16 v245, v159, v29, v245 op_sel_hi:[1,0,1]
	v_pk_fma_f16 v246, v159, v29, v246 op_sel:[0,1,0]
	;; [unrolled: 2-line block ×4, first 2 shown]
	ds_load_b128 v[20:23], v220 offset:512
	s_waitcnt lgkmcnt(6)
	v_pk_fma_f16 v243, v156, v36, v243 op_sel_hi:[1,0,1]
	v_pk_fma_f16 v244, v156, v36, v244 op_sel:[0,1,0]
	v_pk_fma_f16 v245, v156, v37, v245 op_sel_hi:[1,0,1]
	v_pk_fma_f16 v246, v156, v37, v246 op_sel:[0,1,0]
	;; [unrolled: 2-line block ×4, first 2 shown]
	s_waitcnt lgkmcnt(5)
	v_pk_fma_f16 v243, v157, v16, v243 op_sel_hi:[1,0,1]
	v_pk_fma_f16 v244, v157, v16, v244 op_sel:[0,1,0]
	v_pk_fma_f16 v245, v157, v17, v245 op_sel_hi:[1,0,1]
	v_pk_fma_f16 v246, v157, v17, v246 op_sel:[0,1,0]
	;; [unrolled: 2-line block ×4, first 2 shown]
	ds_load_b128 v[24:27], v220 offset:528
	ds_load_2addr_b32 v[160:161], v229 offset0:64 offset1:96
	ds_load_b128 v[48:51], v220 offset:544
	s_waitcnt lgkmcnt(6)
	v_pk_fma_f16 v243, v152, v12, v243 op_sel_hi:[1,0,1]
	v_pk_fma_f16 v244, v152, v12, v244 op_sel:[0,1,0]
	v_pk_fma_f16 v245, v152, v13, v245 op_sel_hi:[1,0,1]
	v_pk_fma_f16 v246, v152, v13, v246 op_sel:[0,1,0]
	;; [unrolled: 2-line block ×4, first 2 shown]
	s_waitcnt lgkmcnt(5)
	v_pk_fma_f16 v243, v153, v8, v243 op_sel_hi:[1,0,1]
	v_pk_fma_f16 v244, v153, v8, v244 op_sel:[0,1,0]
	v_pk_fma_f16 v245, v153, v9, v245 op_sel_hi:[1,0,1]
	v_pk_fma_f16 v246, v153, v9, v246 op_sel:[0,1,0]
	;; [unrolled: 2-line block ×4, first 2 shown]
	ds_load_b128 v[52:55], v220 offset:560
	ds_load_2addr_b32 v[166:167], v229 offset0:128 offset1:160
	ds_load_b128 v[64:67], v220 offset:576
	v_fmac_f32_e32 v233, v234, v242
	s_waitcnt lgkmcnt(6)
	v_pk_fma_f16 v153, v154, v20, v243 op_sel_hi:[1,0,1]
	v_pk_fma_f16 v20, v154, v20, v244 op_sel:[0,1,0]
	v_pk_fma_f16 v234, v154, v21, v245 op_sel_hi:[1,0,1]
	v_pk_fma_f16 v21, v154, v21, v246 op_sel:[0,1,0]
	;; [unrolled: 2-line block ×4, first 2 shown]
	s_waitcnt lgkmcnt(5)
	v_pk_fma_f16 v152, v155, v24, v153 op_sel_hi:[1,0,1]
	v_pk_fma_f16 v20, v155, v24, v20 op_sel:[0,1,0]
	v_pk_fma_f16 v24, v155, v25, v234 op_sel_hi:[1,0,1]
	v_pk_fma_f16 v21, v155, v25, v21 op_sel:[0,1,0]
	;; [unrolled: 2-line block ×4, first 2 shown]
	ds_load_b128 v[68:71], v220 offset:592
	ds_load_2addr_b32 v[170:171], v229 offset0:192 offset1:224
	ds_load_b128 v[80:83], v220 offset:608
	s_waitcnt lgkmcnt(6)
	v_pk_fma_f16 v27, v160, v48, v152 op_sel_hi:[1,0,1]
	v_pk_fma_f16 v20, v160, v48, v20 op_sel:[0,1,0]
	v_pk_fma_f16 v24, v160, v49, v24 op_sel_hi:[1,0,1]
	v_pk_fma_f16 v21, v160, v49, v21 op_sel:[0,1,0]
	;; [unrolled: 2-line block ×4, first 2 shown]
	s_waitcnt lgkmcnt(5)
	v_pk_fma_f16 v27, v161, v52, v27 op_sel_hi:[1,0,1]
	v_pk_fma_f16 v20, v161, v52, v20 op_sel:[0,1,0]
	v_pk_fma_f16 v24, v161, v53, v24 op_sel_hi:[1,0,1]
	v_pk_fma_f16 v21, v161, v53, v21 op_sel:[0,1,0]
	;; [unrolled: 2-line block ×4, first 2 shown]
	ds_load_b128 v[84:87], v220 offset:624
	ds_load_2addr_b32 v[174:175], v230 offset1:32
	ds_load_b128 v[96:99], v220 offset:640
	s_waitcnt lgkmcnt(6)
	v_pk_fma_f16 v27, v166, v64, v27 op_sel_hi:[1,0,1]
	v_pk_fma_f16 v20, v166, v64, v20 op_sel:[0,1,0]
	v_pk_fma_f16 v24, v166, v65, v24 op_sel_hi:[1,0,1]
	v_pk_fma_f16 v21, v166, v65, v21 op_sel:[0,1,0]
	v_pk_fma_f16 v25, v166, v66, v25 op_sel_hi:[1,0,1]
	v_pk_fma_f16 v22, v166, v66, v22 op_sel:[0,1,0]
	v_pk_fma_f16 v26, v166, v67, v26 op_sel_hi:[1,0,1]
	v_pk_fma_f16 v23, v166, v67, v23 op_sel:[0,1,0]
	s_waitcnt lgkmcnt(5)
	v_pk_fma_f16 v27, v167, v68, v27 op_sel_hi:[1,0,1]
	v_pk_fma_f16 v20, v167, v68, v20 op_sel:[0,1,0]
	v_pk_fma_f16 v24, v167, v69, v24 op_sel_hi:[1,0,1]
	v_pk_fma_f16 v21, v167, v69, v21 op_sel:[0,1,0]
	v_pk_fma_f16 v25, v167, v70, v25 op_sel_hi:[1,0,1]
	v_pk_fma_f16 v22, v167, v70, v22 op_sel:[0,1,0]
	v_pk_fma_f16 v26, v167, v71, v26 op_sel_hi:[1,0,1]
	v_pk_fma_f16 v23, v167, v71, v23 op_sel:[0,1,0]
	ds_load_b128 v[100:103], v220 offset:656
	ds_load_2addr_b32 v[178:179], v230 offset0:64 offset1:96
	ds_load_b128 v[116:119], v220 offset:672
	s_waitcnt lgkmcnt(6)
	v_pk_fma_f16 v27, v170, v80, v27 op_sel_hi:[1,0,1]
	v_pk_fma_f16 v20, v170, v80, v20 op_sel:[0,1,0]
	v_pk_fma_f16 v24, v170, v81, v24 op_sel_hi:[1,0,1]
	v_pk_fma_f16 v21, v170, v81, v21 op_sel:[0,1,0]
	v_pk_fma_f16 v25, v170, v82, v25 op_sel_hi:[1,0,1]
	v_pk_fma_f16 v22, v170, v82, v22 op_sel:[0,1,0]
	v_pk_fma_f16 v26, v170, v83, v26 op_sel_hi:[1,0,1]
	v_pk_fma_f16 v23, v170, v83, v23 op_sel:[0,1,0]
	s_waitcnt lgkmcnt(5)
	v_pk_fma_f16 v27, v171, v84, v27 op_sel_hi:[1,0,1]
	v_pk_fma_f16 v20, v171, v84, v20 op_sel:[0,1,0]
	v_pk_fma_f16 v24, v171, v85, v24 op_sel_hi:[1,0,1]
	v_pk_fma_f16 v21, v171, v85, v21 op_sel:[0,1,0]
	v_pk_fma_f16 v25, v171, v86, v25 op_sel_hi:[1,0,1]
	v_pk_fma_f16 v22, v171, v86, v22 op_sel:[0,1,0]
	v_pk_fma_f16 v26, v171, v87, v26 op_sel_hi:[1,0,1]
	v_pk_fma_f16 v23, v171, v87, v23 op_sel:[0,1,0]
	ds_load_b128 v[120:123], v220 offset:688
	ds_load_2addr_b32 v[182:183], v230 offset0:128 offset1:160
	;; [unrolled: 21-line block ×3, first 2 shown]
	ds_load_b128 v[124:127], v220 offset:736
	s_waitcnt lgkmcnt(6)
	v_pk_fma_f16 v27, v178, v116, v27 op_sel_hi:[1,0,1]
	v_pk_fma_f16 v20, v178, v116, v20 op_sel:[0,1,0]
	v_pk_fma_f16 v24, v178, v117, v24 op_sel_hi:[1,0,1]
	v_pk_fma_f16 v21, v178, v117, v21 op_sel:[0,1,0]
	;; [unrolled: 2-line block ×4, first 2 shown]
	s_waitcnt lgkmcnt(5)
	v_pk_fma_f16 v27, v179, v120, v27 op_sel_hi:[1,0,1]
	v_pk_fma_f16 v20, v179, v120, v20 op_sel:[0,1,0]
	v_pk_fma_f16 v24, v179, v121, v24 op_sel_hi:[1,0,1]
	v_pk_fma_f16 v21, v179, v121, v21 op_sel:[0,1,0]
	;; [unrolled: 2-line block ×4, first 2 shown]
	ds_load_b128 v[112:115], v220 offset:752
	ds_load_2addr_b32 v[180:181], v231 offset1:32
	ds_load_b128 v[108:111], v220 offset:768
	s_waitcnt lgkmcnt(6)
	v_pk_fma_f16 v27, v182, v132, v27 op_sel_hi:[1,0,1]
	v_pk_fma_f16 v20, v182, v132, v20 op_sel:[0,1,0]
	v_pk_fma_f16 v24, v182, v133, v24 op_sel_hi:[1,0,1]
	v_pk_fma_f16 v21, v182, v133, v21 op_sel:[0,1,0]
	v_pk_fma_f16 v25, v182, v134, v25 op_sel_hi:[1,0,1]
	v_pk_fma_f16 v22, v182, v134, v22 op_sel:[0,1,0]
	v_pk_fma_f16 v26, v182, v135, v26 op_sel_hi:[1,0,1]
	v_pk_fma_f16 v23, v182, v135, v23 op_sel:[0,1,0]
	s_waitcnt lgkmcnt(5)
	v_pk_fma_f16 v27, v183, v128, v27 op_sel_hi:[1,0,1]
	v_pk_fma_f16 v20, v183, v128, v20 op_sel:[0,1,0]
	v_pk_fma_f16 v24, v183, v129, v24 op_sel_hi:[1,0,1]
	v_pk_fma_f16 v21, v183, v129, v21 op_sel:[0,1,0]
	v_pk_fma_f16 v25, v183, v130, v25 op_sel_hi:[1,0,1]
	v_pk_fma_f16 v22, v183, v130, v22 op_sel:[0,1,0]
	v_pk_fma_f16 v26, v183, v131, v26 op_sel_hi:[1,0,1]
	v_pk_fma_f16 v23, v183, v131, v23 op_sel:[0,1,0]
	ds_load_b128 v[104:107], v220 offset:784
	ds_load_2addr_b32 v[176:177], v231 offset0:64 offset1:96
	ds_load_b128 v[92:95], v220 offset:800
	s_waitcnt lgkmcnt(6)
	v_pk_fma_f16 v27, v184, v124, v27 op_sel_hi:[1,0,1]
	v_pk_fma_f16 v20, v184, v124, v20 op_sel:[0,1,0]
	v_pk_fma_f16 v24, v184, v125, v24 op_sel_hi:[1,0,1]
	v_pk_fma_f16 v21, v184, v125, v21 op_sel:[0,1,0]
	v_pk_fma_f16 v25, v184, v126, v25 op_sel_hi:[1,0,1]
	v_pk_fma_f16 v22, v184, v126, v22 op_sel:[0,1,0]
	v_pk_fma_f16 v26, v184, v127, v26 op_sel_hi:[1,0,1]
	v_pk_fma_f16 v23, v184, v127, v23 op_sel:[0,1,0]
	s_waitcnt lgkmcnt(5)
	v_pk_fma_f16 v27, v185, v112, v27 op_sel_hi:[1,0,1]
	v_pk_fma_f16 v20, v185, v112, v20 op_sel:[0,1,0]
	v_pk_fma_f16 v24, v185, v113, v24 op_sel_hi:[1,0,1]
	v_pk_fma_f16 v21, v185, v113, v21 op_sel:[0,1,0]
	v_pk_fma_f16 v25, v185, v114, v25 op_sel_hi:[1,0,1]
	v_pk_fma_f16 v22, v185, v114, v22 op_sel:[0,1,0]
	v_pk_fma_f16 v26, v185, v115, v26 op_sel_hi:[1,0,1]
	v_pk_fma_f16 v23, v185, v115, v23 op_sel:[0,1,0]
	ds_load_b128 v[88:91], v220 offset:816
	ds_load_2addr_b32 v[172:173], v231 offset0:128 offset1:160
	;; [unrolled: 21-line block ×3, first 2 shown]
	ds_load_b128 v[60:63], v220 offset:864
	s_waitcnt lgkmcnt(6)
	v_pk_fma_f16 v27, v176, v92, v27 op_sel_hi:[1,0,1]
	v_pk_fma_f16 v20, v176, v92, v20 op_sel:[0,1,0]
	v_pk_fma_f16 v24, v176, v93, v24 op_sel_hi:[1,0,1]
	v_pk_fma_f16 v21, v176, v93, v21 op_sel:[0,1,0]
	v_pk_fma_f16 v25, v176, v94, v25 op_sel_hi:[1,0,1]
	v_pk_fma_f16 v22, v176, v94, v22 op_sel:[0,1,0]
	v_pk_fma_f16 v26, v176, v95, v26 op_sel_hi:[1,0,1]
	v_pk_fma_f16 v23, v176, v95, v23 op_sel:[0,1,0]
	s_waitcnt lgkmcnt(5)
	v_pk_fma_f16 v27, v177, v88, v27 op_sel_hi:[1,0,1]
	v_pk_fma_f16 v20, v177, v88, v20 op_sel:[0,1,0]
	v_pk_fma_f16 v24, v177, v89, v24 op_sel_hi:[1,0,1]
	v_pk_fma_f16 v21, v177, v89, v21 op_sel:[0,1,0]
	;; [unrolled: 2-line block ×4, first 2 shown]
	ds_load_b128 v[56:59], v220 offset:880
	ds_load_2addr_b32 v[164:165], v232 offset1:32
	ds_load_b128 v[40:43], v220 offset:896
	s_waitcnt lgkmcnt(6)
	v_pk_fma_f16 v27, v172, v76, v27 op_sel_hi:[1,0,1]
	v_pk_fma_f16 v20, v172, v76, v20 op_sel:[0,1,0]
	v_pk_fma_f16 v24, v172, v77, v24 op_sel_hi:[1,0,1]
	v_pk_fma_f16 v21, v172, v77, v21 op_sel:[0,1,0]
	v_pk_fma_f16 v25, v172, v78, v25 op_sel_hi:[1,0,1]
	v_pk_fma_f16 v22, v172, v78, v22 op_sel:[0,1,0]
	v_pk_fma_f16 v26, v172, v79, v26 op_sel_hi:[1,0,1]
	v_pk_fma_f16 v23, v172, v79, v23 op_sel:[0,1,0]
	s_waitcnt lgkmcnt(5)
	v_pk_fma_f16 v27, v173, v72, v27 op_sel_hi:[1,0,1]
	v_pk_fma_f16 v20, v173, v72, v20 op_sel:[0,1,0]
	v_pk_fma_f16 v24, v173, v73, v24 op_sel_hi:[1,0,1]
	v_pk_fma_f16 v21, v173, v73, v21 op_sel:[0,1,0]
	v_pk_fma_f16 v25, v173, v74, v25 op_sel_hi:[1,0,1]
	v_pk_fma_f16 v22, v173, v74, v22 op_sel:[0,1,0]
	v_pk_fma_f16 v26, v173, v75, v26 op_sel_hi:[1,0,1]
	v_pk_fma_f16 v23, v173, v75, v23 op_sel:[0,1,0]
	ds_load_b128 v[32:35], v220 offset:912
	ds_load_2addr_b32 v[162:163], v232 offset0:64 offset1:96
	ds_load_b128 v[44:47], v220 offset:928
	s_waitcnt lgkmcnt(6)
	v_pk_fma_f16 v27, v168, v60, v27 op_sel_hi:[1,0,1]
	v_pk_fma_f16 v20, v168, v60, v20 op_sel:[0,1,0]
	v_pk_fma_f16 v24, v168, v61, v24 op_sel_hi:[1,0,1]
	v_pk_fma_f16 v21, v168, v61, v21 op_sel:[0,1,0]
	v_pk_fma_f16 v25, v168, v62, v25 op_sel_hi:[1,0,1]
	v_pk_fma_f16 v22, v168, v62, v22 op_sel:[0,1,0]
	v_pk_fma_f16 v26, v168, v63, v26 op_sel_hi:[1,0,1]
	v_pk_fma_f16 v23, v168, v63, v23 op_sel:[0,1,0]
	s_waitcnt lgkmcnt(5)
	v_pk_fma_f16 v27, v169, v56, v27 op_sel_hi:[1,0,1]
	v_pk_fma_f16 v20, v169, v56, v20 op_sel:[0,1,0]
	v_pk_fma_f16 v24, v169, v57, v24 op_sel_hi:[1,0,1]
	v_pk_fma_f16 v21, v169, v57, v21 op_sel:[0,1,0]
	v_pk_fma_f16 v25, v169, v58, v25 op_sel_hi:[1,0,1]
	v_pk_fma_f16 v22, v169, v58, v22 op_sel:[0,1,0]
	v_pk_fma_f16 v26, v169, v59, v26 op_sel_hi:[1,0,1]
	v_pk_fma_f16 v23, v169, v59, v23 op_sel:[0,1,0]
	ds_load_b128 v[28:31], v220 offset:944
	ds_load_2addr_b32 v[158:159], v232 offset0:128 offset1:160
	;; [unrolled: 21-line block ×3, first 2 shown]
	ds_load_b128 v[12:15], v220 offset:992
	ds_load_b128 v[8:11], v220 offset:1008
	s_waitcnt lgkmcnt(7)
	v_pk_fma_f16 v27, v162, v44, v27 op_sel_hi:[1,0,1]
	v_pk_fma_f16 v20, v162, v44, v20 op_sel:[0,1,0]
	v_pk_fma_f16 v24, v162, v45, v24 op_sel_hi:[1,0,1]
	v_pk_fma_f16 v21, v162, v45, v21 op_sel:[0,1,0]
	;; [unrolled: 2-line block ×4, first 2 shown]
	s_waitcnt lgkmcnt(0)
	s_barrier
	buffer_gl0_inv
	s_load_b32 s2, s[36:37], 0x4
	v_pk_fma_f16 v27, v163, v28, v27 op_sel_hi:[1,0,1]
	v_pk_fma_f16 v20, v163, v28, v20 op_sel:[0,1,0]
	v_pk_fma_f16 v24, v163, v29, v24 op_sel_hi:[1,0,1]
	v_pk_fma_f16 v21, v163, v29, v21 op_sel:[0,1,0]
	;; [unrolled: 2-line block ×16, first 2 shown]
	s_waitcnt lgkmcnt(0)
	s_lshl_b32 s2, s2, 6
	v_pk_fma_f16 v33, v157, v8, v23 op_sel_hi:[1,0,1]
	v_pk_fma_f16 v32, v157, v8, v12 op_sel:[0,1,0]
	v_pk_fma_f16 v31, v157, v9, v16 op_sel_hi:[1,0,1]
	v_pk_fma_f16 v30, v157, v9, v13 op_sel:[0,1,0]
	;; [unrolled: 2-line block ×4, first 2 shown]
	s_add_i32 s29, s2, s29
	s_delay_alu instid0(SALU_CYCLE_1)
	s_cmp_ge_i32 s29, s30
	s_cbranch_scc0 .LBB37_9
; %bb.10:
	v_mov_b32_e32 v10, v202
.LBB37_11:
	v_cmp_lt_i32_e32 vcc_lo, v208, v203
	s_cmp_lg_u64 s[44:45], 0
	s_cselect_b32 s2, -1, 0
	s_cmp_eq_u32 s14, 0
	v_cndmask_b32_e32 v8, v10, v208, vcc_lo
	v_cmp_lt_i32_e32 vcc_lo, v207, v203
	v_lshlrev_b32_e32 v34, 1, v200
	s_cselect_b32 s3, -1, 0
	s_delay_alu instid0(SALU_CYCLE_1) | instskip(SKIP_2) | instid1(VALU_DEP_2)
	s_and_b32 s2, s3, s2
	v_cndmask_b32_e32 v17, v10, v207, vcc_lo
	v_cmp_lt_i32_e32 vcc_lo, v206, v203
	v_lshlrev_b32_e32 v17, 2, v17
	v_dual_cndmask_b32 v25, v10, v206 :: v_dual_lshlrev_b32 v8, 2, v8
	v_cmp_lt_i32_e32 vcc_lo, v205, v203
	ds_bpermute_b32 v9, v8, v235
	s_waitcnt lgkmcnt(0)
	v_add_f32_e32 v9, v235, v9
	ds_bpermute_b32 v11, v8, v236
	ds_bpermute_b32 v12, v8, v237
	;; [unrolled: 1-line block ×8, first 2 shown]
	s_waitcnt lgkmcnt(6)
	v_dual_add_f32 v11, v236, v11 :: v_dual_add_f32 v12, v237, v12
	s_waitcnt lgkmcnt(4)
	v_dual_add_f32 v13, v238, v13 :: v_dual_add_f32 v14, v239, v14
	;; [unrolled: 2-line block ×3, first 2 shown]
	ds_bpermute_b32 v20, v17, v12
	s_waitcnt lgkmcnt(2)
	v_add_f32_e32 v8, v233, v8
	ds_bpermute_b32 v19, v17, v11
	ds_bpermute_b32 v22, v17, v14
	;; [unrolled: 1-line block ×6, first 2 shown]
	v_lshlrev_b32_e32 v25, 2, v25
	s_waitcnt lgkmcnt(6)
	v_dual_add_f32 v9, v9, v18 :: v_dual_add_f32 v12, v12, v20
	s_waitcnt lgkmcnt(4)
	v_dual_add_f32 v11, v11, v19 :: v_dual_add_f32 v14, v14, v22
	s_waitcnt lgkmcnt(3)
	v_add_f32_e32 v16, v16, v24
	ds_bpermute_b32 v19, v25, v12
	s_waitcnt lgkmcnt(3)
	v_add_f32_e32 v13, v13, v21
	s_waitcnt lgkmcnt(1)
	v_dual_add_f32 v15, v15, v23 :: v_dual_add_f32 v8, v8, v17
	ds_bpermute_b32 v17, v25, v9
	ds_bpermute_b32 v18, v25, v11
	;; [unrolled: 1-line block ×6, first 2 shown]
	s_waitcnt lgkmcnt(6)
	v_add_f32_e32 v12, v12, v19
	ds_bpermute_b32 v20, v25, v13
	v_cndmask_b32_e32 v25, v10, v205, vcc_lo
	v_cmp_lt_i32_e32 vcc_lo, v204, v203
	s_waitcnt lgkmcnt(6)
	v_add_f32_e32 v9, v9, v17
	s_waitcnt lgkmcnt(4)
	v_dual_add_f32 v11, v11, v18 :: v_dual_add_f32 v14, v14, v21
	s_waitcnt lgkmcnt(3)
	v_dual_add_f32 v16, v16, v23 :: v_dual_lshlrev_b32 v25, 2, v25
	s_waitcnt lgkmcnt(2)
	v_add_f32_e32 v8, v8, v24
	v_cndmask_b32_e32 v10, v10, v204, vcc_lo
	s_and_b32 vcc_lo, exec_lo, s2
	ds_bpermute_b32 v17, v25, v9
	ds_bpermute_b32 v18, v25, v11
	;; [unrolled: 1-line block ×6, first 2 shown]
	s_waitcnt lgkmcnt(7)
	v_add_f32_e32 v15, v15, v22
	s_waitcnt lgkmcnt(6)
	v_dual_add_f32 v13, v13, v20 :: v_dual_lshlrev_b32 v10, 2, v10
	ds_bpermute_b32 v20, v25, v13
	s_waitcnt lgkmcnt(6)
	v_add_f32_e32 v9, v9, v17
	s_waitcnt lgkmcnt(4)
	v_dual_add_f32 v11, v11, v18 :: v_dual_add_f32 v12, v12, v19
	s_waitcnt lgkmcnt(3)
	v_add_f32_e32 v14, v14, v21
	ds_bpermute_b32 v22, v25, v15
	s_waitcnt lgkmcnt(3)
	v_add_f32_e32 v16, v16, v23
	ds_bpermute_b32 v18, v10, v11
	ds_bpermute_b32 v19, v10, v12
	;; [unrolled: 1-line block ×3, first 2 shown]
	s_waitcnt lgkmcnt(5)
	v_add_f32_e32 v17, v8, v24
	ds_bpermute_b32 v8, v10, v9
	ds_bpermute_b32 v23, v10, v16
	s_waitcnt lgkmcnt(6)
	v_add_f32_e32 v13, v13, v20
	ds_bpermute_b32 v24, v10, v17
	ds_bpermute_b32 v20, v10, v13
	s_waitcnt lgkmcnt(3)
	v_dual_add_f32 v15, v15, v22 :: v_dual_add_f32 v8, v9, v8
	ds_bpermute_b32 v22, v10, v15
	v_dual_add_f32 v9, v11, v18 :: v_dual_add_f32 v10, v12, v19
	v_add_f32_e32 v12, v14, v21
	s_waitcnt lgkmcnt(1)
	v_dual_add_f32 v14, v16, v23 :: v_dual_add_f32 v11, v13, v20
	s_waitcnt lgkmcnt(0)
	v_add_f32_e32 v13, v15, v22
	v_add_f32_e32 v15, v17, v24
	s_cbranch_vccz .LBB37_14
; %bb.12:
	s_ashr_i32 s29, s28, 31
	v_dual_mov_b32 v16, 0 :: v_dual_max_f32 v17, v1, v1
	s_lshl_b64 s[2:3], s[28:29], 2
	v_dual_max_f32 v20, v4, v4 :: v_dual_max_f32 v21, v5, v5
	s_add_u32 s2, s44, s2
	s_addc_u32 s3, s45, s3
	v_max_f32_e32 v19, v3, v3
	global_load_b64 v[24:25], v16, s[2:3]
	v_max_f32_e32 v16, v0, v0
	v_max_f32_e32 v18, v2, v2
	;; [unrolled: 1-line block ×3, first 2 shown]
	s_waitcnt vmcnt(0)
	v_dual_max_f32 v23, v25, v25 :: v_dual_max_f32 v22, v24, v24
	s_delay_alu instid0(VALU_DEP_1) | instskip(SKIP_3) | instid1(VALU_DEP_4)
	v_dual_max_f32 v17, v17, v23 :: v_dual_max_f32 v16, v16, v22
	v_max_f32_e32 v36, v7, v7
	v_dual_max_f32 v18, v18, v22 :: v_dual_max_f32 v19, v19, v23
	v_dual_max_f32 v20, v20, v22 :: v_dual_max_f32 v21, v21, v23
	v_dual_max_f32 v22, v35, v22 :: v_dual_sub_f32 v35, v0, v16
	s_delay_alu instid0(VALU_DEP_4)
	v_max_f32_e32 v23, v36, v23
	v_dual_sub_f32 v36, v24, v16 :: v_dual_sub_f32 v37, v1, v17
	v_dual_sub_f32 v38, v25, v17 :: v_dual_sub_f32 v39, v2, v18
	;; [unrolled: 1-line block ×6, first 2 shown]
	v_sub_f32_e32 v48, v7, v23
	v_dual_mov_b32 v0, v16 :: v_dual_mov_b32 v3, v19
	v_dual_mov_b32 v1, v17 :: v_dual_mov_b32 v2, v18
	;; [unrolled: 1-line block ×4, first 2 shown]
	v_dual_mul_f32 v17, 0x3fb8aa3b, v36 :: v_dual_mul_f32 v16, 0x3fb8aa3b, v35
	v_dual_mul_f32 v19, 0x3fb8aa3b, v38 :: v_dual_mul_f32 v18, 0x3fb8aa3b, v37
	;; [unrolled: 1-line block ×3, first 2 shown]
	s_delay_alu instid0(VALU_DEP_3) | instskip(SKIP_4) | instid1(VALU_DEP_4)
	v_fma_f32 v57, 0x3fb8aa3b, v35, -v16
	v_rndne_f32_e32 v58, v16
	v_fma_f32 v59, 0x3fb8aa3b, v36, -v17
	v_rndne_f32_e32 v60, v17
	v_rndne_f32_e32 v64, v19
	v_dual_fmac_f32 v57, 0x32a5705f, v35 :: v_dual_sub_f32 v16, v16, v58
	v_dual_sub_f32 v24, v24, v22 :: v_dual_sub_f32 v25, v25, v23
	v_mul_f32_e32 v23, 0x3fb8aa3b, v42
	v_rndne_f32_e32 v62, v18
	v_fma_f32 v63, 0x3fb8aa3b, v38, -v19
	v_rndne_f32_e32 v66, v20
	v_fmac_f32_e32 v59, 0x32a5705f, v36
	v_sub_f32_e32 v17, v17, v60
	v_dual_sub_f32 v19, v19, v64 :: v_dual_add_f32 v16, v16, v57
	v_dual_mul_f32 v22, 0x3fb8aa3b, v41 :: v_dual_mul_f32 v49, 0x3fb8aa3b, v43
	v_fma_f32 v61, 0x3fb8aa3b, v37, -v18
	v_fma_f32 v65, 0x3fb8aa3b, v39, -v20
	v_sub_f32_e32 v18, v18, v62
	v_dual_sub_f32 v20, v20, v66 :: v_dual_add_f32 v17, v17, v59
	v_exp_f32_e32 v16, v16
	v_fma_f32 v67, 0x3fb8aa3b, v40, -v21
	v_rndne_f32_e32 v70, v22
	v_cvt_i32_f32_e32 v58, v58
	v_fmac_f32_e32 v61, 0x32a5705f, v37
	v_exp_f32_e32 v17, v17
	v_dual_mul_f32 v50, 0x3fb8aa3b, v44 :: v_dual_mul_f32 v51, 0x3fb8aa3b, v45
	v_fma_f32 v69, 0x3fb8aa3b, v41, -v22
	v_fma_f32 v73, 0x3fb8aa3b, v43, -v49
	v_cvt_i32_f32_e32 v60, v60
	v_dual_sub_f32 v22, v22, v70 :: v_dual_fmac_f32 v67, 0x32a5705f, v40
	v_add_f32_e32 v18, v18, v61
	v_ldexp_f32 v16, v16, v58
	v_cmp_ngt_f32_e32 vcc_lo, 0xc2ce8ed0, v35
	v_dual_mul_f32 v52, 0x3fb8aa3b, v46 :: v_dual_mul_f32 v53, 0x3fb8aa3b, v47
	v_rndne_f32_e32 v76, v50
	v_fmac_f32_e32 v63, 0x32a5705f, v38
	v_dual_fmac_f32 v73, 0x32a5705f, v43 :: v_dual_cndmask_b32 v16, 0, v16
	v_exp_f32_e32 v18, v18
	v_ldexp_f32 v17, v17, v60
	v_cmp_ngt_f32_e32 vcc_lo, 0xc2ce8ed0, v36
	v_rndne_f32_e32 v68, v21
	v_fma_f32 v75, 0x3fb8aa3b, v44, -v50
	v_rndne_f32_e32 v80, v52
	v_cvt_i32_f32_e32 v62, v62
	v_dual_fmac_f32 v65, 0x32a5705f, v39 :: v_dual_sub_f32 v50, v50, v76
	v_cndmask_b32_e32 v17, 0, v17, vcc_lo
	v_add_f32_e32 v19, v19, v63
	v_rndne_f32_e32 v74, v49
	v_mul_f32_e32 v54, 0x3fb8aa3b, v24
	v_fma_f32 v79, 0x3fb8aa3b, v46, -v52
	v_fma_f32 v81, 0x3fb8aa3b, v47, -v53
	s_delay_alu instid0(VALU_DEP_4)
	v_dual_sub_f32 v52, v52, v80 :: v_dual_sub_f32 v49, v49, v74
	v_dual_sub_f32 v21, v21, v68 :: v_dual_add_f32 v20, v20, v65
	v_exp_f32_e32 v19, v19
	v_ldexp_f32 v18, v18, v62
	v_cmp_ngt_f32_e32 vcc_lo, 0xc2ce8ed0, v37
	v_rndne_f32_e32 v72, v23
	v_rndne_f32_e32 v84, v54
	v_cvt_i32_f32_e32 v64, v64
	v_fmac_f32_e32 v69, 0x32a5705f, v41
	v_dual_fmac_f32 v81, 0x32a5705f, v47 :: v_dual_cndmask_b32 v18, 0, v18
	v_add_f32_e32 v21, v21, v67
	v_exp_f32_e32 v20, v20
	v_fma_f32 v71, 0x3fb8aa3b, v42, -v23
	v_fma_f32 v83, 0x3fb8aa3b, v24, -v54
	v_cvt_i32_f32_e32 v66, v66
	v_sub_f32_e32 v54, v54, v84
	v_dual_sub_f32 v23, v23, v72 :: v_dual_add_f32 v22, v22, v69
	v_exp_f32_e32 v21, v21
	v_ldexp_f32 v19, v19, v64
	v_cmp_ngt_f32_e32 vcc_lo, 0xc2ce8ed0, v38
	v_rndne_f32_e32 v82, v53
	v_cvt_i32_f32_e32 v68, v68
	v_exp_f32_e32 v22, v22
	v_ldexp_f32 v20, v20, v66
	v_cndmask_b32_e32 v19, 0, v19, vcc_lo
	v_cmp_ngt_f32_e32 vcc_lo, 0xc2ce8ed0, v39
	v_cvt_i32_f32_e32 v70, v70
	v_sub_f32_e32 v53, v53, v82
	v_ldexp_f32 v21, v21, v68
	v_rndne_f32_e32 v78, v51
	v_cndmask_b32_e32 v20, 0, v20, vcc_lo
	v_cmp_ngt_f32_e32 vcc_lo, 0xc2ce8ed0, v40
	v_ldexp_f32 v22, v22, v70
	v_fma_f32 v77, 0x3fb8aa3b, v45, -v51
	v_dual_mul_f32 v55, 0x3fb8aa3b, v48 :: v_dual_mul_f32 v56, 0x3fb8aa3b, v25
	v_cndmask_b32_e32 v21, 0, v21, vcc_lo
	v_cmp_ngt_f32_e32 vcc_lo, 0xc2ce8ed0, v41
	v_fmac_f32_e32 v83, 0x32a5705f, v24
	v_cvt_i32_f32_e32 v84, v84
	v_fma_f32 v87, 0x3fb8aa3b, v25, -v56
	v_rndne_f32_e32 v88, v56
	v_cndmask_b32_e32 v22, 0, v22, vcc_lo
	v_dual_sub_f32 v51, v51, v78 :: v_dual_add_f32 v54, v54, v83
	s_delay_alu instid0(VALU_DEP_3) | instskip(SKIP_2) | instid1(VALU_DEP_4)
	v_dual_fmac_f32 v71, 0x32a5705f, v42 :: v_dual_sub_f32 v56, v56, v88
	v_add_f32_e32 v49, v49, v73
	v_cvt_i32_f32_e32 v72, v72
	v_exp_f32_e32 v54, v54
	s_delay_alu instid0(VALU_DEP_3)
	v_add_f32_e32 v23, v23, v71
	v_cvt_i32_f32_e32 v74, v74
	v_exp_f32_e32 v49, v49
	v_cmp_ngt_f32_e32 vcc_lo, 0xc2ce8ed0, v42
	v_cvt_i32_f32_e32 v76, v76
	v_exp_f32_e32 v23, v23
	v_fma_f32 v85, 0x3fb8aa3b, v48, -v55
	v_cvt_i32_f32_e32 v78, v78
	v_cvt_i32_f32_e32 v80, v80
	v_ldexp_f32 v54, v54, v84
	v_fmac_f32_e32 v87, 0x32a5705f, v25
	v_fmac_f32_e32 v79, 0x32a5705f, v46
	v_ldexp_f32 v49, v49, v74
	v_rndne_f32_e32 v86, v55
	v_cvt_i32_f32_e32 v82, v82
	v_dual_add_f32 v56, v56, v87 :: v_dual_fmac_f32 v75, 0x32a5705f, v44
	v_dual_add_f32 v52, v52, v79 :: v_dual_fmac_f32 v77, 0x32a5705f, v45
	v_ldexp_f32 v23, v23, v72
	s_delay_alu instid0(VALU_DEP_3) | instskip(NEXT) | instid1(VALU_DEP_3)
	v_exp_f32_e32 v56, v56
	v_add_f32_e32 v50, v50, v75
	s_delay_alu instid0(VALU_DEP_3)
	v_exp_f32_e32 v52, v52
	v_cvt_i32_f32_e32 v88, v88
	v_cndmask_b32_e32 v23, 0, v23, vcc_lo
	v_cmp_ngt_f32_e32 vcc_lo, 0xc2ce8ed0, v43
	v_exp_f32_e32 v50, v50
	v_cndmask_b32_e32 v49, 0, v49, vcc_lo
	v_cmp_ngt_f32_e32 vcc_lo, 0xc2ce8ed0, v44
	s_delay_alu instid0(TRANS32_DEP_2) | instskip(SKIP_3) | instid1(VALU_DEP_1)
	v_ldexp_f32 v52, v52, v80
	v_ldexp_f32 v56, v56, v88
	s_waitcnt_depctr 0xfff
	v_ldexp_f32 v50, v50, v76
	v_dual_fmac_f32 v85, 0x32a5705f, v48 :: v_dual_cndmask_b32 v50, 0, v50
	v_add_f32_e32 v51, v51, v77
	v_cmp_ngt_f32_e32 vcc_lo, 0xc2ce8ed0, v45
	s_delay_alu instid0(VALU_DEP_2) | instskip(SKIP_2) | instid1(VALU_DEP_1)
	v_exp_f32_e32 v51, v51
	s_waitcnt_depctr 0xfff
	v_ldexp_f32 v51, v51, v78
	v_cndmask_b32_e32 v51, 0, v51, vcc_lo
	v_add_f32_e32 v53, v53, v81
	v_cmp_ngt_f32_e32 vcc_lo, 0xc2ce8ed0, v46
	v_sub_f32_e32 v55, v55, v86
	v_cvt_i32_f32_e32 v86, v86
	s_delay_alu instid0(VALU_DEP_4) | instskip(SKIP_4) | instid1(VALU_DEP_1)
	v_exp_f32_e32 v53, v53
	v_cndmask_b32_e32 v52, 0, v52, vcc_lo
	v_cmp_ngt_f32_e32 vcc_lo, 0xc2ce8ed0, v47
	s_waitcnt_depctr 0xfff
	v_ldexp_f32 v53, v53, v82
	v_cndmask_b32_e32 v53, 0, v53, vcc_lo
	v_cmp_ngt_f32_e32 vcc_lo, 0xc2ce8ed0, v24
	v_dual_cndmask_b32 v54, 0, v54 :: v_dual_add_f32 v55, v55, v85
	v_cmp_ngt_f32_e32 vcc_lo, 0xc2ce8ed0, v48
	s_delay_alu instid0(VALU_DEP_2) | instskip(SKIP_2) | instid1(VALU_DEP_1)
	v_exp_f32_e32 v55, v55
	s_waitcnt_depctr 0xfff
	v_ldexp_f32 v55, v55, v86
	v_cndmask_b32_e32 v55, 0, v55, vcc_lo
	v_cmp_ngt_f32_e32 vcc_lo, 0xc2ce8ed0, v25
	v_cndmask_b32_e32 v56, 0, v56, vcc_lo
	v_cmp_nlt_f32_e32 vcc_lo, 0x42b17218, v35
	v_cndmask_b32_e32 v35, 0x7f800000, v16, vcc_lo
	v_cmp_nlt_f32_e32 vcc_lo, 0x42b17218, v36
	;; [unrolled: 2-line block ×3, first 2 shown]
	s_delay_alu instid0(VALU_DEP_2)
	v_fmac_f32_e32 v16, v8, v35
	v_cndmask_b32_e32 v36, 0x7f800000, v18, vcc_lo
	v_cmp_nlt_f32_e32 vcc_lo, 0x42b17218, v38
	v_cvt_f16_f32_e32 v8, v35
	v_cndmask_b32_e32 v17, 0x7f800000, v19, vcc_lo
	v_cmp_nlt_f32_e32 vcc_lo, 0x42b17218, v39
	s_delay_alu instid0(VALU_DEP_3) | instskip(NEXT) | instid1(VALU_DEP_3)
	v_pk_mul_f16 v33, v33, v8 op_sel_hi:[1,0]
	v_dual_mov_b32 v8, v16 :: v_dual_fmac_f32 v17, v9, v36
	v_cndmask_b32_e32 v37, 0x7f800000, v20, vcc_lo
	v_cmp_nlt_f32_e32 vcc_lo, 0x42b17218, v40
	v_cvt_f16_f32_e32 v9, v36
	v_cndmask_b32_e32 v18, 0x7f800000, v21, vcc_lo
	v_cmp_nlt_f32_e32 vcc_lo, 0x42b17218, v41
	s_delay_alu instid0(VALU_DEP_3) | instskip(NEXT) | instid1(VALU_DEP_3)
	v_pk_mul_f16 v32, v32, v9 op_sel_hi:[1,0]
	v_dual_mov_b32 v9, v17 :: v_dual_fmac_f32 v18, v10, v37
	;; [unrolled: 8-line block ×6, first 2 shown]
	v_cvt_f16_f32_e32 v14, v41
	s_delay_alu instid0(VALU_DEP_1) | instskip(NEXT) | instid1(VALU_DEP_3)
	v_pk_mul_f16 v27, v27, v14 op_sel_hi:[1,0]
	v_mov_b32_e32 v14, v22
	v_cndmask_b32_e32 v24, 0x7f800000, v55, vcc_lo
	v_cmp_nlt_f32_e32 vcc_lo, 0x42b17218, v25
	v_cndmask_b32_e32 v23, 0x7f800000, v56, vcc_lo
	s_delay_alu instid0(VALU_DEP_1) | instskip(SKIP_1) | instid1(VALU_DEP_1)
	v_fmac_f32_e32 v23, v15, v24
	v_cvt_f16_f32_e32 v15, v24
	v_pk_mul_f16 v26, v26, v15 op_sel_hi:[1,0]
	s_delay_alu instid0(VALU_DEP_3)
	v_mov_b32_e32 v15, v23
	s_mov_b32 s2, exec_lo
	v_cmpx_gt_i32_e64 s26, v199
	s_cbranch_execnz .LBB37_15
.LBB37_13:
	s_nop 0
	s_sendmsg sendmsg(MSG_DEALLOC_VGPRS)
	s_endpgm
.LBB37_14:
	s_delay_alu instid0(VALU_DEP_1) | instskip(NEXT) | instid1(VALU_DEP_3)
	v_dual_mov_b32 v23, v15 :: v_dual_mov_b32 v22, v14
	v_dual_mov_b32 v21, v13 :: v_dual_mov_b32 v20, v12
	;; [unrolled: 1-line block ×4, first 2 shown]
	s_mov_b32 s2, exec_lo
	v_cmpx_gt_i32_e64 s26, v199
	s_cbranch_execz .LBB37_13
.LBB37_15:
	s_load_b32 s1, s[0:1], 0xd4
	v_mov_b32_e32 v35, 1.0
	s_waitcnt lgkmcnt(0)
	s_cmp_lg_u32 s1, 1
	s_cselect_b32 s3, -1, 0
	s_cmp_eq_u32 s1, 1
	s_cselect_b32 s4, -1, 0
	s_and_b32 vcc_lo, exec_lo, s3
	s_cbranch_vccnz .LBB37_17
; %bb.16:
	v_div_scale_f32 v24, null, v8, v8, 1.0
	s_delay_alu instid0(VALU_DEP_1) | instskip(SKIP_2) | instid1(VALU_DEP_1)
	v_rcp_f32_e32 v25, v24
	s_waitcnt_depctr 0xfff
	v_fma_f32 v35, -v24, v25, 1.0
	v_fmac_f32_e32 v25, v35, v25
	v_div_scale_f32 v35, vcc_lo, 1.0, v8, 1.0
	s_delay_alu instid0(VALU_DEP_1) | instskip(NEXT) | instid1(VALU_DEP_1)
	v_mul_f32_e32 v36, v35, v25
	v_fma_f32 v37, -v24, v36, v35
	s_delay_alu instid0(VALU_DEP_1) | instskip(NEXT) | instid1(VALU_DEP_1)
	v_fmac_f32_e32 v36, v37, v25
	v_fma_f32 v24, -v24, v36, v35
	s_delay_alu instid0(VALU_DEP_1) | instskip(NEXT) | instid1(VALU_DEP_1)
	v_div_fmas_f32 v24, v24, v25, v36
	v_div_fixup_f32 v35, v24, v8, 1.0
.LBB37_17:
	s_mul_i32 s2, s33, s26
	v_cmp_eq_u32_e32 vcc_lo, 0, v200
	s_add_i32 s2, s2, s31
	s_delay_alu instid0(SALU_CYCLE_1) | instskip(SKIP_1) | instid1(VALU_DEP_1)
	v_dual_mov_b32 v37, 0 :: v_dual_add_nc_u32 v8, s2, v197
	s_and_b32 s3, vcc_lo, s3
	v_mul_lo_u32 v8, v8, s27
	s_delay_alu instid0(VALU_DEP_1) | instskip(NEXT) | instid1(VALU_DEP_1)
	v_add_nc_u32_e32 v36, s28, v8
	v_mad_u64_u32 v[24:25], null, s1, v36, s[14:15]
	v_lshrrev_b32_e32 v25, 16, v33
	v_cvt_f32_f16_e32 v33, v33
	s_delay_alu instid0(VALU_DEP_2) | instskip(NEXT) | instid1(VALU_DEP_4)
	v_cvt_f32_f16_e32 v25, v25
	v_lshl_add_u32 v36, v24, 6, v34
	s_delay_alu instid0(VALU_DEP_3) | instskip(NEXT) | instid1(VALU_DEP_3)
	v_mul_f32_e32 v38, v35, v33
	v_mul_f32_e32 v39, v35, v25
	s_delay_alu instid0(VALU_DEP_3) | instskip(NEXT) | instid1(VALU_DEP_1)
	v_lshlrev_b64 v[36:37], 2, v[36:37]
	v_add_co_u32 v35, s0, s48, v36
	s_delay_alu instid0(VALU_DEP_1)
	v_add_co_ci_u32_e64 v36, s0, s49, v37, s0
	global_store_b64 v[35:36], v[38:39], off
	s_and_saveexec_b32 s0, s3
	s_cbranch_execz .LBB37_19
; %bb.18:
	v_ashrrev_i32_e32 v25, 31, v24
	v_mov_b32_e32 v35, v0
	v_mov_b32_e32 v36, v16
	s_delay_alu instid0(VALU_DEP_3) | instskip(NEXT) | instid1(VALU_DEP_1)
	v_lshlrev_b64 v[24:25], 3, v[24:25]
	v_add_co_u32 v24, vcc_lo, s50, v24
	s_delay_alu instid0(VALU_DEP_2)
	v_add_co_ci_u32_e32 v25, vcc_lo, s51, v25, vcc_lo
	global_store_b64 v[24:25], v[35:36], off
.LBB37_19:
	s_or_b32 exec_lo, exec_lo, s0
	v_cndmask_b32_e64 v24, 0, 1, s4
	v_mov_b32_e32 v0, 1.0
	s_and_not1_b32 vcc_lo, exec_lo, s4
	s_cbranch_vccnz .LBB37_21
; %bb.20:
	v_div_scale_f32 v0, null, v9, v9, 1.0
	s_delay_alu instid0(VALU_DEP_1) | instskip(SKIP_2) | instid1(VALU_DEP_1)
	v_rcp_f32_e32 v16, v0
	s_waitcnt_depctr 0xfff
	v_fma_f32 v25, -v0, v16, 1.0
	v_fmac_f32_e32 v16, v25, v16
	v_div_scale_f32 v25, vcc_lo, 1.0, v9, 1.0
	s_delay_alu instid0(VALU_DEP_1) | instskip(NEXT) | instid1(VALU_DEP_1)
	v_mul_f32_e32 v33, v25, v16
	v_fma_f32 v35, -v0, v33, v25
	s_delay_alu instid0(VALU_DEP_1) | instskip(NEXT) | instid1(VALU_DEP_1)
	v_fmac_f32_e32 v33, v35, v16
	v_fma_f32 v0, -v0, v33, v25
	s_delay_alu instid0(VALU_DEP_1) | instskip(NEXT) | instid1(VALU_DEP_1)
	v_div_fmas_f32 v0, v0, v16, v33
	v_div_fixup_f32 v0, v0, v9, 1.0
.LBB37_21:
	s_add_i32 s0, s28, 1
	s_delay_alu instid0(SALU_CYCLE_1) | instskip(NEXT) | instid1(VALU_DEP_1)
	v_add_nc_u32_e32 v16, s0, v8
	v_mad_u64_u32 v[8:9], null, s1, v16, s[14:15]
	v_cvt_f32_f16_e32 v16, v32
	v_mov_b32_e32 v36, 0
	v_lshrrev_b32_e32 v9, 16, v32
	s_delay_alu instid0(VALU_DEP_4) | instskip(NEXT) | instid1(VALU_DEP_2)
	v_lshl_add_u32 v35, v8, 6, v34
	v_cvt_f32_f16_e32 v9, v9
	s_delay_alu instid0(VALU_DEP_2) | instskip(SKIP_1) | instid1(VALU_DEP_3)
	v_lshlrev_b64 v[32:33], 2, v[35:36]
	v_mul_f32_e32 v35, v0, v16
	v_mul_f32_e32 v36, v0, v9
	s_delay_alu instid0(VALU_DEP_3) | instskip(NEXT) | instid1(VALU_DEP_4)
	v_add_co_u32 v32, vcc_lo, s48, v32
	v_add_co_ci_u32_e32 v33, vcc_lo, s49, v33, vcc_lo
	global_store_b64 v[32:33], v[35:36], off
	s_and_saveexec_b32 s4, s3
	s_cbranch_execz .LBB37_23
; %bb.22:
	v_ashrrev_i32_e32 v9, 31, v8
	v_mov_b32_e32 v16, v1
	s_delay_alu instid0(VALU_DEP_2) | instskip(NEXT) | instid1(VALU_DEP_1)
	v_lshlrev_b64 v[8:9], 3, v[8:9]
	v_add_co_u32 v8, vcc_lo, s50, v8
	s_delay_alu instid0(VALU_DEP_2)
	v_add_co_ci_u32_e32 v9, vcc_lo, s51, v9, vcc_lo
	global_store_b64 v[8:9], v[16:17], off
.LBB37_23:
	s_or_b32 exec_lo, exec_lo, s4
	v_cmp_gt_i32_e32 vcc_lo, s26, v198
	s_and_b32 exec_lo, exec_lo, vcc_lo
	s_cbranch_execz .LBB37_13
; %bb.24:
	v_cmp_ne_u32_e32 vcc_lo, 1, v24
	v_mov_b32_e32 v8, 1.0
	s_cbranch_vccnz .LBB37_26
; %bb.25:
	v_div_scale_f32 v0, null, v10, v10, 1.0
	s_delay_alu instid0(VALU_DEP_1) | instskip(SKIP_2) | instid1(VALU_DEP_1)
	v_rcp_f32_e32 v1, v0
	s_waitcnt_depctr 0xfff
	v_fma_f32 v8, -v0, v1, 1.0
	v_fmac_f32_e32 v1, v8, v1
	v_div_scale_f32 v8, vcc_lo, 1.0, v10, 1.0
	s_delay_alu instid0(VALU_DEP_1) | instskip(NEXT) | instid1(VALU_DEP_1)
	v_mul_f32_e32 v9, v8, v1
	v_fma_f32 v16, -v0, v9, v8
	s_delay_alu instid0(VALU_DEP_1) | instskip(NEXT) | instid1(VALU_DEP_1)
	v_fmac_f32_e32 v9, v16, v1
	v_fma_f32 v0, -v0, v9, v8
	s_delay_alu instid0(VALU_DEP_1) | instskip(NEXT) | instid1(VALU_DEP_1)
	v_div_fmas_f32 v0, v0, v1, v9
	v_div_fixup_f32 v8, v0, v10, 1.0
.LBB37_26:
	v_add_nc_u32_e32 v0, s2, v196
	v_cvt_f32_f16_e32 v16, v31
	s_delay_alu instid0(VALU_DEP_2) | instskip(SKIP_1) | instid1(VALU_DEP_3)
	v_mad_u64_u32 v[9:10], null, v0, s27, s[28:29]
	v_mov_b32_e32 v10, 0
	v_mul_f32_e32 v16, v8, v16
	s_delay_alu instid0(VALU_DEP_3) | instskip(SKIP_1) | instid1(VALU_DEP_1)
	v_mad_u64_u32 v[0:1], null, s1, v9, s[14:15]
	v_lshrrev_b32_e32 v1, 16, v31
	v_cvt_f32_f16_e32 v1, v1
	s_delay_alu instid0(VALU_DEP_3) | instskip(NEXT) | instid1(VALU_DEP_2)
	v_lshl_add_u32 v9, v0, 6, v34
	v_mul_f32_e32 v17, v8, v1
	s_delay_alu instid0(VALU_DEP_2) | instskip(NEXT) | instid1(VALU_DEP_1)
	v_lshlrev_b64 v[9:10], 2, v[9:10]
	v_add_co_u32 v8, vcc_lo, s48, v9
	s_delay_alu instid0(VALU_DEP_2)
	v_add_co_ci_u32_e32 v9, vcc_lo, s49, v10, vcc_lo
	global_store_b64 v[8:9], v[16:17], off
	s_and_saveexec_b32 s4, s3
	s_cbranch_execz .LBB37_28
; %bb.27:
	v_ashrrev_i32_e32 v1, 31, v0
	v_mov_b32_e32 v17, v2
	s_delay_alu instid0(VALU_DEP_2) | instskip(NEXT) | instid1(VALU_DEP_1)
	v_lshlrev_b64 v[0:1], 3, v[0:1]
	v_add_co_u32 v0, vcc_lo, s50, v0
	s_delay_alu instid0(VALU_DEP_2)
	v_add_co_ci_u32_e32 v1, vcc_lo, s51, v1, vcc_lo
	global_store_b64 v[0:1], v[17:18], off
.LBB37_28:
	s_or_b32 exec_lo, exec_lo, s4
	v_cmp_gt_i32_e32 vcc_lo, s26, v195
	s_and_b32 exec_lo, exec_lo, vcc_lo
	s_cbranch_execz .LBB37_13
; %bb.29:
	v_cmp_ne_u32_e32 vcc_lo, 1, v24
	v_mov_b32_e32 v2, 1.0
	s_cbranch_vccnz .LBB37_31
; %bb.30:
	v_div_scale_f32 v0, null, v11, v11, 1.0
	s_delay_alu instid0(VALU_DEP_1) | instskip(SKIP_2) | instid1(VALU_DEP_1)
	v_rcp_f32_e32 v1, v0
	s_waitcnt_depctr 0xfff
	v_fma_f32 v2, -v0, v1, 1.0
	v_fmac_f32_e32 v1, v2, v1
	v_div_scale_f32 v2, vcc_lo, 1.0, v11, 1.0
	s_delay_alu instid0(VALU_DEP_1) | instskip(NEXT) | instid1(VALU_DEP_1)
	v_mul_f32_e32 v8, v2, v1
	v_fma_f32 v9, -v0, v8, v2
	s_delay_alu instid0(VALU_DEP_1) | instskip(NEXT) | instid1(VALU_DEP_1)
	v_fmac_f32_e32 v8, v9, v1
	v_fma_f32 v0, -v0, v8, v2
	s_delay_alu instid0(VALU_DEP_1) | instskip(NEXT) | instid1(VALU_DEP_1)
	v_div_fmas_f32 v0, v0, v1, v8
	v_div_fixup_f32 v2, v0, v11, 1.0
.LBB37_31:
	v_add_nc_u32_e32 v0, s2, v194
	v_cvt_f32_f16_e32 v10, v30
	s_delay_alu instid0(VALU_DEP_2) | instskip(SKIP_1) | instid1(VALU_DEP_2)
	v_mad_u64_u32 v[8:9], null, v0, s27, s[0:1]
	v_mov_b32_e32 v9, 0
	v_mad_u64_u32 v[0:1], null, s1, v8, s[14:15]
	v_lshrrev_b32_e32 v1, 16, v30
	s_delay_alu instid0(VALU_DEP_1) | instskip(NEXT) | instid1(VALU_DEP_3)
	v_cvt_f32_f16_e32 v11, v1
	v_lshl_add_u32 v8, v0, 6, v34
	v_mul_f32_e32 v1, v2, v10
	s_delay_alu instid0(VALU_DEP_3) | instskip(NEXT) | instid1(VALU_DEP_3)
	v_mul_f32_e32 v2, v2, v11
	v_lshlrev_b64 v[8:9], 2, v[8:9]
	s_delay_alu instid0(VALU_DEP_1) | instskip(NEXT) | instid1(VALU_DEP_2)
	v_add_co_u32 v8, vcc_lo, s48, v8
	v_add_co_ci_u32_e32 v9, vcc_lo, s49, v9, vcc_lo
	global_store_b64 v[8:9], v[1:2], off
	s_and_saveexec_b32 s4, s3
	s_cbranch_execz .LBB37_33
; %bb.32:
	v_ashrrev_i32_e32 v1, 31, v0
	v_mov_b32_e32 v18, v3
	s_delay_alu instid0(VALU_DEP_2) | instskip(NEXT) | instid1(VALU_DEP_1)
	v_lshlrev_b64 v[0:1], 3, v[0:1]
	v_add_co_u32 v0, vcc_lo, s50, v0
	s_delay_alu instid0(VALU_DEP_2)
	v_add_co_ci_u32_e32 v1, vcc_lo, s51, v1, vcc_lo
	global_store_b64 v[0:1], v[18:19], off
.LBB37_33:
	s_or_b32 exec_lo, exec_lo, s4
	v_cmp_gt_i32_e32 vcc_lo, s26, v193
	s_and_b32 exec_lo, exec_lo, vcc_lo
	s_cbranch_execz .LBB37_13
; %bb.34:
	v_cmp_ne_u32_e32 vcc_lo, 1, v24
	v_mov_b32_e32 v2, 1.0
	s_cbranch_vccnz .LBB37_36
; %bb.35:
	v_div_scale_f32 v0, null, v12, v12, 1.0
	s_delay_alu instid0(VALU_DEP_1) | instskip(SKIP_2) | instid1(VALU_DEP_1)
	v_rcp_f32_e32 v1, v0
	s_waitcnt_depctr 0xfff
	v_fma_f32 v2, -v0, v1, 1.0
	v_fmac_f32_e32 v1, v2, v1
	v_div_scale_f32 v2, vcc_lo, 1.0, v12, 1.0
	s_delay_alu instid0(VALU_DEP_1) | instskip(NEXT) | instid1(VALU_DEP_1)
	v_mul_f32_e32 v3, v2, v1
	v_fma_f32 v8, -v0, v3, v2
	s_delay_alu instid0(VALU_DEP_1) | instskip(NEXT) | instid1(VALU_DEP_1)
	v_fmac_f32_e32 v3, v8, v1
	v_fma_f32 v0, -v0, v3, v2
	s_delay_alu instid0(VALU_DEP_1) | instskip(NEXT) | instid1(VALU_DEP_1)
	v_div_fmas_f32 v0, v0, v1, v3
	v_div_fixup_f32 v2, v0, v12, 1.0
.LBB37_36:
	v_add_nc_u32_e32 v0, s2, v192
	v_cvt_f32_f16_e32 v3, v29
	s_delay_alu instid0(VALU_DEP_2) | instskip(SKIP_1) | instid1(VALU_DEP_2)
	v_mad_u64_u32 v[8:9], null, v0, s27, s[28:29]
	v_mov_b32_e32 v9, 0
	v_mad_u64_u32 v[0:1], null, s1, v8, s[14:15]
	v_lshrrev_b32_e32 v1, 16, v29
	s_delay_alu instid0(VALU_DEP_1) | instskip(NEXT) | instid1(VALU_DEP_3)
	v_cvt_f32_f16_e32 v10, v1
	v_lshl_add_u32 v8, v0, 6, v34
	v_mul_f32_e32 v1, v2, v3
	s_delay_alu instid0(VALU_DEP_3) | instskip(NEXT) | instid1(VALU_DEP_3)
	v_mul_f32_e32 v2, v2, v10
	v_lshlrev_b64 v[8:9], 2, v[8:9]
	s_delay_alu instid0(VALU_DEP_1) | instskip(NEXT) | instid1(VALU_DEP_2)
	v_add_co_u32 v8, vcc_lo, s48, v8
	v_add_co_ci_u32_e32 v9, vcc_lo, s49, v9, vcc_lo
	global_store_b64 v[8:9], v[1:2], off
	s_and_saveexec_b32 s4, s3
	s_cbranch_execz .LBB37_38
; %bb.37:
	v_ashrrev_i32_e32 v1, 31, v0
	v_mov_b32_e32 v19, v4
	s_delay_alu instid0(VALU_DEP_2) | instskip(NEXT) | instid1(VALU_DEP_1)
	v_lshlrev_b64 v[0:1], 3, v[0:1]
	v_add_co_u32 v0, vcc_lo, s50, v0
	s_delay_alu instid0(VALU_DEP_2)
	v_add_co_ci_u32_e32 v1, vcc_lo, s51, v1, vcc_lo
	global_store_b64 v[0:1], v[19:20], off
.LBB37_38:
	s_or_b32 exec_lo, exec_lo, s4
	v_cmp_gt_i32_e32 vcc_lo, s26, v190
	s_and_b32 exec_lo, exec_lo, vcc_lo
	s_cbranch_execz .LBB37_13
; %bb.39:
	v_cmp_ne_u32_e32 vcc_lo, 1, v24
	v_mov_b32_e32 v2, 1.0
	s_cbranch_vccnz .LBB37_41
; %bb.40:
	v_div_scale_f32 v0, null, v13, v13, 1.0
	s_delay_alu instid0(VALU_DEP_1) | instskip(SKIP_2) | instid1(VALU_DEP_1)
	v_rcp_f32_e32 v1, v0
	s_waitcnt_depctr 0xfff
	v_fma_f32 v2, -v0, v1, 1.0
	v_fmac_f32_e32 v1, v2, v1
	v_div_scale_f32 v2, vcc_lo, 1.0, v13, 1.0
	s_delay_alu instid0(VALU_DEP_1) | instskip(NEXT) | instid1(VALU_DEP_1)
	v_mul_f32_e32 v3, v2, v1
	v_fma_f32 v4, -v0, v3, v2
	s_delay_alu instid0(VALU_DEP_1) | instskip(NEXT) | instid1(VALU_DEP_1)
	v_fmac_f32_e32 v3, v4, v1
	v_fma_f32 v0, -v0, v3, v2
	s_delay_alu instid0(VALU_DEP_1) | instskip(NEXT) | instid1(VALU_DEP_1)
	v_div_fmas_f32 v0, v0, v1, v3
	v_div_fixup_f32 v2, v0, v13, 1.0
.LBB37_41:
	v_add_nc_u32_e32 v0, s2, v188
	v_cvt_f32_f16_e32 v8, v28
	s_delay_alu instid0(VALU_DEP_2) | instskip(SKIP_1) | instid1(VALU_DEP_2)
	v_mad_u64_u32 v[3:4], null, v0, s27, s[0:1]
	v_mov_b32_e32 v4, 0
	v_mad_u64_u32 v[0:1], null, s1, v3, s[14:15]
	v_lshrrev_b32_e32 v1, 16, v28
	s_delay_alu instid0(VALU_DEP_1) | instskip(SKIP_1) | instid1(VALU_DEP_4)
	v_cvt_f32_f16_e32 v9, v1
	v_mul_f32_e32 v1, v2, v8
	v_lshl_add_u32 v3, v0, 6, v34
	s_delay_alu instid0(VALU_DEP_3) | instskip(NEXT) | instid1(VALU_DEP_2)
	v_mul_f32_e32 v2, v2, v9
	v_lshlrev_b64 v[3:4], 2, v[3:4]
	s_delay_alu instid0(VALU_DEP_1) | instskip(NEXT) | instid1(VALU_DEP_2)
	v_add_co_u32 v3, vcc_lo, s48, v3
	v_add_co_ci_u32_e32 v4, vcc_lo, s49, v4, vcc_lo
	global_store_b64 v[3:4], v[1:2], off
	s_and_saveexec_b32 s4, s3
	s_cbranch_execz .LBB37_43
; %bb.42:
	v_ashrrev_i32_e32 v1, 31, v0
	v_mov_b32_e32 v20, v5
	s_delay_alu instid0(VALU_DEP_2) | instskip(NEXT) | instid1(VALU_DEP_1)
	v_lshlrev_b64 v[0:1], 3, v[0:1]
	v_add_co_u32 v0, vcc_lo, s50, v0
	s_delay_alu instid0(VALU_DEP_2)
	v_add_co_ci_u32_e32 v1, vcc_lo, s51, v1, vcc_lo
	global_store_b64 v[0:1], v[20:21], off
.LBB37_43:
	s_or_b32 exec_lo, exec_lo, s4
	v_cmp_gt_i32_e32 vcc_lo, s26, v191
	s_and_b32 exec_lo, exec_lo, vcc_lo
	s_cbranch_execz .LBB37_13
; %bb.44:
	v_cmp_ne_u32_e32 vcc_lo, 1, v24
	v_mov_b32_e32 v2, 1.0
	s_cbranch_vccnz .LBB37_46
; %bb.45:
	v_div_scale_f32 v0, null, v14, v14, 1.0
	s_delay_alu instid0(VALU_DEP_1) | instskip(SKIP_2) | instid1(VALU_DEP_1)
	v_rcp_f32_e32 v1, v0
	s_waitcnt_depctr 0xfff
	v_fma_f32 v2, -v0, v1, 1.0
	v_fmac_f32_e32 v1, v2, v1
	v_div_scale_f32 v2, vcc_lo, 1.0, v14, 1.0
	s_delay_alu instid0(VALU_DEP_1) | instskip(NEXT) | instid1(VALU_DEP_1)
	v_mul_f32_e32 v3, v2, v1
	v_fma_f32 v4, -v0, v3, v2
	s_delay_alu instid0(VALU_DEP_1) | instskip(NEXT) | instid1(VALU_DEP_1)
	v_fmac_f32_e32 v3, v4, v1
	v_fma_f32 v0, -v0, v3, v2
	s_delay_alu instid0(VALU_DEP_1) | instskip(NEXT) | instid1(VALU_DEP_1)
	v_div_fmas_f32 v0, v0, v1, v3
	v_div_fixup_f32 v2, v0, v14, 1.0
.LBB37_46:
	v_add_nc_u32_e32 v0, s2, v189
	v_cvt_f32_f16_e32 v5, v27
	s_delay_alu instid0(VALU_DEP_2) | instskip(SKIP_1) | instid1(VALU_DEP_2)
	v_mad_u64_u32 v[3:4], null, v0, s27, s[28:29]
	v_mov_b32_e32 v4, 0
	v_mad_u64_u32 v[0:1], null, s1, v3, s[14:15]
	v_lshrrev_b32_e32 v1, 16, v27
	s_delay_alu instid0(VALU_DEP_1) | instskip(SKIP_1) | instid1(VALU_DEP_4)
	v_cvt_f32_f16_e32 v8, v1
	v_mul_f32_e32 v1, v2, v5
	v_lshl_add_u32 v3, v0, 6, v34
	s_delay_alu instid0(VALU_DEP_3) | instskip(NEXT) | instid1(VALU_DEP_2)
	v_mul_f32_e32 v2, v2, v8
	v_lshlrev_b64 v[3:4], 2, v[3:4]
	s_delay_alu instid0(VALU_DEP_1) | instskip(NEXT) | instid1(VALU_DEP_2)
	v_add_co_u32 v3, vcc_lo, s48, v3
	v_add_co_ci_u32_e32 v4, vcc_lo, s49, v4, vcc_lo
	global_store_b64 v[3:4], v[1:2], off
	s_and_saveexec_b32 s4, s3
	s_cbranch_execz .LBB37_48
; %bb.47:
	v_ashrrev_i32_e32 v1, 31, v0
	v_mov_b32_e32 v21, v6
	s_delay_alu instid0(VALU_DEP_2) | instskip(NEXT) | instid1(VALU_DEP_1)
	v_lshlrev_b64 v[0:1], 3, v[0:1]
	v_add_co_u32 v0, vcc_lo, s50, v0
	s_delay_alu instid0(VALU_DEP_2)
	v_add_co_ci_u32_e32 v1, vcc_lo, s51, v1, vcc_lo
	global_store_b64 v[0:1], v[21:22], off
.LBB37_48:
	s_or_b32 exec_lo, exec_lo, s4
	v_cmp_gt_i32_e32 vcc_lo, s26, v187
	s_and_b32 exec_lo, exec_lo, vcc_lo
	s_cbranch_execz .LBB37_13
; %bb.49:
	v_cmp_ne_u32_e32 vcc_lo, 1, v24
	v_mov_b32_e32 v2, 1.0
	s_cbranch_vccnz .LBB37_51
; %bb.50:
	v_div_scale_f32 v0, null, v15, v15, 1.0
	s_delay_alu instid0(VALU_DEP_1) | instskip(SKIP_2) | instid1(VALU_DEP_1)
	v_rcp_f32_e32 v1, v0
	s_waitcnt_depctr 0xfff
	v_fma_f32 v2, -v0, v1, 1.0
	v_fmac_f32_e32 v1, v2, v1
	v_div_scale_f32 v2, vcc_lo, 1.0, v15, 1.0
	s_delay_alu instid0(VALU_DEP_1) | instskip(NEXT) | instid1(VALU_DEP_1)
	v_mul_f32_e32 v3, v2, v1
	v_fma_f32 v4, -v0, v3, v2
	s_delay_alu instid0(VALU_DEP_1) | instskip(NEXT) | instid1(VALU_DEP_1)
	v_fmac_f32_e32 v3, v4, v1
	v_fma_f32 v0, -v0, v3, v2
	s_delay_alu instid0(VALU_DEP_1) | instskip(NEXT) | instid1(VALU_DEP_1)
	v_div_fmas_f32 v0, v0, v1, v3
	v_div_fixup_f32 v2, v0, v15, 1.0
.LBB37_51:
	v_cvt_f32_f16_e32 v5, v26
	v_add_nc_u32_e32 v0, s2, v186
	s_delay_alu instid0(VALU_DEP_1) | instskip(SKIP_1) | instid1(VALU_DEP_2)
	v_mad_u64_u32 v[3:4], null, v0, s27, s[0:1]
	v_mov_b32_e32 v4, 0
	v_mad_u64_u32 v[0:1], null, s1, v3, s[14:15]
	v_lshrrev_b32_e32 v1, 16, v26
	s_delay_alu instid0(VALU_DEP_1) | instskip(SKIP_1) | instid1(VALU_DEP_4)
	v_cvt_f32_f16_e32 v6, v1
	v_mul_f32_e32 v1, v2, v5
	v_lshl_add_u32 v3, v0, 6, v34
	s_delay_alu instid0(VALU_DEP_3) | instskip(NEXT) | instid1(VALU_DEP_2)
	v_mul_f32_e32 v2, v2, v6
	v_lshlrev_b64 v[3:4], 2, v[3:4]
	s_delay_alu instid0(VALU_DEP_1) | instskip(NEXT) | instid1(VALU_DEP_2)
	v_add_co_u32 v3, vcc_lo, s48, v3
	v_add_co_ci_u32_e32 v4, vcc_lo, s49, v4, vcc_lo
	global_store_b64 v[3:4], v[1:2], off
	s_and_b32 exec_lo, exec_lo, s3
	s_cbranch_execz .LBB37_13
; %bb.52:
	v_ashrrev_i32_e32 v1, 31, v0
	v_mov_b32_e32 v22, v7
	s_delay_alu instid0(VALU_DEP_2) | instskip(NEXT) | instid1(VALU_DEP_1)
	v_lshlrev_b64 v[0:1], 3, v[0:1]
	v_add_co_u32 v0, vcc_lo, s50, v0
	s_delay_alu instid0(VALU_DEP_2)
	v_add_co_ci_u32_e32 v1, vcc_lo, s51, v1, vcc_lo
	global_store_b64 v[0:1], v[22:23], off
	s_nop 0
	s_sendmsg sendmsg(MSG_DEALLOC_VGPRS)
	s_endpgm
	.section	.rodata,"a",@progbits
	.p2align	6, 0x0
	.amdhsa_kernel _ZL15flash_attn_tileILi64ELi64ELi16ELi2ELb0EEvPKcS1_S1_S1_S1_PKiPfP15HIP_vector_typeIfLj2EEffffjfiS5_IjLj3EEiiiiiiiiiiiliiliiiiil
		.amdhsa_group_segment_fixed_size 17408
		.amdhsa_private_segment_fixed_size 0
		.amdhsa_kernarg_size 464
		.amdhsa_user_sgpr_count 13
		.amdhsa_user_sgpr_dispatch_ptr 0
		.amdhsa_user_sgpr_queue_ptr 0
		.amdhsa_user_sgpr_kernarg_segment_ptr 1
		.amdhsa_user_sgpr_dispatch_id 0
		.amdhsa_user_sgpr_private_segment_size 0
		.amdhsa_wavefront_size32 1
		.amdhsa_uses_dynamic_stack 0
		.amdhsa_enable_private_segment 0
		.amdhsa_system_sgpr_workgroup_id_x 1
		.amdhsa_system_sgpr_workgroup_id_y 1
		.amdhsa_system_sgpr_workgroup_id_z 1
		.amdhsa_system_sgpr_workgroup_info 0
		.amdhsa_system_vgpr_workitem_id 1
		.amdhsa_next_free_vgpr 251
		.amdhsa_next_free_sgpr 52
		.amdhsa_reserve_vcc 1
		.amdhsa_float_round_mode_32 0
		.amdhsa_float_round_mode_16_64 0
		.amdhsa_float_denorm_mode_32 3
		.amdhsa_float_denorm_mode_16_64 3
		.amdhsa_dx10_clamp 1
		.amdhsa_ieee_mode 1
		.amdhsa_fp16_overflow 0
		.amdhsa_workgroup_processor_mode 1
		.amdhsa_memory_ordered 1
		.amdhsa_forward_progress 0
		.amdhsa_shared_vgpr_count 0
		.amdhsa_exception_fp_ieee_invalid_op 0
		.amdhsa_exception_fp_denorm_src 0
		.amdhsa_exception_fp_ieee_div_zero 0
		.amdhsa_exception_fp_ieee_overflow 0
		.amdhsa_exception_fp_ieee_underflow 0
		.amdhsa_exception_fp_ieee_inexact 0
		.amdhsa_exception_int_div_zero 0
	.end_amdhsa_kernel
	.section	.text._ZL15flash_attn_tileILi64ELi64ELi16ELi2ELb0EEvPKcS1_S1_S1_S1_PKiPfP15HIP_vector_typeIfLj2EEffffjfiS5_IjLj3EEiiiiiiiiiiiliiliiiiil,"axG",@progbits,_ZL15flash_attn_tileILi64ELi64ELi16ELi2ELb0EEvPKcS1_S1_S1_S1_PKiPfP15HIP_vector_typeIfLj2EEffffjfiS5_IjLj3EEiiiiiiiiiiiliiliiiiil,comdat
.Lfunc_end37:
	.size	_ZL15flash_attn_tileILi64ELi64ELi16ELi2ELb0EEvPKcS1_S1_S1_S1_PKiPfP15HIP_vector_typeIfLj2EEffffjfiS5_IjLj3EEiiiiiiiiiiiliiliiiiil, .Lfunc_end37-_ZL15flash_attn_tileILi64ELi64ELi16ELi2ELb0EEvPKcS1_S1_S1_S1_PKiPfP15HIP_vector_typeIfLj2EEffffjfiS5_IjLj3EEiiiiiiiiiiiliiliiiiil
                                        ; -- End function
	.section	.AMDGPU.csdata,"",@progbits
; Kernel info:
; codeLenInByte = 28636
; NumSgprs: 54
; NumVgprs: 251
; ScratchSize: 0
; MemoryBound: 0
; FloatMode: 240
; IeeeMode: 1
; LDSByteSize: 17408 bytes/workgroup (compile time only)
; SGPRBlocks: 6
; VGPRBlocks: 31
; NumSGPRsForWavesPerEU: 54
; NumVGPRsForWavesPerEU: 251
; Occupancy: 5
; WaveLimiterHint : 1
; COMPUTE_PGM_RSRC2:SCRATCH_EN: 0
; COMPUTE_PGM_RSRC2:USER_SGPR: 13
; COMPUTE_PGM_RSRC2:TRAP_HANDLER: 0
; COMPUTE_PGM_RSRC2:TGID_X_EN: 1
; COMPUTE_PGM_RSRC2:TGID_Y_EN: 1
; COMPUTE_PGM_RSRC2:TGID_Z_EN: 1
; COMPUTE_PGM_RSRC2:TIDIG_COMP_CNT: 1
	.section	.text._ZL33flash_attn_stream_k_fixup_uniformILi64ELi16ELi2EEvPfPK15HIP_vector_typeIfLj2EEiiiiiiS1_IjLj3EES5_S5_,"axG",@progbits,_ZL33flash_attn_stream_k_fixup_uniformILi64ELi16ELi2EEvPfPK15HIP_vector_typeIfLj2EEiiiiiiS1_IjLj3EES5_S5_,comdat
	.globl	_ZL33flash_attn_stream_k_fixup_uniformILi64ELi16ELi2EEvPfPK15HIP_vector_typeIfLj2EEiiiiiiS1_IjLj3EES5_S5_ ; -- Begin function _ZL33flash_attn_stream_k_fixup_uniformILi64ELi16ELi2EEvPfPK15HIP_vector_typeIfLj2EEiiiiiiS1_IjLj3EES5_S5_
	.p2align	8
	.type	_ZL33flash_attn_stream_k_fixup_uniformILi64ELi16ELi2EEvPfPK15HIP_vector_typeIfLj2EEiiiiiiS1_IjLj3EES5_S5_,@function
_ZL33flash_attn_stream_k_fixup_uniformILi64ELi16ELi2EEvPfPK15HIP_vector_typeIfLj2EEiiiiiiS1_IjLj3EES5_S5_: ; @_ZL33flash_attn_stream_k_fixup_uniformILi64ELi16ELi2EEvPfPK15HIP_vector_typeIfLj2EEiiiiiiS1_IjLj3EES5_S5_
; %bb.0:
	s_clause 0x1
	s_load_b256 s[4:11], s[0:1], 0x1c
	s_load_b128 s[16:19], s[0:1], 0x3c
	s_waitcnt lgkmcnt(0)
	s_mul_hi_u32 s2, s7, s13
	s_delay_alu instid0(SALU_CYCLE_1) | instskip(NEXT) | instid1(SALU_CYCLE_1)
	s_add_i32 s2, s13, s2
	s_lshr_b32 s2, s2, s8
	s_delay_alu instid0(SALU_CYCLE_1) | instskip(SKIP_2) | instid1(SALU_CYCLE_1)
	s_mul_i32 s3, s2, s9
	s_load_b64 s[8:9], s[0:1], 0x10
	s_sub_i32 s7, s13, s3
	s_mul_hi_u32 s3, s7, s10
	s_delay_alu instid0(SALU_CYCLE_1) | instskip(NEXT) | instid1(SALU_CYCLE_1)
	s_add_i32 s3, s7, s3
	s_lshr_b32 s3, s3, s11
	s_delay_alu instid0(SALU_CYCLE_1) | instskip(NEXT) | instid1(SALU_CYCLE_1)
	s_mul_i32 s10, s3, s16
	s_sub_i32 s7, s7, s10
	s_delay_alu instid0(SALU_CYCLE_1) | instskip(NEXT) | instid1(SALU_CYCLE_1)
	s_mul_hi_u32 s10, s7, s17
	s_add_i32 s10, s7, s10
	s_delay_alu instid0(SALU_CYCLE_1) | instskip(NEXT) | instid1(SALU_CYCLE_1)
	s_lshr_b32 s10, s10, s18
	s_mul_i32 s11, s10, s19
	s_lshl_b32 s10, s10, 1
	s_sub_i32 s7, s7, s11
	s_delay_alu instid0(SALU_CYCLE_1) | instskip(NEXT) | instid1(SALU_CYCLE_1)
	s_lshl_b32 s11, s7, 4
	s_add_i32 s11, s11, s14
	s_waitcnt lgkmcnt(0)
	s_cmp_lt_i32 s11, s8
	s_cselect_b32 s11, -1, 0
	s_add_i32 s12, s10, s15
	s_delay_alu instid0(SALU_CYCLE_1) | instskip(SKIP_1) | instid1(SALU_CYCLE_1)
	s_cmp_lt_i32 s12, s5
	s_cselect_b32 s12, -1, 0
	s_and_b32 s11, s11, s12
	s_delay_alu instid0(SALU_CYCLE_1)
	s_and_not1_b32 vcc_lo, exec_lo, s11
	s_cbranch_vccnz .LBB38_6
; %bb.1:
	s_mul_i32 s2, s2, s8
	s_mul_i32 s5, s3, s5
	s_add_i32 s2, s2, s14
	s_mul_i32 s7, s9, s7
	s_mul_i32 s2, s2, s9
	s_lshl_b32 s7, s7, 10
	s_add_i32 s8, s2, s15
	s_load_b128 s[0:3], s[0:1], 0x0
	s_add_i32 s5, s8, s5
	s_lshl_b32 s9, s14, 1
	s_add_i32 s5, s5, s10
	s_delay_alu instid0(SALU_CYCLE_1) | instskip(NEXT) | instid1(SALU_CYCLE_1)
	s_lshl_b32 s5, s5, 6
	s_add_i32 s7, s7, s5
	s_mul_i32 s5, s13, s6
	v_or_b32_e32 v1, s7, v0
	s_add_i32 s10, s5, s6
	s_delay_alu instid0(VALU_DEP_1) | instskip(NEXT) | instid1(VALU_DEP_1)
	v_ashrrev_i32_e32 v2, 31, v1
	v_lshlrev_b64 v[1:2], 2, v[1:2]
	s_waitcnt lgkmcnt(0)
	s_delay_alu instid0(VALU_DEP_1) | instskip(NEXT) | instid1(VALU_DEP_2)
	v_add_co_u32 v1, vcc_lo, s0, v1
	v_add_co_ci_u32_e32 v2, vcc_lo, s1, v2, vcc_lo
	s_add_i32 s0, s9, s15
	s_lshl_b32 s1, s10, 5
	s_delay_alu instid0(SALU_CYCLE_1) | instskip(SKIP_2) | instid1(SALU_CYCLE_1)
	s_add_i32 s0, s0, s1
	global_load_b32 v5, v[1:2], off
	s_sub_i32 s0, s0, 32
	s_ashr_i32 s1, s0, 31
	s_delay_alu instid0(SALU_CYCLE_1) | instskip(NEXT) | instid1(SALU_CYCLE_1)
	s_lshl_b64 s[0:1], s[0:1], 3
	s_add_u32 s0, s2, s0
	s_addc_u32 s1, s3, s1
	s_add_i32 s7, s10, -2
	s_load_b32 s11, s[0:1], 0x4
	s_cmp_lt_i32 s7, s5
	s_cbranch_scc1 .LBB38_4
; %bb.2:
	s_lshl_b32 s16, s4, 7
	s_load_b32 s12, s[0:1], 0x0
	s_ashr_i32 s17, s16, 31
	s_delay_alu instid0(SALU_CYCLE_1) | instskip(NEXT) | instid1(SALU_CYCLE_1)
	s_lshl_b64 s[0:1], s[16:17], 2
	s_add_u32 s7, s2, s0
	s_addc_u32 s8, s3, s1
	s_add_i32 s13, s13, 1
	s_lshl_b32 s0, s14, 7
	s_lshl_b32 s1, s15, 6
	s_mul_i32 s6, s6, s13
	s_add_i32 s0, s1, s0
	s_lshl_b32 s1, s6, 11
	s_delay_alu instid0(SALU_CYCLE_1)
	s_add_i32 s0, s0, s1
	s_lshl_b32 s1, s6, 5
	v_or_b32_e32 v0, s0, v0
	s_lshl_b32 s0, s4, 5
	s_add_i32 s1, s15, s1
	s_waitcnt lgkmcnt(0)
	v_mov_b32_e32 v6, s11
	s_add_i32 s0, s1, s0
	v_dual_mov_b32 v0, s12 :: v_dual_add_nc_u32 v3, 0xfffff000, v0
	s_add_i32 s0, s0, s9
	s_add_i32 s4, s10, -1
	s_sub_i32 s0, s0, 64
.LBB38_3:                               ; =>This Inner Loop Header: Depth=1
	s_delay_alu instid0(VALU_DEP_1) | instskip(SKIP_1) | instid1(SALU_CYCLE_1)
	v_ashrrev_i32_e32 v4, 31, v3
	s_ashr_i32 s1, s0, 31
	s_lshl_b64 s[10:11], s[0:1], 3
	s_delay_alu instid0(SALU_CYCLE_1) | instskip(NEXT) | instid1(VALU_DEP_1)
	s_add_u32 s10, s2, s10
	v_lshlrev_b64 v[7:8], 2, v[3:4]
	s_addc_u32 s11, s3, s11
	s_add_i32 s4, s4, -1
	s_sub_i32 s0, s0, 32
	s_cmp_le_i32 s4, s5
	s_load_b64 s[10:11], s[10:11], 0x0
	v_add_co_u32 v7, vcc_lo, s7, v7
	v_add_co_ci_u32_e32 v8, vcc_lo, s8, v8, vcc_lo
	global_load_b32 v4, v[7:8], off
	v_max_f32_e32 v7, v0, v0
	s_waitcnt lgkmcnt(0)
	v_max_f32_e64 v8, s10, s10
	s_delay_alu instid0(VALU_DEP_1) | instskip(NEXT) | instid1(VALU_DEP_1)
	v_max_f32_e32 v7, v7, v8
	v_sub_f32_e32 v8, s10, v7
	s_delay_alu instid0(VALU_DEP_1) | instskip(NEXT) | instid1(VALU_DEP_1)
	v_dual_sub_f32 v0, v0, v7 :: v_dual_mul_f32 v9, 0x3fb8aa3b, v8
	v_fma_f32 v10, 0x3fb8aa3b, v8, -v9
	v_rndne_f32_e32 v11, v9
	s_delay_alu instid0(VALU_DEP_3) | instskip(NEXT) | instid1(VALU_DEP_2)
	v_mul_f32_e32 v12, 0x3fb8aa3b, v0
	v_dual_fmac_f32 v10, 0x32a5705f, v8 :: v_dual_sub_f32 v9, v9, v11
	v_cvt_i32_f32_e32 v11, v11
	s_delay_alu instid0(VALU_DEP_3) | instskip(SKIP_1) | instid1(VALU_DEP_4)
	v_fma_f32 v13, 0x3fb8aa3b, v0, -v12
	v_rndne_f32_e32 v14, v12
	v_add_f32_e32 v9, v9, v10
	v_cmp_ngt_f32_e32 vcc_lo, 0xc2ce8ed0, v8
	s_delay_alu instid0(VALU_DEP_3) | instskip(NEXT) | instid1(VALU_DEP_3)
	v_sub_f32_e32 v10, v12, v14
	v_exp_f32_e32 v9, v9
	s_waitcnt_depctr 0xfff
	v_ldexp_f32 v9, v9, v11
	v_cvt_i32_f32_e32 v11, v14
	s_delay_alu instid0(VALU_DEP_2) | instskip(SKIP_1) | instid1(VALU_DEP_2)
	v_cndmask_b32_e32 v9, 0, v9, vcc_lo
	v_cmp_nlt_f32_e32 vcc_lo, 0x42b17218, v8
	v_cndmask_b32_e32 v9, 0x7f800000, v9, vcc_lo
	v_cmp_ngt_f32_e32 vcc_lo, 0xc2ce8ed0, v0
	v_fmac_f32_e32 v13, 0x32a5705f, v0
	s_delay_alu instid0(VALU_DEP_1) | instskip(NEXT) | instid1(VALU_DEP_1)
	v_add_f32_e32 v10, v10, v13
	v_exp_f32_e32 v10, v10
	s_waitcnt_depctr 0xfff
	v_ldexp_f32 v10, v10, v11
	s_delay_alu instid0(VALU_DEP_1)
	v_dual_mov_b32 v11, v6 :: v_dual_cndmask_b32 v10, 0, v10
	v_cmp_le_f32_e32 vcc_lo, 0xc1a00000, v8
	s_waitcnt vmcnt(1)
	v_dual_cndmask_b32 v8, 0, v9 :: v_dual_mov_b32 v9, v5
	v_cmp_nlt_f32_e32 vcc_lo, 0x42b17218, v0
	v_cndmask_b32_e32 v5, 0x7f800000, v10, vcc_lo
	s_delay_alu instid0(VALU_DEP_3) | instskip(SKIP_2) | instid1(VALU_DEP_3)
	v_mul_f32_e32 v10, s11, v8
	v_cmp_le_f32_e32 vcc_lo, 0xc1a00000, v0
	v_mov_b32_e32 v0, v7
	v_mov_b32_e32 v6, v10
	s_waitcnt vmcnt(0)
	v_dual_cndmask_b32 v12, 0, v5 :: v_dual_mul_f32 v5, v4, v8
	s_delay_alu instid0(VALU_DEP_1) | instskip(NEXT) | instid1(VALU_DEP_2)
	v_dual_fmac_f32 v6, v11, v12 :: v_dual_add_nc_u32 v3, 0xfffff800, v3
	v_fmac_f32_e32 v5, v9, v12
	s_cbranch_scc0 .LBB38_3
	s_branch .LBB38_5
.LBB38_4:
	s_waitcnt lgkmcnt(0)
	v_mov_b32_e32 v6, s11
.LBB38_5:
	s_waitcnt vmcnt(0)
	s_delay_alu instid0(VALU_DEP_1) | instskip(NEXT) | instid1(VALU_DEP_1)
	v_div_scale_f32 v0, null, v6, v6, v5
	v_rcp_f32_e32 v3, v0
	s_waitcnt_depctr 0xfff
	v_fma_f32 v4, -v0, v3, 1.0
	s_delay_alu instid0(VALU_DEP_1) | instskip(SKIP_1) | instid1(VALU_DEP_1)
	v_fmac_f32_e32 v3, v4, v3
	v_div_scale_f32 v4, vcc_lo, v5, v6, v5
	v_mul_f32_e32 v7, v4, v3
	s_delay_alu instid0(VALU_DEP_1) | instskip(NEXT) | instid1(VALU_DEP_1)
	v_fma_f32 v8, -v0, v7, v4
	v_fmac_f32_e32 v7, v8, v3
	s_delay_alu instid0(VALU_DEP_1) | instskip(NEXT) | instid1(VALU_DEP_1)
	v_fma_f32 v0, -v0, v7, v4
	v_div_fmas_f32 v0, v0, v3, v7
	s_delay_alu instid0(VALU_DEP_1)
	v_div_fixup_f32 v0, v0, v6, v5
	global_store_b32 v[1:2], v0, off
.LBB38_6:
	s_nop 0
	s_sendmsg sendmsg(MSG_DEALLOC_VGPRS)
	s_endpgm
	.section	.rodata,"a",@progbits
	.p2align	6, 0x0
	.amdhsa_kernel _ZL33flash_attn_stream_k_fixup_uniformILi64ELi16ELi2EEvPfPK15HIP_vector_typeIfLj2EEiiiiiiS1_IjLj3EES5_S5_
		.amdhsa_group_segment_fixed_size 0
		.amdhsa_private_segment_fixed_size 0
		.amdhsa_kernarg_size 76
		.amdhsa_user_sgpr_count 13
		.amdhsa_user_sgpr_dispatch_ptr 0
		.amdhsa_user_sgpr_queue_ptr 0
		.amdhsa_user_sgpr_kernarg_segment_ptr 1
		.amdhsa_user_sgpr_dispatch_id 0
		.amdhsa_user_sgpr_private_segment_size 0
		.amdhsa_wavefront_size32 1
		.amdhsa_uses_dynamic_stack 0
		.amdhsa_enable_private_segment 0
		.amdhsa_system_sgpr_workgroup_id_x 1
		.amdhsa_system_sgpr_workgroup_id_y 1
		.amdhsa_system_sgpr_workgroup_id_z 1
		.amdhsa_system_sgpr_workgroup_info 0
		.amdhsa_system_vgpr_workitem_id 0
		.amdhsa_next_free_vgpr 15
		.amdhsa_next_free_sgpr 20
		.amdhsa_reserve_vcc 1
		.amdhsa_float_round_mode_32 0
		.amdhsa_float_round_mode_16_64 0
		.amdhsa_float_denorm_mode_32 3
		.amdhsa_float_denorm_mode_16_64 3
		.amdhsa_dx10_clamp 1
		.amdhsa_ieee_mode 1
		.amdhsa_fp16_overflow 0
		.amdhsa_workgroup_processor_mode 1
		.amdhsa_memory_ordered 1
		.amdhsa_forward_progress 0
		.amdhsa_shared_vgpr_count 0
		.amdhsa_exception_fp_ieee_invalid_op 0
		.amdhsa_exception_fp_denorm_src 0
		.amdhsa_exception_fp_ieee_div_zero 0
		.amdhsa_exception_fp_ieee_overflow 0
		.amdhsa_exception_fp_ieee_underflow 0
		.amdhsa_exception_fp_ieee_inexact 0
		.amdhsa_exception_int_div_zero 0
	.end_amdhsa_kernel
	.section	.text._ZL33flash_attn_stream_k_fixup_uniformILi64ELi16ELi2EEvPfPK15HIP_vector_typeIfLj2EEiiiiiiS1_IjLj3EES5_S5_,"axG",@progbits,_ZL33flash_attn_stream_k_fixup_uniformILi64ELi16ELi2EEvPfPK15HIP_vector_typeIfLj2EEiiiiiiS1_IjLj3EES5_S5_,comdat
.Lfunc_end38:
	.size	_ZL33flash_attn_stream_k_fixup_uniformILi64ELi16ELi2EEvPfPK15HIP_vector_typeIfLj2EEiiiiiiS1_IjLj3EES5_S5_, .Lfunc_end38-_ZL33flash_attn_stream_k_fixup_uniformILi64ELi16ELi2EEvPfPK15HIP_vector_typeIfLj2EEiiiiiiS1_IjLj3EES5_S5_
                                        ; -- End function
	.section	.AMDGPU.csdata,"",@progbits
; Kernel info:
; codeLenInByte = 996
; NumSgprs: 22
; NumVgprs: 15
; ScratchSize: 0
; MemoryBound: 0
; FloatMode: 240
; IeeeMode: 1
; LDSByteSize: 0 bytes/workgroup (compile time only)
; SGPRBlocks: 2
; VGPRBlocks: 1
; NumSGPRsForWavesPerEU: 22
; NumVGPRsForWavesPerEU: 15
; Occupancy: 16
; WaveLimiterHint : 0
; COMPUTE_PGM_RSRC2:SCRATCH_EN: 0
; COMPUTE_PGM_RSRC2:USER_SGPR: 13
; COMPUTE_PGM_RSRC2:TRAP_HANDLER: 0
; COMPUTE_PGM_RSRC2:TGID_X_EN: 1
; COMPUTE_PGM_RSRC2:TGID_Y_EN: 1
; COMPUTE_PGM_RSRC2:TGID_Z_EN: 1
; COMPUTE_PGM_RSRC2:TIDIG_COMP_CNT: 0
	.section	.text._ZL33flash_attn_stream_k_fixup_generalILi64ELi16ELi2EEvPfPK15HIP_vector_typeIfLj2EEiiiiS1_IjLj3EES5_S5_S5_,"axG",@progbits,_ZL33flash_attn_stream_k_fixup_generalILi64ELi16ELi2EEvPfPK15HIP_vector_typeIfLj2EEiiiiS1_IjLj3EES5_S5_S5_,comdat
	.globl	_ZL33flash_attn_stream_k_fixup_generalILi64ELi16ELi2EEvPfPK15HIP_vector_typeIfLj2EEiiiiS1_IjLj3EES5_S5_S5_ ; -- Begin function _ZL33flash_attn_stream_k_fixup_generalILi64ELi16ELi2EEvPfPK15HIP_vector_typeIfLj2EEiiiiS1_IjLj3EES5_S5_S5_
	.p2align	8
	.type	_ZL33flash_attn_stream_k_fixup_generalILi64ELi16ELi2EEvPfPK15HIP_vector_typeIfLj2EEiiiiS1_IjLj3EES5_S5_S5_,@function
_ZL33flash_attn_stream_k_fixup_generalILi64ELi16ELi2EEvPfPK15HIP_vector_typeIfLj2EEiiiiS1_IjLj3EES5_S5_S5_: ; @_ZL33flash_attn_stream_k_fixup_generalILi64ELi16ELi2EEvPfPK15HIP_vector_typeIfLj2EEiiiiS1_IjLj3EES5_S5_S5_
; %bb.0:
	s_clause 0x1
	s_load_b128 s[4:7], s[0:1], 0x10
	s_load_b32 s20, s[0:1], 0x50
	s_mov_b32 s2, 0
	s_waitcnt lgkmcnt(0)
	s_mul_hi_i32 s3, s7, s13
	s_mul_i32 s12, s7, s13
	s_cmp_lg_u64 s[2:3], 0
	s_cbranch_scc0 .LBB39_21
; %bb.1:
	v_cvt_f32_ubyte0_e32 v1, 0
	v_cvt_f32_u32_e32 v2, s20
	s_sub_u32 s10, 0, s20
	s_subb_u32 s11, 0, 0
	s_delay_alu instid0(VALU_DEP_1) | instskip(NEXT) | instid1(VALU_DEP_1)
	v_fmamk_f32 v1, v1, 0x4f800000, v2
	v_rcp_f32_e32 v1, v1
	s_waitcnt_depctr 0xfff
	v_mul_f32_e32 v1, 0x5f7ffffc, v1
	s_delay_alu instid0(VALU_DEP_1) | instskip(NEXT) | instid1(VALU_DEP_1)
	v_mul_f32_e32 v2, 0x2f800000, v1
	v_trunc_f32_e32 v2, v2
	s_delay_alu instid0(VALU_DEP_1) | instskip(SKIP_1) | instid1(VALU_DEP_2)
	v_fmamk_f32 v1, v2, 0xcf800000, v1
	v_cvt_u32_f32_e32 v2, v2
	v_cvt_u32_f32_e32 v1, v1
	s_delay_alu instid0(VALU_DEP_2) | instskip(NEXT) | instid1(VALU_DEP_2)
	v_readfirstlane_b32 s8, v2
	v_readfirstlane_b32 s9, v1
	s_delay_alu instid0(VALU_DEP_2) | instskip(NEXT) | instid1(VALU_DEP_1)
	s_mul_i32 s16, s10, s8
	s_mul_hi_u32 s18, s10, s9
	s_mul_i32 s17, s11, s9
	s_add_i32 s16, s18, s16
	s_mul_i32 s19, s10, s9
	s_add_i32 s16, s16, s17
	s_mul_hi_u32 s18, s9, s19
	s_mul_hi_u32 s21, s8, s19
	s_mul_i32 s17, s8, s19
	s_mul_hi_u32 s19, s9, s16
	s_mul_i32 s9, s9, s16
	s_mul_hi_u32 s22, s8, s16
	s_add_u32 s9, s18, s9
	s_addc_u32 s18, 0, s19
	s_add_u32 s9, s9, s17
	s_mul_i32 s16, s8, s16
	s_addc_u32 s9, s18, s21
	s_addc_u32 s17, s22, 0
	s_add_u32 s9, s9, s16
	s_addc_u32 s16, 0, s17
	v_add_co_u32 v1, s9, v1, s9
	s_delay_alu instid0(VALU_DEP_1) | instskip(SKIP_1) | instid1(VALU_DEP_1)
	s_cmp_lg_u32 s9, 0
	s_addc_u32 s8, s8, s16
	v_readfirstlane_b32 s9, v1
	s_mul_i32 s16, s10, s8
	s_delay_alu instid0(VALU_DEP_1)
	s_mul_hi_u32 s17, s10, s9
	s_mul_i32 s11, s11, s9
	s_add_i32 s16, s17, s16
	s_mul_i32 s10, s10, s9
	s_add_i32 s16, s16, s11
	s_mul_hi_u32 s17, s8, s10
	s_mul_i32 s18, s8, s10
	s_mul_hi_u32 s10, s9, s10
	s_mul_hi_u32 s19, s9, s16
	s_mul_i32 s9, s9, s16
	s_mul_hi_u32 s11, s8, s16
	s_add_u32 s9, s10, s9
	s_addc_u32 s10, 0, s19
	s_add_u32 s9, s9, s18
	s_mul_i32 s16, s8, s16
	s_addc_u32 s9, s10, s17
	s_addc_u32 s10, s11, 0
	s_add_u32 s9, s9, s16
	s_addc_u32 s10, 0, s10
	v_add_co_u32 v1, s9, v1, s9
	s_delay_alu instid0(VALU_DEP_1) | instskip(SKIP_2) | instid1(SALU_CYCLE_1)
	s_cmp_lg_u32 s9, 0
	s_addc_u32 s16, s8, s10
	s_ashr_i32 s8, s3, 31
	s_add_u32 s10, s12, s8
	s_addc_u32 s11, s3, s8
	v_readfirstlane_b32 s3, v1
	s_mov_b32 s9, s8
	s_delay_alu instid0(SALU_CYCLE_1) | instskip(NEXT) | instid1(SALU_CYCLE_1)
	s_xor_b64 s[10:11], s[10:11], s[8:9]
	s_mul_i32 s18, s10, s16
	s_delay_alu instid0(VALU_DEP_1)
	s_mul_hi_u32 s19, s10, s3
	s_mul_hi_u32 s17, s10, s16
	;; [unrolled: 1-line block ×3, first 2 shown]
	s_mul_i32 s3, s11, s3
	s_add_u32 s18, s19, s18
	s_addc_u32 s17, 0, s17
	s_mul_hi_u32 s21, s11, s16
	s_add_u32 s3, s18, s3
	s_mul_i32 s16, s11, s16
	s_addc_u32 s3, s17, s22
	s_addc_u32 s17, s21, 0
	s_add_u32 s3, s3, s16
	s_addc_u32 s16, 0, s17
	s_mul_i32 s18, s20, s3
	s_add_u32 s17, s3, 1
	v_sub_co_u32 v1, s10, s10, s18
	s_mul_hi_u32 s18, s20, s3
	s_addc_u32 s19, s16, 0
	s_mul_i32 s21, s20, s16
	s_delay_alu instid0(VALU_DEP_1)
	v_sub_co_u32 v2, s22, v1, s20
	s_add_u32 s23, s3, 2
	s_addc_u32 s24, s16, 0
	s_add_i32 s18, s18, s21
	s_cmp_lg_u32 s10, 0
	v_readfirstlane_b32 s10, v2
	s_subb_u32 s11, s11, s18
	s_cmp_lg_u32 s22, 0
	s_subb_u32 s18, s11, 0
	s_delay_alu instid0(VALU_DEP_1) | instskip(SKIP_4) | instid1(SALU_CYCLE_1)
	s_cmp_ge_u32 s10, s20
	s_cselect_b32 s10, -1, 0
	s_cmp_eq_u32 s18, 0
	v_readfirstlane_b32 s18, v1
	s_cselect_b32 s10, s10, -1
	s_cmp_lg_u32 s10, 0
	s_cselect_b32 s10, s23, s17
	s_cselect_b32 s17, s24, s19
	s_cmp_ge_u32 s18, s20
	s_cselect_b32 s18, -1, 0
	s_cmp_eq_u32 s11, 0
	s_cselect_b32 s11, s18, -1
	s_delay_alu instid0(SALU_CYCLE_1) | instskip(SKIP_2) | instid1(SALU_CYCLE_1)
	s_cmp_lg_u32 s11, 0
	s_cselect_b32 s11, s17, s16
	s_cselect_b32 s10, s10, s3
	s_xor_b64 s[10:11], s[10:11], s[8:9]
	s_delay_alu instid0(SALU_CYCLE_1)
	s_sub_u32 s16, s10, s8
	s_load_b128 s[8:11], s[0:1], 0x44
	s_and_not1_b32 vcc_lo, exec_lo, s2
	s_cbranch_vccnz .LBB39_3
.LBB39_2:
	v_cvt_f32_u32_e32 v1, s20
	s_sub_i32 s3, 0, s20
	s_delay_alu instid0(VALU_DEP_1) | instskip(SKIP_2) | instid1(VALU_DEP_1)
	v_rcp_iflag_f32_e32 v1, v1
	s_waitcnt_depctr 0xfff
	v_mul_f32_e32 v1, 0x4f7ffffe, v1
	v_cvt_u32_f32_e32 v1, v1
	s_delay_alu instid0(VALU_DEP_1) | instskip(NEXT) | instid1(VALU_DEP_1)
	v_readfirstlane_b32 s2, v1
	s_mul_i32 s3, s3, s2
	s_delay_alu instid0(SALU_CYCLE_1) | instskip(NEXT) | instid1(SALU_CYCLE_1)
	s_mul_hi_u32 s3, s2, s3
	s_add_i32 s2, s2, s3
	s_delay_alu instid0(SALU_CYCLE_1) | instskip(NEXT) | instid1(SALU_CYCLE_1)
	s_mul_hi_u32 s2, s12, s2
	s_mul_i32 s3, s2, s20
	s_waitcnt lgkmcnt(0)
	s_add_i32 s11, s2, 1
	s_sub_i32 s3, s12, s3
	s_delay_alu instid0(SALU_CYCLE_1)
	s_sub_i32 s12, s3, s20
	s_cmp_ge_u32 s3, s20
	s_cselect_b32 s2, s11, s2
	s_cselect_b32 s3, s12, s3
	s_add_i32 s11, s2, 1
	s_cmp_ge_u32 s3, s20
	s_cselect_b32 s16, s11, s2
.LBB39_3:
	s_waitcnt lgkmcnt(0)
	s_add_i32 s11, s13, 1
	s_mov_b32 s2, 0
	s_mul_hi_i32 s3, s7, s11
	s_mul_i32 s11, s7, s11
	s_cmp_lg_u64 s[2:3], 0
	s_cbranch_scc0 .LBB39_22
; %bb.4:
	v_cvt_f32_ubyte0_e32 v1, 0
	v_cvt_f32_u32_e32 v2, s20
	s_sub_u32 s18, 0, s20
	s_subb_u32 s19, 0, 0
	s_delay_alu instid0(VALU_DEP_1) | instskip(NEXT) | instid1(VALU_DEP_1)
	v_fmamk_f32 v1, v1, 0x4f800000, v2
	v_rcp_f32_e32 v1, v1
	s_waitcnt_depctr 0xfff
	v_mul_f32_e32 v1, 0x5f7ffffc, v1
	s_delay_alu instid0(VALU_DEP_1) | instskip(NEXT) | instid1(VALU_DEP_1)
	v_mul_f32_e32 v2, 0x2f800000, v1
	v_trunc_f32_e32 v2, v2
	s_delay_alu instid0(VALU_DEP_1) | instskip(SKIP_1) | instid1(VALU_DEP_2)
	v_fmamk_f32 v1, v2, 0xcf800000, v1
	v_cvt_u32_f32_e32 v2, v2
	v_cvt_u32_f32_e32 v1, v1
	s_delay_alu instid0(VALU_DEP_2) | instskip(NEXT) | instid1(VALU_DEP_2)
	v_readfirstlane_b32 s12, v2
	v_readfirstlane_b32 s17, v1
	s_delay_alu instid0(VALU_DEP_2) | instskip(NEXT) | instid1(VALU_DEP_1)
	s_mul_i32 s21, s18, s12
	s_mul_hi_u32 s23, s18, s17
	s_mul_i32 s22, s19, s17
	s_add_i32 s21, s23, s21
	s_mul_i32 s24, s18, s17
	s_add_i32 s21, s21, s22
	s_mul_hi_u32 s23, s17, s24
	s_mul_hi_u32 s25, s12, s24
	s_mul_i32 s22, s12, s24
	s_mul_hi_u32 s24, s17, s21
	s_mul_i32 s17, s17, s21
	s_mul_hi_u32 s26, s12, s21
	s_add_u32 s17, s23, s17
	s_addc_u32 s23, 0, s24
	s_add_u32 s17, s17, s22
	s_mul_i32 s21, s12, s21
	s_addc_u32 s17, s23, s25
	s_addc_u32 s22, s26, 0
	s_add_u32 s17, s17, s21
	s_addc_u32 s21, 0, s22
	v_add_co_u32 v1, s17, v1, s17
	s_delay_alu instid0(VALU_DEP_1) | instskip(SKIP_1) | instid1(VALU_DEP_1)
	s_cmp_lg_u32 s17, 0
	s_addc_u32 s12, s12, s21
	v_readfirstlane_b32 s17, v1
	s_mul_i32 s21, s18, s12
	s_delay_alu instid0(VALU_DEP_1)
	s_mul_hi_u32 s22, s18, s17
	s_mul_i32 s19, s19, s17
	s_add_i32 s21, s22, s21
	s_mul_i32 s18, s18, s17
	s_add_i32 s21, s21, s19
	s_mul_hi_u32 s22, s12, s18
	s_mul_i32 s23, s12, s18
	s_mul_hi_u32 s18, s17, s18
	s_mul_hi_u32 s24, s17, s21
	s_mul_i32 s17, s17, s21
	s_mul_hi_u32 s19, s12, s21
	s_add_u32 s17, s18, s17
	s_addc_u32 s18, 0, s24
	s_add_u32 s17, s17, s23
	s_mul_i32 s21, s12, s21
	s_addc_u32 s17, s18, s22
	s_addc_u32 s18, s19, 0
	s_add_u32 s17, s17, s21
	s_addc_u32 s18, 0, s18
	v_add_co_u32 v1, s17, v1, s17
	s_delay_alu instid0(VALU_DEP_1) | instskip(SKIP_2) | instid1(SALU_CYCLE_1)
	s_cmp_lg_u32 s17, 0
	s_addc_u32 s12, s12, s18
	s_ashr_i32 s18, s3, 31
	s_add_u32 s22, s11, s18
	s_addc_u32 s23, s3, s18
	v_readfirstlane_b32 s3, v1
	s_mov_b32 s19, s18
	s_delay_alu instid0(SALU_CYCLE_1) | instskip(NEXT) | instid1(SALU_CYCLE_1)
	s_xor_b64 s[22:23], s[22:23], s[18:19]
	s_mul_i32 s21, s22, s12
	s_delay_alu instid0(VALU_DEP_1)
	s_mul_hi_u32 s24, s22, s3
	s_mul_hi_u32 s17, s22, s12
	;; [unrolled: 1-line block ×3, first 2 shown]
	s_mul_i32 s3, s23, s3
	s_add_u32 s21, s24, s21
	s_addc_u32 s17, 0, s17
	s_mul_hi_u32 s25, s23, s12
	s_add_u32 s3, s21, s3
	s_mul_i32 s12, s23, s12
	s_addc_u32 s3, s17, s26
	s_addc_u32 s17, s25, 0
	s_add_u32 s3, s3, s12
	s_addc_u32 s12, 0, s17
	s_mul_i32 s21, s20, s3
	s_add_u32 s17, s3, 1
	v_sub_co_u32 v1, s21, s22, s21
	s_mul_hi_u32 s22, s20, s3
	s_addc_u32 s24, s12, 0
	s_mul_i32 s25, s20, s12
	s_delay_alu instid0(VALU_DEP_1)
	v_sub_co_u32 v2, s26, v1, s20
	s_add_u32 s27, s3, 2
	s_addc_u32 s28, s12, 0
	s_add_i32 s22, s22, s25
	s_cmp_lg_u32 s21, 0
	v_readfirstlane_b32 s21, v2
	s_subb_u32 s22, s23, s22
	s_cmp_lg_u32 s26, 0
	s_subb_u32 s23, s22, 0
	s_delay_alu instid0(VALU_DEP_1) | instskip(SKIP_4) | instid1(SALU_CYCLE_1)
	s_cmp_ge_u32 s21, s20
	s_cselect_b32 s21, -1, 0
	s_cmp_eq_u32 s23, 0
	v_readfirstlane_b32 s23, v1
	s_cselect_b32 s21, s21, -1
	s_cmp_lg_u32 s21, 0
	s_cselect_b32 s17, s27, s17
	s_cselect_b32 s21, s28, s24
	s_cmp_ge_u32 s23, s20
	s_cselect_b32 s23, -1, 0
	s_cmp_eq_u32 s22, 0
	s_cselect_b32 s22, s23, -1
	s_delay_alu instid0(SALU_CYCLE_1) | instskip(SKIP_2) | instid1(SALU_CYCLE_1)
	s_cmp_lg_u32 s22, 0
	s_cselect_b32 s23, s21, s12
	s_cselect_b32 s22, s17, s3
	s_xor_b64 s[22:23], s[22:23], s[18:19]
	s_delay_alu instid0(SALU_CYCLE_1)
	s_sub_u32 s18, s22, s18
	s_and_not1_b32 vcc_lo, exec_lo, s2
	s_cbranch_vccnz .LBB39_6
.LBB39_5:
	v_cvt_f32_u32_e32 v1, s20
	s_sub_i32 s3, 0, s20
	s_delay_alu instid0(VALU_DEP_1) | instskip(SKIP_2) | instid1(VALU_DEP_1)
	v_rcp_iflag_f32_e32 v1, v1
	s_waitcnt_depctr 0xfff
	v_mul_f32_e32 v1, 0x4f7ffffe, v1
	v_cvt_u32_f32_e32 v1, v1
	s_delay_alu instid0(VALU_DEP_1) | instskip(NEXT) | instid1(VALU_DEP_1)
	v_readfirstlane_b32 s2, v1
	s_mul_i32 s3, s3, s2
	s_delay_alu instid0(SALU_CYCLE_1) | instskip(NEXT) | instid1(SALU_CYCLE_1)
	s_mul_hi_u32 s3, s2, s3
	s_add_i32 s2, s2, s3
	s_delay_alu instid0(SALU_CYCLE_1) | instskip(NEXT) | instid1(SALU_CYCLE_1)
	s_mul_hi_u32 s2, s11, s2
	s_mul_i32 s3, s2, s20
	s_delay_alu instid0(SALU_CYCLE_1)
	s_sub_i32 s3, s11, s3
	s_add_i32 s11, s2, 1
	s_sub_i32 s12, s3, s20
	s_cmp_ge_u32 s3, s20
	s_cselect_b32 s2, s11, s2
	s_cselect_b32 s3, s12, s3
	s_add_i32 s11, s2, 1
	s_cmp_ge_u32 s3, s20
	s_cselect_b32 s18, s11, s2
.LBB39_6:
	s_delay_alu instid0(SALU_CYCLE_1) | instskip(SKIP_3) | instid1(SALU_CYCLE_1)
	s_cmp_eq_u32 s16, s18
	s_mul_hi_u32 s2, s16, s8
	s_cselect_b32 s3, -1, 0
	s_add_i32 s2, s2, s16
	s_lshr_b32 s11, s2, s9
	s_delay_alu instid0(SALU_CYCLE_1) | instskip(NEXT) | instid1(SALU_CYCLE_1)
	s_mul_i32 s2, s11, s10
	s_cmp_eq_u32 s2, s16
	s_mul_hi_u32 s2, s18, s8
	s_cselect_b32 s12, -1, 0
	s_add_i32 s2, s2, s18
	s_delay_alu instid0(SALU_CYCLE_1) | instskip(NEXT) | instid1(SALU_CYCLE_1)
	s_lshr_b32 s2, s2, s9
	s_cmp_eq_u32 s11, s2
	s_mul_i32 s2, s2, s10
	s_cselect_b32 s17, -1, 0
	s_cmp_lg_u32 s2, s18
	s_cselect_b32 s2, -1, 0
	s_or_b32 s3, s3, s12
	s_and_b32 s2, s17, s2
	s_delay_alu instid0(SALU_CYCLE_1) | instskip(NEXT) | instid1(SALU_CYCLE_1)
	s_or_b32 s2, s3, s2
	s_and_b32 vcc_lo, exec_lo, s2
	s_cbranch_vccnz .LBB39_24
; %bb.7:
	s_load_b256 s[24:31], s[0:1], 0x20
	s_waitcnt lgkmcnt(0)
	s_mul_hi_u32 s2, s16, s24
	s_delay_alu instid0(SALU_CYCLE_1) | instskip(NEXT) | instid1(SALU_CYCLE_1)
	s_add_i32 s2, s2, s16
	s_lshr_b32 s17, s2, s25
	s_load_b32 s2, s[0:1], 0x40
	s_mul_i32 s3, s17, s26
	s_delay_alu instid0(SALU_CYCLE_1) | instskip(NEXT) | instid1(SALU_CYCLE_1)
	s_sub_i32 s3, s16, s3
	s_mul_hi_u32 s12, s3, s27
	s_delay_alu instid0(SALU_CYCLE_1) | instskip(NEXT) | instid1(SALU_CYCLE_1)
	s_add_i32 s12, s3, s12
	s_lshr_b32 s21, s12, s28
	s_delay_alu instid0(SALU_CYCLE_1) | instskip(NEXT) | instid1(SALU_CYCLE_1)
	s_mul_i32 s12, s21, s29
	s_sub_i32 s3, s3, s12
	s_delay_alu instid0(SALU_CYCLE_1) | instskip(NEXT) | instid1(SALU_CYCLE_1)
	s_mul_hi_u32 s12, s3, s30
	s_add_i32 s12, s3, s12
	s_delay_alu instid0(SALU_CYCLE_1)
	s_lshr_b32 s12, s12, s31
	s_waitcnt lgkmcnt(0)
	s_mul_i32 s2, s12, s2
	s_lshl_b32 s23, s12, 1
	s_sub_i32 s2, s3, s2
	s_mov_b32 s12, 0
	s_mul_hi_u32 s3, s2, s8
	s_delay_alu instid0(SALU_CYCLE_1) | instskip(NEXT) | instid1(SALU_CYCLE_1)
	s_add_i32 s2, s2, s3
	s_lshr_b32 s22, s2, s9
	s_delay_alu instid0(SALU_CYCLE_1) | instskip(NEXT) | instid1(SALU_CYCLE_1)
	s_lshl_b32 s2, s22, 4
	s_add_i32 s2, s2, s14
	s_delay_alu instid0(SALU_CYCLE_1) | instskip(SKIP_2) | instid1(SALU_CYCLE_1)
	s_cmp_lt_i32 s2, s4
	s_cselect_b32 s2, -1, 0
	s_add_i32 s3, s23, s15
	s_cmp_lt_i32 s3, s6
	s_cselect_b32 s3, -1, 0
	s_delay_alu instid0(SALU_CYCLE_1) | instskip(NEXT) | instid1(SALU_CYCLE_1)
	s_and_b32 s2, s2, s3
	s_and_not1_b32 vcc_lo, exec_lo, s2
	s_cbranch_vccnz .LBB39_24
; %bb.8:
	s_load_b128 s[0:3], s[0:1], 0x0
	s_lshl_b32 s18, s20, 7
	s_mov_b32 s19, s12
	s_lshl_b32 s24, s14, 1
	s_lshl_b64 s[18:19], s[18:19], 2
	s_mul_i32 s4, s17, s4
	s_add_i32 s17, s24, s15
	s_mul_i32 s21, s21, s6
	v_cvt_f32_ubyte0_e32 v4, 0
	v_cvt_f32_u32_e32 v5, s20
	s_waitcnt lgkmcnt(0)
	s_add_u32 s18, s2, s18
	s_addc_u32 s19, s3, s19
	s_add_i32 s4, s4, s14
	s_delay_alu instid0(SALU_CYCLE_1) | instskip(SKIP_4) | instid1(SALU_CYCLE_1)
	s_mul_i32 s4, s4, s5
	s_mul_i32 s5, s5, s22
	s_add_i32 s4, s4, s15
	s_lshl_b32 s5, s5, 10
	s_add_i32 s4, s4, s21
	s_add_i32 s4, s4, s23
	s_delay_alu instid0(SALU_CYCLE_1) | instskip(NEXT) | instid1(SALU_CYCLE_1)
	s_lshl_b32 s4, s4, 6
	s_add_i32 s5, s5, s4
	s_delay_alu instid0(SALU_CYCLE_1) | instskip(SKIP_1) | instid1(VALU_DEP_2)
	v_or_b32_e32 v1, s5, v0
	v_lshl_or_b32 v0, s17, 6, v0
	v_ashrrev_i32_e32 v2, 31, v1
	s_delay_alu instid0(VALU_DEP_1) | instskip(NEXT) | instid1(VALU_DEP_1)
	v_lshlrev_b64 v[1:2], 2, v[1:2]
	v_add_co_u32 v1, vcc_lo, s0, v1
	s_delay_alu instid0(VALU_DEP_2) | instskip(SKIP_1) | instid1(SALU_CYCLE_1)
	v_add_co_ci_u32_e32 v2, vcc_lo, s1, v2, vcc_lo
	s_lshl_b32 s0, s13, 5
	s_add_i32 s0, s17, s0
	global_load_b32 v3, v[1:2], off
	s_ashr_i32 s1, s0, 31
	s_delay_alu instid0(SALU_CYCLE_1) | instskip(NEXT) | instid1(SALU_CYCLE_1)
	s_lshl_b64 s[0:1], s[0:1], 3
	s_add_u32 s0, s2, s0
	s_addc_u32 s1, s3, s1
	s_add_i32 s14, s13, -1
	s_load_b64 s[0:1], s[0:1], 0x0
	v_fmac_f32_e32 v5, 0x4f800000, v4
	s_sub_i32 s6, 0, s20
	s_waitcnt lgkmcnt(0)
	v_mov_b32_e32 v8, s0
	s_delay_alu instid0(VALU_DEP_2) | instskip(SKIP_2) | instid1(VALU_DEP_2)
	v_rcp_f32_e32 v4, v5
	v_cvt_f32_u32_e32 v5, s20
	v_mov_b32_e32 v7, s1
	v_rcp_iflag_f32_e32 v5, v5
	s_waitcnt_depctr 0xfff
	v_mul_f32_e32 v4, 0x5f7ffffc, v4
	s_delay_alu instid0(VALU_DEP_1) | instskip(SKIP_1) | instid1(VALU_DEP_2)
	v_mul_f32_e32 v6, 0x2f800000, v4
	v_mul_f32_e32 v9, 0x4f7ffffe, v5
	v_trunc_f32_e32 v6, v6
	s_delay_alu instid0(VALU_DEP_1) | instskip(SKIP_1) | instid1(VALU_DEP_4)
	v_fmac_f32_e32 v4, 0xcf800000, v6
	v_cvt_u32_f32_e32 v5, v6
	v_cvt_u32_f32_e32 v6, v9
	s_delay_alu instid0(VALU_DEP_3)
	v_cvt_u32_f32_e32 v4, v4
.LBB39_9:                               ; =>This Inner Loop Header: Depth=1
	s_mul_hi_i32 s13, s14, s7
	s_mul_i32 s4, s14, s7
	s_cmp_lg_u64 s[12:13], 0
	s_mov_b32 s5, -1
                                        ; implicit-def: $sgpr0_sgpr1
	s_cbranch_scc0 .LBB39_11
; %bb.10:                               ;   in Loop: Header=BB39_9 Depth=1
	v_readfirstlane_b32 s0, v4
	v_readfirstlane_b32 s1, v5
	s_sub_u32 s5, 0, s20
	s_subb_u32 s15, 0, 0
	s_delay_alu instid0(VALU_DEP_2) | instskip(NEXT) | instid1(VALU_DEP_1)
	s_mul_hi_u32 s21, s5, s0
	s_mul_i32 s22, s5, s1
	s_mul_i32 s23, s15, s0
	s_add_i32 s21, s21, s22
	s_mul_i32 s22, s5, s0
	s_add_i32 s21, s21, s23
	s_mul_hi_u32 s23, s0, s22
	s_mul_i32 s24, s0, s21
	s_mul_hi_u32 s0, s0, s21
	s_add_u32 s23, s23, s24
	s_mul_i32 s25, s1, s22
	s_addc_u32 s0, 0, s0
	s_mul_hi_u32 s22, s1, s22
	s_mul_hi_u32 s24, s1, s21
	s_add_u32 s23, s23, s25
	s_addc_u32 s0, s0, s22
	s_mul_i32 s21, s1, s21
	s_addc_u32 s22, s24, 0
	s_add_u32 s0, s0, s21
	s_addc_u32 s21, 0, s22
	v_add_co_u32 v9, s0, v4, s0
	s_delay_alu instid0(VALU_DEP_1) | instskip(SKIP_1) | instid1(VALU_DEP_1)
	s_cmp_lg_u32 s0, 0
	s_addc_u32 s1, s1, s21
	v_readfirstlane_b32 s0, v9
	s_mul_i32 s21, s5, s1
	s_delay_alu instid0(VALU_DEP_1)
	s_mul_hi_u32 s22, s5, s0
	s_mul_i32 s15, s15, s0
	s_add_i32 s21, s22, s21
	s_mul_i32 s5, s5, s0
	s_add_i32 s21, s21, s15
	s_mul_hi_u32 s15, s1, s5
	s_mul_i32 s23, s1, s5
	s_mul_i32 s24, s0, s21
	s_mul_hi_u32 s5, s0, s5
	s_mul_hi_u32 s0, s0, s21
	s_add_u32 s5, s5, s24
	s_addc_u32 s0, 0, s0
	s_mul_hi_u32 s22, s1, s21
	s_add_u32 s5, s5, s23
	s_addc_u32 s0, s0, s15
	s_mul_i32 s5, s1, s21
	s_addc_u32 s15, s22, 0
	s_add_u32 s0, s0, s5
	s_addc_u32 s5, 0, s15
	v_add_co_u32 v9, s0, v9, s0
	s_delay_alu instid0(VALU_DEP_1) | instskip(SKIP_2) | instid1(SALU_CYCLE_1)
	s_cmp_lg_u32 s0, 0
	s_addc_u32 s5, s1, s5
	s_ashr_i32 s0, s13, 31
	s_add_u32 s22, s4, s0
	s_addc_u32 s23, s13, s0
	v_readfirstlane_b32 s13, v9
	s_mov_b32 s1, s0
	s_delay_alu instid0(SALU_CYCLE_1) | instskip(NEXT) | instid1(SALU_CYCLE_1)
	s_xor_b64 s[22:23], s[22:23], s[0:1]
	s_mul_i32 s15, s22, s5
	s_delay_alu instid0(VALU_DEP_1)
	s_mul_hi_u32 s21, s22, s13
	s_mul_hi_u32 s24, s22, s5
	s_add_u32 s15, s21, s15
	s_mul_i32 s25, s23, s13
	s_addc_u32 s21, 0, s24
	s_mul_hi_u32 s13, s23, s13
	s_mul_hi_u32 s24, s23, s5
	s_add_u32 s15, s15, s25
	s_addc_u32 s13, s21, s13
	s_mul_i32 s5, s23, s5
	s_addc_u32 s15, s24, 0
	s_add_u32 s5, s13, s5
	s_addc_u32 s13, 0, s15
	s_mul_i32 s21, s20, s5
	s_add_u32 s15, s5, 1
	v_sub_co_u32 v9, s21, s22, s21
	s_addc_u32 s22, s13, 0
	s_mul_i32 s25, s20, s13
	s_mul_hi_u32 s27, s20, s5
	s_delay_alu instid0(VALU_DEP_1)
	v_sub_co_u32 v10, s26, v9, s20
	s_add_u32 s24, s5, 2
	s_addc_u32 s28, s13, 0
	s_add_i32 s27, s27, s25
	s_cmp_lg_u32 s21, 0
	v_readfirstlane_b32 s21, v10
	s_subb_u32 s23, s23, s27
	s_cmp_lg_u32 s26, 0
	s_subb_u32 s25, s23, 0
	s_delay_alu instid0(VALU_DEP_1) | instskip(SKIP_4) | instid1(SALU_CYCLE_1)
	s_cmp_ge_u32 s21, s20
	s_cselect_b32 s21, -1, 0
	s_cmp_eq_u32 s25, 0
	v_readfirstlane_b32 s25, v9
	s_cselect_b32 s21, s21, -1
	s_cmp_lg_u32 s21, 0
	s_cselect_b32 s15, s24, s15
	s_cselect_b32 s21, s28, s22
	s_cmp_ge_u32 s25, s20
	s_cselect_b32 s22, -1, 0
	s_cmp_eq_u32 s23, 0
	s_cselect_b32 s22, s22, -1
	s_delay_alu instid0(SALU_CYCLE_1) | instskip(SKIP_4) | instid1(SALU_CYCLE_1)
	s_cmp_lg_u32 s22, 0
	s_cselect_b32 s23, s21, s13
	s_cselect_b32 s22, s15, s5
	s_mov_b32 s5, 0
	s_xor_b64 s[22:23], s[22:23], s[0:1]
	s_sub_u32 s0, s22, s0
.LBB39_11:                              ;   in Loop: Header=BB39_9 Depth=1
	s_and_not1_b32 vcc_lo, exec_lo, s5
	s_cbranch_vccnz .LBB39_13
; %bb.12:                               ;   in Loop: Header=BB39_9 Depth=1
	v_readfirstlane_b32 s0, v6
	s_delay_alu instid0(VALU_DEP_1) | instskip(NEXT) | instid1(SALU_CYCLE_1)
	s_mul_i32 s1, s6, s0
	s_mul_hi_u32 s1, s0, s1
	s_delay_alu instid0(SALU_CYCLE_1) | instskip(NEXT) | instid1(SALU_CYCLE_1)
	s_add_i32 s0, s0, s1
	s_mul_hi_u32 s0, s4, s0
	s_delay_alu instid0(SALU_CYCLE_1) | instskip(NEXT) | instid1(SALU_CYCLE_1)
	s_mul_i32 s1, s0, s20
	s_sub_i32 s1, s4, s1
	s_add_i32 s4, s0, 1
	s_sub_i32 s5, s1, s20
	s_cmp_ge_u32 s1, s20
	s_cselect_b32 s0, s4, s0
	s_cselect_b32 s1, s5, s1
	s_add_i32 s4, s0, 1
	s_cmp_ge_u32 s1, s20
	s_cselect_b32 s0, s4, s0
.LBB39_13:                              ;   in Loop: Header=BB39_9 Depth=1
	s_delay_alu instid0(SALU_CYCLE_1)
	s_cmp_lg_u32 s16, s0
	s_cbranch_scc0 .LBB39_17
; %bb.14:                               ;   in Loop: Header=BB39_9 Depth=1
	s_add_i32 s1, s14, s20
	s_mov_b32 s5, s12
	s_lshl_b32 s1, s1, 5
	s_mov_b32 s15, s16
	s_add_i32 s4, s1, s17
	s_mul_hi_u32 s1, s0, s8
	s_lshl_b64 s[4:5], s[4:5], 3
	s_delay_alu instid0(SALU_CYCLE_1) | instskip(SKIP_2) | instid1(SALU_CYCLE_1)
	s_add_u32 s4, s2, s4
	s_addc_u32 s5, s3, s5
	s_add_i32 s1, s1, s0
	s_lshr_b32 s1, s1, s9
	s_delay_alu instid0(SALU_CYCLE_1) | instskip(NEXT) | instid1(SALU_CYCLE_1)
	s_mul_i32 s13, s1, s10
	s_cmp_eq_u32 s13, s0
	s_cselect_b32 s13, -1, 0
	s_cmp_lt_u32 s1, s11
	s_cselect_b32 s1, -1, 0
	s_delay_alu instid0(SALU_CYCLE_1)
	s_or_b32 s1, s1, s13
	s_mov_b32 s13, -1
	s_and_b32 vcc_lo, exec_lo, s1
	s_mov_b32 s1, s14
	s_cbranch_vccnz .LBB39_16
; %bb.15:                               ;   in Loop: Header=BB39_9 Depth=1
	s_add_i32 s1, s14, -1
	s_mov_b32 s13, 0
	s_mov_b32 s15, s0
.LBB39_16:                              ;   in Loop: Header=BB39_9 Depth=1
	v_lshl_add_u32 v9, s14, 11, v0
	s_load_b64 s[4:5], s[4:5], 0x0
	s_delay_alu instid0(VALU_DEP_1) | instskip(NEXT) | instid1(VALU_DEP_1)
	v_ashrrev_i32_e32 v10, 31, v9
	v_lshlrev_b64 v[9:10], 2, v[9:10]
	s_delay_alu instid0(VALU_DEP_1) | instskip(NEXT) | instid1(VALU_DEP_2)
	v_add_co_u32 v9, vcc_lo, s18, v9
	v_add_co_ci_u32_e32 v10, vcc_lo, s19, v10, vcc_lo
	s_waitcnt lgkmcnt(0)
	v_max_f32_e64 v11, s4, s4
	global_load_b32 v10, v[9:10], off
	v_max_f32_e32 v9, v8, v8
	s_delay_alu instid0(VALU_DEP_1) | instskip(NEXT) | instid1(VALU_DEP_1)
	v_max_f32_e32 v9, v9, v11
	v_sub_f32_e32 v12, v8, v9
	s_delay_alu instid0(VALU_DEP_1) | instskip(NEXT) | instid1(VALU_DEP_1)
	v_dual_mul_f32 v14, 0x3fb8aa3b, v12 :: v_dual_sub_f32 v11, s4, v9
	v_rndne_f32_e32 v18, v14
	s_delay_alu instid0(VALU_DEP_2) | instskip(SKIP_2) | instid1(VALU_DEP_4)
	v_mul_f32_e32 v13, 0x3fb8aa3b, v11
	v_fma_f32 v17, 0x3fb8aa3b, v12, -v14
	v_cmp_ngt_f32_e32 vcc_lo, 0xc2ce8ed0, v11
	v_sub_f32_e32 v14, v14, v18
	s_delay_alu instid0(VALU_DEP_4) | instskip(SKIP_2) | instid1(VALU_DEP_3)
	v_fma_f32 v15, 0x3fb8aa3b, v11, -v13
	v_rndne_f32_e32 v16, v13
	v_fmac_f32_e32 v17, 0x32a5705f, v12
	v_fmac_f32_e32 v15, 0x32a5705f, v11
	s_delay_alu instid0(VALU_DEP_2) | instskip(NEXT) | instid1(VALU_DEP_1)
	v_dual_sub_f32 v13, v13, v16 :: v_dual_add_f32 v14, v14, v17
	v_add_f32_e32 v13, v13, v15
	s_delay_alu instid0(VALU_DEP_2) | instskip(SKIP_2) | instid1(VALU_DEP_3)
	v_exp_f32_e32 v14, v14
	v_cvt_i32_f32_e32 v15, v16
	v_cvt_i32_f32_e32 v16, v18
	v_exp_f32_e32 v13, v13
	s_waitcnt_depctr 0xfff
	v_ldexp_f32 v14, v14, v16
	v_ldexp_f32 v13, v13, v15
	s_delay_alu instid0(VALU_DEP_1) | instskip(SKIP_1) | instid1(VALU_DEP_4)
	v_cndmask_b32_e32 v13, 0, v13, vcc_lo
	v_cmp_ngt_f32_e32 vcc_lo, 0xc2ce8ed0, v12
	v_cndmask_b32_e32 v14, 0, v14, vcc_lo
	v_cmp_nlt_f32_e32 vcc_lo, 0x42b17218, v11
	s_delay_alu instid0(VALU_DEP_4) | instskip(SKIP_1) | instid1(VALU_DEP_4)
	v_cndmask_b32_e32 v13, 0x7f800000, v13, vcc_lo
	v_cmp_nlt_f32_e32 vcc_lo, 0x42b17218, v12
	v_cndmask_b32_e32 v14, 0x7f800000, v14, vcc_lo
	v_cmp_le_f32_e32 vcc_lo, 0xc1a00000, v11
	s_delay_alu instid0(VALU_DEP_4) | instskip(SKIP_1) | instid1(VALU_DEP_4)
	v_cndmask_b32_e32 v11, 0, v13, vcc_lo
	v_cmp_le_f32_e32 vcc_lo, 0xc1a00000, v12
	v_cndmask_b32_e32 v12, 0, v14, vcc_lo
	s_waitcnt vmcnt(0)
	s_delay_alu instid0(VALU_DEP_3) | instskip(NEXT) | instid1(VALU_DEP_1)
	v_mul_f32_e32 v10, v10, v11
	v_dual_mul_f32 v11, s5, v11 :: v_dual_fmac_f32 v10, v3, v12
	s_delay_alu instid0(VALU_DEP_1)
	v_fmac_f32_e32 v11, v7, v12
	s_cbranch_execz .LBB39_18
	s_branch .LBB39_19
.LBB39_17:                              ;   in Loop: Header=BB39_9 Depth=1
                                        ; implicit-def: $sgpr13
                                        ; implicit-def: $vgpr10
                                        ; implicit-def: $vgpr9
                                        ; implicit-def: $vgpr11
                                        ; implicit-def: $sgpr1
                                        ; implicit-def: $sgpr15
.LBB39_18:                              ;   in Loop: Header=BB39_9 Depth=1
	v_mov_b32_e32 v11, v7
	s_waitcnt vmcnt(0)
	v_dual_mov_b32 v9, v8 :: v_dual_mov_b32 v10, v3
	s_add_i32 s1, s14, -1
	s_mov_b32 s13, 0
	s_mov_b32 s15, s16
.LBB39_19:                              ;   in Loop: Header=BB39_9 Depth=1
	s_and_not1_b32 vcc_lo, exec_lo, s13
	s_cbranch_vccz .LBB39_23
; %bb.20:                               ;   in Loop: Header=BB39_9 Depth=1
	v_dual_mov_b32 v7, v11 :: v_dual_mov_b32 v8, v9
	s_waitcnt vmcnt(0)
	v_mov_b32_e32 v3, v10
	s_mov_b32 s16, s15
	s_mov_b32 s14, s1
	s_branch .LBB39_9
.LBB39_21:
                                        ; implicit-def: $sgpr16_sgpr17
	s_load_b128 s[8:11], s[0:1], 0x44
	s_branch .LBB39_2
.LBB39_22:
                                        ; implicit-def: $sgpr18_sgpr19
	s_branch .LBB39_5
.LBB39_23:
	v_div_scale_f32 v0, null, v11, v11, v10
	s_waitcnt vmcnt(0)
	s_delay_alu instid0(VALU_DEP_1) | instskip(SKIP_2) | instid1(VALU_DEP_1)
	v_rcp_f32_e32 v3, v0
	s_waitcnt_depctr 0xfff
	v_fma_f32 v4, -v0, v3, 1.0
	v_fmac_f32_e32 v3, v4, v3
	v_div_scale_f32 v4, vcc_lo, v10, v11, v10
	s_delay_alu instid0(VALU_DEP_1) | instskip(NEXT) | instid1(VALU_DEP_1)
	v_mul_f32_e32 v5, v4, v3
	v_fma_f32 v6, -v0, v5, v4
	s_delay_alu instid0(VALU_DEP_1) | instskip(NEXT) | instid1(VALU_DEP_1)
	v_fmac_f32_e32 v5, v6, v3
	v_fma_f32 v0, -v0, v5, v4
	s_delay_alu instid0(VALU_DEP_1) | instskip(NEXT) | instid1(VALU_DEP_1)
	v_div_fmas_f32 v0, v0, v3, v5
	v_div_fixup_f32 v0, v0, v11, v10
	global_store_b32 v[1:2], v0, off
.LBB39_24:
	s_nop 0
	s_sendmsg sendmsg(MSG_DEALLOC_VGPRS)
	s_endpgm
	.section	.rodata,"a",@progbits
	.p2align	6, 0x0
	.amdhsa_kernel _ZL33flash_attn_stream_k_fixup_generalILi64ELi16ELi2EEvPfPK15HIP_vector_typeIfLj2EEiiiiS1_IjLj3EES5_S5_S5_
		.amdhsa_group_segment_fixed_size 0
		.amdhsa_private_segment_fixed_size 0
		.amdhsa_kernarg_size 336
		.amdhsa_user_sgpr_count 13
		.amdhsa_user_sgpr_dispatch_ptr 0
		.amdhsa_user_sgpr_queue_ptr 0
		.amdhsa_user_sgpr_kernarg_segment_ptr 1
		.amdhsa_user_sgpr_dispatch_id 0
		.amdhsa_user_sgpr_private_segment_size 0
		.amdhsa_wavefront_size32 1
		.amdhsa_uses_dynamic_stack 0
		.amdhsa_enable_private_segment 0
		.amdhsa_system_sgpr_workgroup_id_x 1
		.amdhsa_system_sgpr_workgroup_id_y 1
		.amdhsa_system_sgpr_workgroup_id_z 1
		.amdhsa_system_sgpr_workgroup_info 0
		.amdhsa_system_vgpr_workitem_id 0
		.amdhsa_next_free_vgpr 19
		.amdhsa_next_free_sgpr 32
		.amdhsa_reserve_vcc 1
		.amdhsa_float_round_mode_32 0
		.amdhsa_float_round_mode_16_64 0
		.amdhsa_float_denorm_mode_32 3
		.amdhsa_float_denorm_mode_16_64 3
		.amdhsa_dx10_clamp 1
		.amdhsa_ieee_mode 1
		.amdhsa_fp16_overflow 0
		.amdhsa_workgroup_processor_mode 1
		.amdhsa_memory_ordered 1
		.amdhsa_forward_progress 0
		.amdhsa_shared_vgpr_count 0
		.amdhsa_exception_fp_ieee_invalid_op 0
		.amdhsa_exception_fp_denorm_src 0
		.amdhsa_exception_fp_ieee_div_zero 0
		.amdhsa_exception_fp_ieee_overflow 0
		.amdhsa_exception_fp_ieee_underflow 0
		.amdhsa_exception_fp_ieee_inexact 0
		.amdhsa_exception_int_div_zero 0
	.end_amdhsa_kernel
	.section	.text._ZL33flash_attn_stream_k_fixup_generalILi64ELi16ELi2EEvPfPK15HIP_vector_typeIfLj2EEiiiiS1_IjLj3EES5_S5_S5_,"axG",@progbits,_ZL33flash_attn_stream_k_fixup_generalILi64ELi16ELi2EEvPfPK15HIP_vector_typeIfLj2EEiiiiS1_IjLj3EES5_S5_S5_,comdat
.Lfunc_end39:
	.size	_ZL33flash_attn_stream_k_fixup_generalILi64ELi16ELi2EEvPfPK15HIP_vector_typeIfLj2EEiiiiS1_IjLj3EES5_S5_S5_, .Lfunc_end39-_ZL33flash_attn_stream_k_fixup_generalILi64ELi16ELi2EEvPfPK15HIP_vector_typeIfLj2EEiiiiS1_IjLj3EES5_S5_S5_
                                        ; -- End function
	.section	.AMDGPU.csdata,"",@progbits
; Kernel info:
; codeLenInByte = 3224
; NumSgprs: 34
; NumVgprs: 19
; ScratchSize: 0
; MemoryBound: 0
; FloatMode: 240
; IeeeMode: 1
; LDSByteSize: 0 bytes/workgroup (compile time only)
; SGPRBlocks: 4
; VGPRBlocks: 2
; NumSGPRsForWavesPerEU: 34
; NumVGPRsForWavesPerEU: 19
; Occupancy: 16
; WaveLimiterHint : 0
; COMPUTE_PGM_RSRC2:SCRATCH_EN: 0
; COMPUTE_PGM_RSRC2:USER_SGPR: 13
; COMPUTE_PGM_RSRC2:TRAP_HANDLER: 0
; COMPUTE_PGM_RSRC2:TGID_X_EN: 1
; COMPUTE_PGM_RSRC2:TGID_Y_EN: 1
; COMPUTE_PGM_RSRC2:TGID_Z_EN: 1
; COMPUTE_PGM_RSRC2:TIDIG_COMP_CNT: 0
	.section	.text._ZL15flash_attn_tileILi64ELi64ELi8ELi2ELb0EEvPKcS1_S1_S1_S1_PKiPfP15HIP_vector_typeIfLj2EEffffjfiS5_IjLj3EEiiiiiiiiiiiliiliiiiil,"axG",@progbits,_ZL15flash_attn_tileILi64ELi64ELi8ELi2ELb0EEvPKcS1_S1_S1_S1_PKiPfP15HIP_vector_typeIfLj2EEffffjfiS5_IjLj3EEiiiiiiiiiiiliiliiiiil,comdat
	.globl	_ZL15flash_attn_tileILi64ELi64ELi8ELi2ELb0EEvPKcS1_S1_S1_S1_PKiPfP15HIP_vector_typeIfLj2EEffffjfiS5_IjLj3EEiiiiiiiiiiiliiliiiiil ; -- Begin function _ZL15flash_attn_tileILi64ELi64ELi8ELi2ELb0EEvPKcS1_S1_S1_S1_PKiPfP15HIP_vector_typeIfLj2EEffffjfiS5_IjLj3EEiiiiiiiiiiiliiliiiiil
	.p2align	8
	.type	_ZL15flash_attn_tileILi64ELi64ELi8ELi2ELb0EEvPKcS1_S1_S1_S1_PKiPfP15HIP_vector_typeIfLj2EEffffjfiS5_IjLj3EEiiiiiiiiiiiliiliiiiil,@function
_ZL15flash_attn_tileILi64ELi64ELi8ELi2ELb0EEvPKcS1_S1_S1_S1_PKiPfP15HIP_vector_typeIfLj2EEffffjfiS5_IjLj3EEiiiiiiiiiiiliiliiiiil: ; @_ZL15flash_attn_tileILi64ELi64ELi8ELi2ELb0EEvPKcS1_S1_S1_S1_PKiPfP15HIP_vector_typeIfLj2EEffffjfiS5_IjLj3EEiiiiiiiiiiiliiliiiiil
; %bb.0:
	s_clause 0x1
	s_load_b128 s[36:39], s[0:1], 0x5c
	s_load_b64 s[40:41], s[0:1], 0x80
	s_mov_b64 s[42:43], 0
	s_waitcnt lgkmcnt(0)
	s_lshr_b32 s2, s39, 31
	s_delay_alu instid0(SALU_CYCLE_1) | instskip(NEXT) | instid1(SALU_CYCLE_1)
	s_add_i32 s2, s39, s2
	s_ashr_i32 s2, s2, 1
	s_delay_alu instid0(SALU_CYCLE_1) | instskip(SKIP_1) | instid1(VALU_DEP_1)
	v_cvt_f32_u32_e32 v1, s2
	s_sub_i32 s4, 0, s2
	v_rcp_iflag_f32_e32 v1, v1
	s_waitcnt_depctr 0xfff
	v_mul_f32_e32 v1, 0x4f7ffffe, v1
	s_delay_alu instid0(VALU_DEP_1) | instskip(NEXT) | instid1(VALU_DEP_1)
	v_cvt_u32_f32_e32 v1, v1
	v_readfirstlane_b32 s3, v1
	s_delay_alu instid0(VALU_DEP_1) | instskip(NEXT) | instid1(SALU_CYCLE_1)
	s_mul_i32 s4, s4, s3
	s_mul_hi_u32 s4, s3, s4
	s_delay_alu instid0(SALU_CYCLE_1) | instskip(NEXT) | instid1(SALU_CYCLE_1)
	s_add_i32 s3, s3, s4
	s_mul_hi_u32 s3, s15, s3
	s_delay_alu instid0(SALU_CYCLE_1) | instskip(SKIP_2) | instid1(SALU_CYCLE_1)
	s_mul_i32 s4, s3, s2
	s_add_i32 s5, s3, 1
	s_sub_i32 s4, s15, s4
	s_sub_i32 s6, s4, s2
	s_cmp_ge_u32 s4, s2
	s_cselect_b32 s3, s5, s3
	s_cselect_b32 s4, s6, s4
	s_add_i32 s5, s3, 1
	s_cmp_ge_u32 s4, s2
	s_cselect_b32 s33, s5, s3
	s_abs_i32 s2, s41
	s_abs_i32 s7, s39
	v_cvt_f32_u32_e32 v1, s2
	s_sub_i32 s4, 0, s2
	s_lshl_b32 s5, s15, 1
	s_mul_i32 s6, s33, s39
	s_delay_alu instid0(VALU_DEP_1) | instskip(SKIP_3) | instid1(VALU_DEP_1)
	v_rcp_iflag_f32_e32 v1, v1
	s_sub_i32 s34, s5, s6
	s_waitcnt_depctr 0xfff
	v_mul_f32_e32 v1, 0x4f7ffffe, v1
	v_cvt_u32_f32_e32 v1, v1
	s_delay_alu instid0(VALU_DEP_1) | instskip(NEXT) | instid1(VALU_DEP_1)
	v_readfirstlane_b32 s3, v1
	s_mul_i32 s4, s4, s3
	s_delay_alu instid0(SALU_CYCLE_1) | instskip(NEXT) | instid1(SALU_CYCLE_1)
	s_mul_hi_u32 s4, s3, s4
	s_add_i32 s3, s3, s4
	s_xor_b32 s4, s39, s41
	s_mul_hi_u32 s3, s7, s3
	s_ashr_i32 s4, s4, 31
	s_mul_i32 s5, s3, s2
	s_add_i32 s6, s3, 1
	s_sub_i32 s5, s7, s5
	s_delay_alu instid0(SALU_CYCLE_1)
	s_sub_i32 s7, s5, s2
	s_cmp_ge_u32 s5, s2
	s_cselect_b32 s3, s6, s3
	s_cselect_b32 s5, s7, s5
	s_add_i32 s6, s3, 1
	s_cmp_ge_u32 s5, s2
	s_cselect_b32 s2, s6, s3
	s_delay_alu instid0(SALU_CYCLE_1) | instskip(NEXT) | instid1(SALU_CYCLE_1)
	s_xor_b32 s2, s2, s4
	s_sub_i32 s9, s2, s4
	s_clause 0x1
	s_load_b512 s[16:31], s[0:1], 0x0
	s_load_b64 s[2:3], s[0:1], 0xb8
	s_abs_i32 s8, s9
	s_delay_alu instid0(SALU_CYCLE_1) | instskip(NEXT) | instid1(VALU_DEP_1)
	v_cvt_f32_u32_e32 v1, s8
	v_rcp_iflag_f32_e32 v1, v1
	s_waitcnt_depctr 0xfff
	v_mul_f32_e32 v1, 0x4f7ffffe, v1
	s_waitcnt lgkmcnt(0)
	s_cmp_eq_u64 s[22:23], 0
	s_delay_alu instid0(VALU_DEP_1) | instskip(NEXT) | instid1(VALU_DEP_1)
	v_cvt_u32_f32_e32 v1, v1
	v_readfirstlane_b32 s10, v1
	s_cbranch_scc1 .LBB40_2
; %bb.1:
	s_abs_i32 s2, s2
	s_abs_i32 s6, s33
	v_cvt_f32_u32_e32 v1, s2
	s_sub_i32 s5, 0, s2
	s_delay_alu instid0(VALU_DEP_1) | instskip(SKIP_2) | instid1(VALU_DEP_1)
	v_rcp_iflag_f32_e32 v1, v1
	s_waitcnt_depctr 0xfff
	v_mul_f32_e32 v1, 0x4f7ffffe, v1
	v_cvt_u32_f32_e32 v1, v1
	s_delay_alu instid0(VALU_DEP_1) | instskip(NEXT) | instid1(VALU_DEP_1)
	v_readfirstlane_b32 s4, v1
	s_mul_i32 s5, s5, s4
	s_delay_alu instid0(SALU_CYCLE_1) | instskip(NEXT) | instid1(SALU_CYCLE_1)
	s_mul_hi_u32 s5, s4, s5
	s_add_i32 s7, s4, s5
	s_load_b64 s[4:5], s[0:1], 0xc8
	s_mul_hi_u32 s7, s6, s7
	s_delay_alu instid0(SALU_CYCLE_1) | instskip(NEXT) | instid1(SALU_CYCLE_1)
	s_mul_i32 s7, s7, s2
	s_sub_i32 s6, s6, s7
	s_ashr_i32 s7, s33, 31
	s_sub_i32 s11, s6, s2
	s_cmp_ge_u32 s6, s2
	s_cselect_b32 s6, s11, s6
	s_delay_alu instid0(SALU_CYCLE_1) | instskip(SKIP_2) | instid1(SALU_CYCLE_1)
	s_sub_i32 s11, s6, s2
	s_cmp_ge_u32 s6, s2
	s_cselect_b32 s2, s11, s6
	s_xor_b32 s2, s2, s7
	s_delay_alu instid0(SALU_CYCLE_1)
	s_sub_i32 s2, s2, s7
	s_waitcnt lgkmcnt(0)
	s_mul_i32 s5, s2, s5
	s_mul_hi_u32 s6, s2, s4
	s_ashr_i32 s7, s2, 31
	s_add_i32 s5, s6, s5
	s_mul_i32 s7, s7, s4
	s_mul_i32 s2, s2, s4
	s_add_i32 s5, s5, s7
	s_add_u32 s42, s22, s2
	s_addc_u32 s43, s23, s5
.LBB40_2:
	v_bfe_u32 v4, v0, 10, 10
	s_lshl_b32 s41, s13, 3
	s_load_b128 s[4:7], s[0:1], 0x70
	v_and_b32_e32 v58, 0x3ff, v0
	s_delay_alu instid0(VALU_DEP_2) | instskip(NEXT) | instid1(VALU_DEP_2)
	v_lshlrev_b32_e32 v6, 2, v4
	v_lshlrev_b32_e32 v20, 3, v58
	;; [unrolled: 1-line block ×3, first 2 shown]
	s_delay_alu instid0(VALU_DEP_3) | instskip(SKIP_1) | instid1(VALU_DEP_2)
	v_or_b32_e32 v13, 2, v6
	v_or_b32_e32 v14, 3, v6
	v_lshrrev_b32_e32 v54, 1, v13
	s_delay_alu instid0(VALU_DEP_2) | instskip(NEXT) | instid1(VALU_DEP_2)
	v_lshrrev_b32_e32 v52, 1, v14
	v_add_nc_u32_e32 v55, s41, v54
	s_delay_alu instid0(VALU_DEP_2)
	v_add_nc_u32_e32 v53, s41, v52
	s_waitcnt lgkmcnt(0)
	s_mul_i32 s2, s33, s6
	s_mul_i32 s6, s34, s5
	s_ashr_i32 s7, s2, 31
	v_mul_hi_u32 v2, v55, s36
	v_mul_hi_u32 v3, v53, s36
	s_add_u32 s2, s16, s2
	s_addc_u32 s7, s17, s7
	s_ashr_i32 s11, s6, 31
	s_add_u32 s2, s2, s6
	s_addc_u32 s6, s7, s11
	s_ashr_i32 s7, s4, 31
	v_add_nc_u32_e32 v2, v55, v2
	v_add_nc_u32_e32 v3, v53, v3
	v_alignbit_b32 v11, s7, s4, 2
	s_lshr_b32 s4, s7, 2
	s_delay_alu instid0(VALU_DEP_3) | instskip(NEXT) | instid1(VALU_DEP_3)
	v_lshrrev_b32_e32 v2, s37, v2
	v_lshrrev_b32_e32 v3, s37, v3
	s_delay_alu instid0(VALU_DEP_2) | instskip(NEXT) | instid1(VALU_DEP_2)
	v_mul_lo_u32 v7, v2, s38
	v_mul_lo_u32 v3, v3, s38
	s_delay_alu instid0(VALU_DEP_2) | instskip(NEXT) | instid1(VALU_DEP_2)
	v_sub_nc_u32_e32 v15, v55, v7
	v_sub_nc_u32_e32 v16, v53, v3
	s_delay_alu instid0(VALU_DEP_2) | instskip(SKIP_1) | instid1(VALU_DEP_3)
	v_mad_u64_u32 v[7:8], null, v11, v15, 0
	v_lshlrev_b32_e32 v56, 1, v4
	v_mad_u64_u32 v[9:10], null, v11, v16, 0
	s_delay_alu instid0(VALU_DEP_1) | instskip(NEXT) | instid1(VALU_DEP_1)
	v_dual_mov_b32 v0, v10 :: v_dual_add_nc_u32 v57, s41, v56
	v_mul_hi_u32 v1, v57, s36
	s_delay_alu instid0(VALU_DEP_1) | instskip(NEXT) | instid1(VALU_DEP_1)
	v_add_nc_u32_e32 v1, v57, v1
	v_lshrrev_b32_e32 v1, s37, v1
	s_delay_alu instid0(VALU_DEP_1) | instskip(NEXT) | instid1(VALU_DEP_1)
	v_mul_lo_u32 v1, v1, s38
	v_sub_nc_u32_e32 v5, v57, v1
	s_delay_alu instid0(VALU_DEP_1) | instskip(NEXT) | instid1(VALU_DEP_1)
	v_mad_u64_u32 v[1:2], null, v11, v5, 0
	v_mad_u64_u32 v[11:12], null, s4, v5, v[2:3]
	s_delay_alu instid0(VALU_DEP_1) | instskip(NEXT) | instid1(VALU_DEP_1)
	v_dual_mov_b32 v3, v8 :: v_dual_mov_b32 v2, v11
	v_mad_u64_u32 v[10:11], null, s4, v15, v[3:4]
	s_delay_alu instid0(VALU_DEP_4) | instskip(NEXT) | instid1(VALU_DEP_3)
	v_mad_u64_u32 v[11:12], null, s4, v16, v[0:1]
	v_lshlrev_b64 v[0:1], 2, v[1:2]
	s_ashr_i32 s4, s5, 31
	s_and_b32 s5, s5, -4
	s_delay_alu instid0(VALU_DEP_3) | instskip(SKIP_1) | instid1(VALU_DEP_3)
	v_mov_b32_e32 v8, v10
	s_add_u32 s5, s2, s5
	v_mov_b32_e32 v10, v11
	v_add_co_u32 v11, vcc_lo, s2, v0
	v_add_co_ci_u32_e32 v12, vcc_lo, s6, v1, vcc_lo
	s_addc_u32 s4, s6, s4
	v_add_co_u32 v15, vcc_lo, s5, v0
	v_add_co_ci_u32_e32 v16, vcc_lo, s4, v1, vcc_lo
	v_lshlrev_b64 v[0:1], 2, v[7:8]
	v_add_co_u32 v7, vcc_lo, v11, v20
	v_add_co_ci_u32_e32 v8, vcc_lo, 0, v12, vcc_lo
	v_lshlrev_b64 v[2:3], 2, v[9:10]
	v_add_co_u32 v9, vcc_lo, v15, v20
	v_add_co_ci_u32_e32 v10, vcc_lo, 0, v16, vcc_lo
	v_add_co_u32 v0, vcc_lo, s2, v0
	v_add_co_ci_u32_e32 v1, vcc_lo, s6, v1, vcc_lo
	v_add_co_u32 v2, vcc_lo, s5, v2
	v_add_co_ci_u32_e32 v3, vcc_lo, s4, v3, vcc_lo
	s_delay_alu instid0(VALU_DEP_4) | instskip(NEXT) | instid1(VALU_DEP_4)
	v_add_co_u32 v0, vcc_lo, v0, v20
	v_add_co_ci_u32_e32 v1, vcc_lo, 0, v1, vcc_lo
	s_delay_alu instid0(VALU_DEP_4) | instskip(NEXT) | instid1(VALU_DEP_4)
	v_add_co_u32 v2, vcc_lo, v2, v20
	v_add_co_ci_u32_e32 v3, vcc_lo, 0, v3, vcc_lo
	s_clause 0x3
	global_load_b64 v[7:8], v[7:8], off
	global_load_b64 v[9:10], v[9:10], off
	;; [unrolled: 1-line block ×4, first 2 shown]
	s_load_b32 s2, s[0:1], 0x40
	v_lshl_or_b32 v11, v4, 9, v59
	v_lshlrev_b32_e32 v12, 5, v13
	v_lshlrev_b32_e32 v13, 5, v14
	s_cmp_eq_u64 s[26:27], 0
	s_delay_alu instid0(VALU_DEP_3) | instskip(NEXT) | instid1(VALU_DEP_3)
	v_add_nc_u32_e32 v11, 0x5800, v11
	v_add_lshl_u32 v12, v12, v58, 2
	s_delay_alu instid0(VALU_DEP_3)
	v_add_lshl_u32 v13, v13, v58, 2
	s_waitcnt vmcnt(3) lgkmcnt(0)
	v_fma_mixlo_f16 v7, v7, s2, 0
	s_waitcnt vmcnt(2)
	v_fma_mixlo_f16 v9, v9, s2, 0
	s_waitcnt vmcnt(1)
	;; [unrolled: 2-line block ×3, first 2 shown]
	v_fma_mixlo_f16 v2, v2, s2, 0
	v_fma_mixhi_f16 v7, v8, s2, 0
	v_fma_mixhi_f16 v9, v10, s2, 0
	;; [unrolled: 1-line block ×3, first 2 shown]
	s_delay_alu instid0(VALU_DEP_4)
	v_fma_mixhi_f16 v2, v3, s2, 0
	ds_store_2addr_b32 v11, v7, v9 offset1:32
	ds_store_b32 v12, v0 offset:22528
	ds_store_b32 v13, v2 offset:22528
	s_waitcnt lgkmcnt(0)
	s_barrier
	buffer_gl0_inv
	s_cbranch_scc1 .LBB40_4
; %bb.3:
	s_load_b32 s2, s[0:1], 0xd0
	s_mov_b32 s5, 0
	s_waitcnt lgkmcnt(0)
	s_mul_i32 s2, s2, s33
	s_delay_alu instid0(SALU_CYCLE_1) | instskip(NEXT) | instid1(SALU_CYCLE_1)
	s_add_i32 s4, s2, s13
	s_lshl_b64 s[4:5], s[4:5], 2
	s_delay_alu instid0(SALU_CYCLE_1)
	s_add_u32 s4, s26, s4
	s_addc_u32 s5, s27, s5
	s_load_b32 s40, s[4:5], 0x0
.LBB40_4:
	v_mbcnt_lo_u32_b32 v60, -1, 0
	s_lshl_b32 s26, s14, 7
	s_waitcnt lgkmcnt(0)
	s_cmp_lt_i32 s26, s40
	s_cbranch_scc1 .LBB40_6
; %bb.5:
	v_mbcnt_lo_u32_b32 v7, -1, 0
	v_mov_b32_e32 v61, 32
	s_mov_b32 s2, 0
	s_mov_b32 s4, 0xfeffffff
	s_delay_alu instid0(VALU_DEP_2)
	v_xor_b32_e32 v66, 16, v7
	v_xor_b32_e32 v65, 8, v7
	;; [unrolled: 1-line block ×5, first 2 shown]
	s_branch .LBB40_7
.LBB40_6:
	s_mov_b32 s2, -1
                                        ; implicit-def: $sgpr4
                                        ; implicit-def: $vgpr7
                                        ; implicit-def: $vgpr61
                                        ; implicit-def: $vgpr66
                                        ; implicit-def: $vgpr65
                                        ; implicit-def: $vgpr64
                                        ; implicit-def: $vgpr63
                                        ; implicit-def: $vgpr62
.LBB40_7:
	s_delay_alu instid0(SALU_CYCLE_1) | instskip(SKIP_2) | instid1(VALU_DEP_3)
	v_cndmask_b32_e64 v0, 0, 1, s2
	v_dual_mov_b32 v3, s4 :: v_dual_mov_b32 v36, s2
	v_dual_mov_b32 v111, s2 :: v_dual_mov_b32 v2, s4
	v_cmp_ne_u32_e32 vcc_lo, 1, v0
	v_dual_mov_b32 v1, s4 :: v_dual_mov_b32 v0, s4
	v_dual_mov_b32 v39, s2 :: v_dual_mov_b32 v38, s2
	;; [unrolled: 1-line block ×4, first 2 shown]
	s_cbranch_vccnz .LBB40_11
; %bb.8:
	s_clause 0x1
	s_load_b128 s[4:7], s[0:1], 0x98
	s_load_b64 s[12:13], s[0:1], 0x8c
	s_sub_i32 s2, 0, s8
	s_abs_i32 s11, s34
	s_mul_i32 s2, s2, s10
	s_ashr_i32 s15, s34, 31
	s_mul_hi_u32 s2, s10, s2
	s_ashr_i32 s9, s9, 31
	s_add_i32 s10, s10, s2
	s_ashr_i32 s2, s3, 1
	s_mul_hi_u32 s3, s11, s10
	s_ashr_i32 s10, s33, 31
	s_load_b64 s[16:17], s[0:1], 0xa8
	s_mul_i32 s22, s3, s8
	v_lshrrev_b32_e32 v0, 3, v58
	v_add3_u32 v22, s41, v56, 1
	v_mov_b32_e32 v61, 32
	v_dual_mov_b32 v108, 0 :: v_dual_and_b32 v3, 28, v59
	s_delay_alu instid0(VALU_DEP_4)
	v_add_nc_u32_e32 v0, v0, v6
	s_waitcnt lgkmcnt(0)
	s_ashr_i32 s27, s6, 2
	s_mul_i32 s5, s33, s5
	s_mul_hi_u32 s6, s33, s4
	s_ashr_i32 s35, s12, 2
	s_mul_i32 s12, s10, s4
	s_add_i32 s5, s6, s5
	s_mul_i32 s4, s33, s4
	s_add_i32 s5, s5, s12
	s_add_u32 s4, s18, s4
	s_addc_u32 s5, s19, s5
	s_xor_b32 s6, s15, s9
	s_sub_i32 s9, s11, s22
	s_add_i32 s11, s3, 1
	s_sub_i32 s12, s9, s8
	s_cmp_ge_u32 s9, s8
	s_mul_i32 s10, s10, s16
	s_cselect_b32 s3, s11, s3
	s_cselect_b32 s9, s12, s9
	s_add_i32 s11, s3, 1
	s_cmp_ge_u32 s9, s8
	s_mul_i32 s8, s33, s17
	s_cselect_b32 s3, s11, s3
	s_mul_hi_u32 s9, s33, s16
	s_xor_b32 s3, s3, s6
	v_mul_lo_u32 v1, s35, v0
	s_sub_i32 s3, s3, s6
	v_mul_hi_u32 v2, s36, v22
	s_mul_i32 s6, s3, s13
	v_mul_lo_u32 v21, s27, v0
	s_ashr_i32 s12, s6, 31
	s_add_u32 s44, s4, s6
	s_addc_u32 s45, s5, s12
	s_add_i32 s4, s9, s8
	s_mul_i32 s11, s33, s16
	s_mul_i32 s3, s3, s7
	s_add_i32 s4, s4, s10
	s_add_u32 s5, s20, s11
	s_addc_u32 s4, s21, s4
	s_ashr_i32 s6, s3, 31
	s_add_u32 s46, s5, s3
	s_addc_u32 s47, s4, s6
	s_lshl_b32 s3, s35, 4
	s_lshl_b32 s4, s27, 4
	v_dual_mov_b32 v109, 0 :: v_dual_add_nc_u32 v6, s3, v1
	v_dual_mov_b32 v111, 0 :: v_dual_lshlrev_b32 v24, 2, v3
	v_dual_mov_b32 v37, 0 :: v_dual_add_nc_u32 v2, v22, v2
	v_add_nc_u32_e32 v23, s4, v21
	s_delay_alu instid0(VALU_DEP_4) | instskip(NEXT) | instid1(VALU_DEP_4)
	v_add_nc_u32_e32 v8, s3, v6
	v_mad_u32_u24 v67, 0x90, v0, v24
	s_delay_alu instid0(VALU_DEP_4)
	v_lshrrev_b32_e32 v17, s37, v2
	v_ashrrev_i32_e32 v2, 31, v1
	v_lshl_or_b32 v78, v0, 7, v24
	v_dual_mov_b32 v0, 0xfeffffff :: v_dual_add_nc_u32 v25, s4, v23
	v_lshl_add_u32 v76, v4, 9, 0x5800
	v_mul_lo_u32 v77, v5, s2
	v_lshl_add_u32 v80, v4, 10, 0x4800
	v_lshlrev_b64 v[4:5], 2, v[1:2]
	v_dual_mov_b32 v2, 0xfeffffff :: v_dual_add_nc_u32 v27, s4, v25
	v_dual_mov_b32 v1, 0xfeffffff :: v_dual_add_nc_u32 v10, s3, v8
	v_dual_mov_b32 v3, 0xfeffffff :: v_dual_lshlrev_b32 v88, 2, v3
	s_delay_alu instid0(VALU_DEP_3) | instskip(SKIP_1) | instid1(VALU_DEP_4)
	v_add_nc_u32_e32 v29, s4, v27
	v_mul_lo_u32 v26, v17, s38
	v_add_nc_u32_e32 v12, s3, v10
	v_ashrrev_i32_e32 v7, 31, v6
	v_ashrrev_i32_e32 v9, 31, v8
	v_add_nc_u32_e32 v31, s4, v29
	v_ashrrev_i32_e32 v11, 31, v10
	v_add_nc_u32_e32 v14, s3, v12
	v_ashrrev_i32_e32 v13, 31, v12
	v_sub_nc_u32_e32 v22, v22, v26
	v_add_nc_u32_e32 v33, s4, v31
	v_ashrrev_i32_e32 v24, 31, v23
	v_add_nc_u32_e32 v16, s3, v14
	v_ashrrev_i32_e32 v15, 31, v14
	v_mul_lo_u32 v79, v22, s2
	v_add_nc_u32_e32 v35, s4, v33
	v_ashrrev_i32_e32 v22, 31, v21
	v_add_nc_u32_e32 v18, s3, v16
	v_ashrrev_i32_e32 v17, 31, v16
	v_ashrrev_i32_e32 v26, 31, v25
	;; [unrolled: 1-line block ×8, first 2 shown]
	v_lshlrev_b64 v[6:7], 2, v[6:7]
	v_lshlrev_b64 v[8:9], 2, v[8:9]
	;; [unrolled: 1-line block ×7, first 2 shown]
	v_add_nc_u32_e32 v89, v80, v20
	v_lshlrev_b64 v[20:21], 2, v[21:22]
	v_lshlrev_b64 v[22:23], 2, v[23:24]
	;; [unrolled: 1-line block ×8, first 2 shown]
	v_dual_mov_b32 v39, 0 :: v_dual_add_nc_u32 v68, 0x900, v67
	v_dual_mov_b32 v110, 0 :: v_dual_add_nc_u32 v69, 0x1200, v67
	v_add_nc_u32_e32 v70, 0x1b00, v67
	v_dual_mov_b32 v38, 0 :: v_dual_add_nc_u32 v71, 0x2400, v67
	v_add_nc_u32_e32 v72, 0x2d00, v67
	;; [unrolled: 2-line block ×3, first 2 shown]
	v_mul_u32_u24_e32 v75, 0x90, v58
	v_add_nc_u32_e32 v81, 0x800, v78
	v_add_nc_u32_e32 v82, 0x1000, v78
	;; [unrolled: 1-line block ×7, first 2 shown]
	v_xor_b32_e32 v66, 16, v60
	v_xor_b32_e32 v65, 8, v60
	;; [unrolled: 1-line block ×5, first 2 shown]
	v_add_nc_u32_e32 v90, 0x400, v59
	v_add_nc_u32_e32 v91, 0x800, v59
	;; [unrolled: 1-line block ×15, first 2 shown]
	s_add_u32 s22, s0, 0xd0
	s_addc_u32 s23, s1, 0
.LBB40_9:                               ; =>This Inner Loop Header: Depth=1
	v_cmp_gt_i32_e32 vcc_lo, 32, v66
	v_dual_mov_b32 v113, v2 :: v_dual_mov_b32 v114, v1
	v_dual_mov_b32 v107, v37 :: v_dual_mov_b32 v112, v3
	v_cndmask_b32_e32 v1, v60, v66, vcc_lo
	v_cmp_gt_i32_e32 vcc_lo, 32, v65
	s_mul_hi_i32 s3, s26, s35
	s_mul_i32 s2, s26, s35
	v_dual_mov_b32 v105, v39 :: v_dual_mov_b32 v106, v38
	v_cndmask_b32_e32 v2, v60, v65, vcc_lo
	v_cmp_gt_i32_e32 vcc_lo, 32, v64
	v_dual_mov_b32 v115, v0 :: v_dual_mov_b32 v116, 0
	v_dual_mov_b32 v131, 0 :: v_dual_add_nc_u32 v0, s26, v58
	v_cndmask_b32_e32 v3, v60, v64, vcc_lo
	v_cmp_gt_i32_e32 vcc_lo, 32, v63
	s_lshl_b64 s[2:3], s[2:3], 2
	s_mul_hi_i32 s5, s26, s27
	s_mul_i32 s4, s26, s27
	s_add_u32 s8, s44, s2
	v_cndmask_b32_e32 v37, v60, v63, vcc_lo
	v_cmp_gt_i32_e32 vcc_lo, 32, v62
	s_addc_u32 s9, s45, s3
	v_lshlrev_b32_e32 v135, 2, v3
	v_lshlrev_b32_e32 v136, 2, v2
	;; [unrolled: 1-line block ×3, first 2 shown]
	v_dual_cndmask_b32 v38, v60, v62 :: v_dual_lshlrev_b32 v137, 2, v1
	v_mov_b32_e32 v132, v36
	v_add_nc_u32_e32 v47, v0, v77
	v_add_nc_u32_e32 v49, v0, v79
	s_delay_alu instid0(VALU_DEP_4)
	v_lshlrev_b32_e32 v133, 2, v38
	s_lshl_b64 s[10:11], s[4:5], 2
	v_add_co_u32 v0, vcc_lo, s8, v6
	v_add_co_u32 v2, s2, s8, v8
	v_add_co_u32 v3, s3, s8, v10
	;; [unrolled: 1-line block ×7, first 2 shown]
	s_delay_alu instid0(VALU_DEP_1)
	v_add_co_ci_u32_e64 v41, s8, s9, v5, s8
	s_add_u32 s8, s46, s10
	v_add_co_ci_u32_e32 v42, vcc_lo, s9, v7, vcc_lo
	v_add_co_ci_u32_e64 v44, vcc_lo, s9, v9, s2
	v_add_co_ci_u32_e64 v46, vcc_lo, s9, v11, s3
	;; [unrolled: 1-line block ×6, first 2 shown]
	s_addc_u32 s9, s47, s11
	v_add_co_u32 v146, vcc_lo, s8, v22
	v_add_co_u32 v149, s2, s8, v24
	v_add_co_u32 v150, s3, s8, v26
	;; [unrolled: 1-line block ×7, first 2 shown]
	s_delay_alu instid0(VALU_DEP_1)
	v_add_co_ci_u32_e64 v162, s8, s9, v21, s8
	v_add_co_ci_u32_e32 v165, vcc_lo, s9, v23, vcc_lo
	v_add_co_ci_u32_e64 v166, vcc_lo, s9, v25, s2
	v_add_co_ci_u32_e64 v169, vcc_lo, s9, v27, s3
	;; [unrolled: 1-line block ×6, first 2 shown]
	v_add_co_u32 v139, s8, v40, v88
	v_add_co_u32 v143, vcc_lo, v0, v88
	v_ashrrev_i32_e32 v48, 31, v47
	v_add_co_u32 v147, s2, v2, v88
	v_add_co_ci_u32_e64 v140, s8, 0, v41, s8
	v_add_co_u32 v151, s3, v3, v88
	v_add_co_u32 v159, s5, v37, v88
	;; [unrolled: 1-line block ×4, first 2 shown]
	v_add_co_ci_u32_e32 v144, vcc_lo, 0, v42, vcc_lo
	v_add_co_u32 v155, s4, v36, v88
	v_add_co_ci_u32_e64 v148, vcc_lo, 0, v44, s2
	v_add_co_ci_u32_e64 v152, vcc_lo, 0, v46, s3
	;; [unrolled: 1-line block ×5, first 2 shown]
	v_add_co_u32 v2, s5, v146, v88
	v_add_co_u32 v36, s6, v149, v88
	;; [unrolled: 1-line block ×4, first 2 shown]
	v_add_co_ci_u32_e64 v156, vcc_lo, 0, v51, s4
	v_add_co_u32 v40, vcc_lo, v153, v88
	v_add_co_u32 v42, s2, v154, v88
	v_add_co_u32 v44, s3, v157, v88
	;; [unrolled: 1-line block ×3, first 2 shown]
	v_lshlrev_b64 v[171:172], 1, v[47:48]
	v_add_co_ci_u32_e64 v47, s8, 0, v162, s8
	v_add_co_ci_u32_e64 v3, s5, 0, v165, s5
	;; [unrolled: 1-line block ×4, first 2 shown]
	s_clause 0x7
	global_load_b128 v[139:142], v[139:140], off
	global_load_b128 v[143:146], v[143:144], off
	;; [unrolled: 1-line block ×8, first 2 shown]
	v_dual_mov_b32 v117, 0 :: v_dual_mov_b32 v118, 0
	v_dual_mov_b32 v119, 0 :: v_dual_mov_b32 v120, 0
	;; [unrolled: 1-line block ×7, first 2 shown]
	v_ashrrev_i32_e32 v50, 31, v49
	v_add_co_ci_u32_e32 v41, vcc_lo, 0, v1, vcc_lo
	v_add_co_ci_u32_e64 v1, vcc_lo, 0, v138, s4
	s_delay_alu instid0(VALU_DEP_3) | instskip(SKIP_1) | instid1(VALU_DEP_1)
	v_lshlrev_b64 v[48:49], 1, v[49:50]
	v_add_co_u32 v50, s5, s42, v171
	v_add_co_ci_u32_e64 v51, s5, s43, v172, s5
	v_add_co_ci_u32_e64 v43, vcc_lo, 0, v43, s2
	s_delay_alu instid0(VALU_DEP_4) | instskip(NEXT) | instid1(VALU_DEP_1)
	v_add_co_u32 v48, s5, s42, v48
	v_add_co_ci_u32_e64 v49, s5, s43, v49, s5
	v_add_co_ci_u32_e64 v45, vcc_lo, 0, v45, s3
	s_waitcnt vmcnt(7)
	ds_store_b128 v67, v[139:142]
	s_waitcnt vmcnt(6)
	ds_store_b128 v68, v[143:146]
	;; [unrolled: 2-line block ×8, first 2 shown]
	s_waitcnt lgkmcnt(0)
	s_barrier
	buffer_gl0_inv
	ds_load_b128 v[139:142], v75
	ds_load_b128 v[143:146], v76
	ds_load_b128 v[147:150], v76 offset:128
	ds_load_b128 v[151:154], v76 offset:256
	;; [unrolled: 1-line block ×6, first 2 shown]
	s_waitcnt lgkmcnt(6)
	;;#ASMSTART
	v_dot2_f32_f16 v116, v139, v143, v116
	;;#ASMEND
	;;#ASMSTART
	v_dot2_f32_f16 v116, v140, v144, v116
	;;#ASMEND
	;;#ASMSTART
	v_dot2_f32_f16 v116, v141, v145, v116
	;;#ASMEND
	;;#ASMSTART
	v_dot2_f32_f16 v116, v142, v146, v116
	;;#ASMEND
	s_waitcnt lgkmcnt(5)
	;;#ASMSTART
	v_dot2_f32_f16 v117, v139, v147, v117
	;;#ASMEND
	;;#ASMSTART
	v_dot2_f32_f16 v117, v140, v148, v117
	;;#ASMEND
	;;#ASMSTART
	v_dot2_f32_f16 v117, v141, v149, v117
	;;#ASMEND
	;;#ASMSTART
	v_dot2_f32_f16 v117, v142, v150, v117
	;;#ASMEND
	;; [unrolled: 13-line block ×5, first 2 shown]
	;;#ASMSTART
	v_dot2_f32_f16 v121, v159, v147, v121
	;;#ASMEND
	;;#ASMSTART
	v_dot2_f32_f16 v121, v160, v148, v121
	;;#ASMEND
	;; [unrolled: 3-line block ×12, first 2 shown]
	s_waitcnt lgkmcnt(1)
	;;#ASMSTART
	v_dot2_f32_f16 v124, v163, v143, v124
	;;#ASMEND
	;;#ASMSTART
	v_dot2_f32_f16 v124, v164, v144, v124
	;;#ASMEND
	;; [unrolled: 3-line block ×16, first 2 shown]
	s_waitcnt lgkmcnt(0)
	;;#ASMSTART
	v_dot2_f32_f16 v128, v167, v143, v128
	;;#ASMEND
	;;#ASMSTART
	v_dot2_f32_f16 v128, v168, v144, v128
	;;#ASMEND
	;; [unrolled: 3-line block ×16, first 2 shown]
	ds_load_b128 v[139:142], v75 offset:16
	ds_load_b128 v[143:146], v76 offset:16
	ds_load_b128 v[147:150], v76 offset:144
	ds_load_b128 v[151:154], v76 offset:272
	ds_load_b128 v[155:158], v76 offset:400
	ds_load_b128 v[159:162], v75 offset:4624
	ds_load_b128 v[163:166], v75 offset:9232
	ds_load_b128 v[167:170], v75 offset:13840
	s_waitcnt lgkmcnt(6)
	;;#ASMSTART
	v_dot2_f32_f16 v116, v139, v143, v116
	;;#ASMEND
	;;#ASMSTART
	v_dot2_f32_f16 v116, v140, v144, v116
	;;#ASMEND
	;;#ASMSTART
	v_dot2_f32_f16 v116, v141, v145, v116
	;;#ASMEND
	;;#ASMSTART
	v_dot2_f32_f16 v116, v142, v146, v116
	;;#ASMEND
	s_waitcnt lgkmcnt(5)
	;;#ASMSTART
	v_dot2_f32_f16 v117, v139, v147, v117
	;;#ASMEND
	;;#ASMSTART
	v_dot2_f32_f16 v117, v140, v148, v117
	;;#ASMEND
	;;#ASMSTART
	v_dot2_f32_f16 v117, v141, v149, v117
	;;#ASMEND
	;;#ASMSTART
	v_dot2_f32_f16 v117, v142, v150, v117
	;;#ASMEND
	;; [unrolled: 13-line block ×5, first 2 shown]
	;;#ASMSTART
	v_dot2_f32_f16 v121, v159, v147, v121
	;;#ASMEND
	;;#ASMSTART
	v_dot2_f32_f16 v121, v160, v148, v121
	;;#ASMEND
	;; [unrolled: 3-line block ×12, first 2 shown]
	s_waitcnt lgkmcnt(1)
	;;#ASMSTART
	v_dot2_f32_f16 v124, v163, v143, v124
	;;#ASMEND
	;;#ASMSTART
	v_dot2_f32_f16 v124, v164, v144, v124
	;;#ASMEND
	;; [unrolled: 3-line block ×16, first 2 shown]
	s_waitcnt lgkmcnt(0)
	;;#ASMSTART
	v_dot2_f32_f16 v128, v167, v143, v128
	;;#ASMEND
	;;#ASMSTART
	v_dot2_f32_f16 v128, v168, v144, v128
	;;#ASMEND
	;; [unrolled: 3-line block ×16, first 2 shown]
	ds_load_b128 v[139:142], v75 offset:32
	ds_load_b128 v[143:146], v76 offset:32
	;; [unrolled: 1-line block ×8, first 2 shown]
	s_waitcnt lgkmcnt(6)
	;;#ASMSTART
	v_dot2_f32_f16 v116, v139, v143, v116
	;;#ASMEND
	;;#ASMSTART
	v_dot2_f32_f16 v116, v140, v144, v116
	;;#ASMEND
	;;#ASMSTART
	v_dot2_f32_f16 v116, v141, v145, v116
	;;#ASMEND
	;;#ASMSTART
	v_dot2_f32_f16 v116, v142, v146, v116
	;;#ASMEND
	s_waitcnt lgkmcnt(5)
	;;#ASMSTART
	v_dot2_f32_f16 v117, v139, v147, v117
	;;#ASMEND
	;;#ASMSTART
	v_dot2_f32_f16 v117, v140, v148, v117
	;;#ASMEND
	;;#ASMSTART
	v_dot2_f32_f16 v117, v141, v149, v117
	;;#ASMEND
	;;#ASMSTART
	v_dot2_f32_f16 v117, v142, v150, v117
	;;#ASMEND
	;; [unrolled: 13-line block ×5, first 2 shown]
	;;#ASMSTART
	v_dot2_f32_f16 v121, v159, v147, v121
	;;#ASMEND
	;;#ASMSTART
	v_dot2_f32_f16 v121, v160, v148, v121
	;;#ASMEND
	;; [unrolled: 3-line block ×12, first 2 shown]
	s_waitcnt lgkmcnt(1)
	;;#ASMSTART
	v_dot2_f32_f16 v124, v163, v143, v124
	;;#ASMEND
	;;#ASMSTART
	v_dot2_f32_f16 v124, v164, v144, v124
	;;#ASMEND
	;; [unrolled: 3-line block ×16, first 2 shown]
	s_waitcnt lgkmcnt(0)
	;;#ASMSTART
	v_dot2_f32_f16 v128, v167, v143, v128
	;;#ASMEND
	;;#ASMSTART
	v_dot2_f32_f16 v128, v168, v144, v128
	;;#ASMEND
	;; [unrolled: 3-line block ×16, first 2 shown]
	ds_load_b128 v[139:142], v75 offset:48
	ds_load_b128 v[143:146], v76 offset:48
	ds_load_b128 v[147:150], v76 offset:176
	ds_load_b128 v[151:154], v76 offset:304
	ds_load_b128 v[155:158], v76 offset:432
	ds_load_b128 v[159:162], v75 offset:4656
	ds_load_b128 v[163:166], v75 offset:9264
	ds_load_b128 v[167:170], v75 offset:13872
	s_waitcnt lgkmcnt(6)
	;;#ASMSTART
	v_dot2_f32_f16 v116, v139, v143, v116
	;;#ASMEND
	;;#ASMSTART
	v_dot2_f32_f16 v116, v140, v144, v116
	;;#ASMEND
	;;#ASMSTART
	v_dot2_f32_f16 v116, v141, v145, v116
	;;#ASMEND
	;;#ASMSTART
	v_dot2_f32_f16 v116, v142, v146, v116
	;;#ASMEND
	s_waitcnt lgkmcnt(5)
	;;#ASMSTART
	v_dot2_f32_f16 v117, v139, v147, v117
	;;#ASMEND
	;;#ASMSTART
	v_dot2_f32_f16 v117, v140, v148, v117
	;;#ASMEND
	;;#ASMSTART
	v_dot2_f32_f16 v117, v141, v149, v117
	;;#ASMEND
	;;#ASMSTART
	v_dot2_f32_f16 v117, v142, v150, v117
	;;#ASMEND
	s_waitcnt lgkmcnt(4)
	;;#ASMSTART
	v_dot2_f32_f16 v118, v139, v151, v118
	;;#ASMEND
	;;#ASMSTART
	v_dot2_f32_f16 v118, v140, v152, v118
	;;#ASMEND
	;;#ASMSTART
	v_dot2_f32_f16 v118, v141, v153, v118
	;;#ASMEND
	;;#ASMSTART
	v_dot2_f32_f16 v118, v142, v154, v118
	;;#ASMEND
	s_waitcnt lgkmcnt(3)
	;;#ASMSTART
	v_dot2_f32_f16 v119, v139, v155, v119
	;;#ASMEND
	;;#ASMSTART
	v_dot2_f32_f16 v119, v140, v156, v119
	;;#ASMEND
	;;#ASMSTART
	v_dot2_f32_f16 v119, v141, v157, v119
	;;#ASMEND
	;;#ASMSTART
	v_dot2_f32_f16 v119, v142, v158, v119
	;;#ASMEND
	s_waitcnt lgkmcnt(2)
	;;#ASMSTART
	v_dot2_f32_f16 v120, v159, v143, v120
	;;#ASMEND
	;;#ASMSTART
	v_dot2_f32_f16 v120, v160, v144, v120
	;;#ASMEND
	;;#ASMSTART
	v_dot2_f32_f16 v120, v161, v145, v120
	;;#ASMEND
	;;#ASMSTART
	v_dot2_f32_f16 v120, v162, v146, v120
	;;#ASMEND
	;;#ASMSTART
	v_dot2_f32_f16 v121, v159, v147, v121
	;;#ASMEND
	;;#ASMSTART
	v_dot2_f32_f16 v121, v160, v148, v121
	;;#ASMEND
	;; [unrolled: 3-line block ×12, first 2 shown]
	s_waitcnt lgkmcnt(1)
	;;#ASMSTART
	v_dot2_f32_f16 v124, v163, v143, v124
	;;#ASMEND
	;;#ASMSTART
	v_dot2_f32_f16 v124, v164, v144, v124
	;;#ASMEND
	;; [unrolled: 3-line block ×16, first 2 shown]
	s_waitcnt lgkmcnt(0)
	;;#ASMSTART
	v_dot2_f32_f16 v128, v167, v143, v128
	;;#ASMEND
	;;#ASMSTART
	v_dot2_f32_f16 v128, v168, v144, v128
	;;#ASMEND
	;; [unrolled: 3-line block ×16, first 2 shown]
	ds_load_b128 v[139:142], v75 offset:64
	ds_load_b128 v[143:146], v76 offset:64
	;; [unrolled: 1-line block ×8, first 2 shown]
	s_waitcnt lgkmcnt(6)
	;;#ASMSTART
	v_dot2_f32_f16 v116, v139, v143, v116
	;;#ASMEND
	;;#ASMSTART
	v_dot2_f32_f16 v116, v140, v144, v116
	;;#ASMEND
	;;#ASMSTART
	v_dot2_f32_f16 v116, v141, v145, v116
	;;#ASMEND
	;;#ASMSTART
	v_dot2_f32_f16 v116, v142, v146, v116
	;;#ASMEND
	s_waitcnt lgkmcnt(5)
	;;#ASMSTART
	v_dot2_f32_f16 v117, v139, v147, v117
	;;#ASMEND
	;;#ASMSTART
	v_dot2_f32_f16 v117, v140, v148, v117
	;;#ASMEND
	;;#ASMSTART
	v_dot2_f32_f16 v117, v141, v149, v117
	;;#ASMEND
	;;#ASMSTART
	v_dot2_f32_f16 v117, v142, v150, v117
	;;#ASMEND
	s_waitcnt lgkmcnt(4)
	;;#ASMSTART
	v_dot2_f32_f16 v118, v139, v151, v118
	;;#ASMEND
	;;#ASMSTART
	v_dot2_f32_f16 v118, v140, v152, v118
	;;#ASMEND
	;;#ASMSTART
	v_dot2_f32_f16 v118, v141, v153, v118
	;;#ASMEND
	;;#ASMSTART
	v_dot2_f32_f16 v118, v142, v154, v118
	;;#ASMEND
	s_waitcnt lgkmcnt(3)
	;;#ASMSTART
	v_dot2_f32_f16 v119, v139, v155, v119
	;;#ASMEND
	;;#ASMSTART
	v_dot2_f32_f16 v119, v140, v156, v119
	;;#ASMEND
	;;#ASMSTART
	v_dot2_f32_f16 v119, v141, v157, v119
	;;#ASMEND
	;;#ASMSTART
	v_dot2_f32_f16 v119, v142, v158, v119
	;;#ASMEND
	s_waitcnt lgkmcnt(2)
	;;#ASMSTART
	v_dot2_f32_f16 v120, v159, v143, v120
	;;#ASMEND
	;;#ASMSTART
	v_dot2_f32_f16 v120, v160, v144, v120
	;;#ASMEND
	;;#ASMSTART
	v_dot2_f32_f16 v120, v161, v145, v120
	;;#ASMEND
	;;#ASMSTART
	v_dot2_f32_f16 v120, v162, v146, v120
	;;#ASMEND
	;;#ASMSTART
	v_dot2_f32_f16 v121, v159, v147, v121
	;;#ASMEND
	;;#ASMSTART
	v_dot2_f32_f16 v121, v160, v148, v121
	;;#ASMEND
	;; [unrolled: 3-line block ×12, first 2 shown]
	s_waitcnt lgkmcnt(1)
	;;#ASMSTART
	v_dot2_f32_f16 v124, v163, v143, v124
	;;#ASMEND
	;;#ASMSTART
	v_dot2_f32_f16 v124, v164, v144, v124
	;;#ASMEND
	;; [unrolled: 3-line block ×16, first 2 shown]
	s_waitcnt lgkmcnt(0)
	;;#ASMSTART
	v_dot2_f32_f16 v128, v167, v143, v128
	;;#ASMEND
	;;#ASMSTART
	v_dot2_f32_f16 v128, v168, v144, v128
	;;#ASMEND
	;; [unrolled: 3-line block ×16, first 2 shown]
	ds_load_b128 v[139:142], v75 offset:80
	ds_load_b128 v[143:146], v76 offset:80
	;; [unrolled: 1-line block ×8, first 2 shown]
	s_waitcnt lgkmcnt(6)
	;;#ASMSTART
	v_dot2_f32_f16 v116, v139, v143, v116
	;;#ASMEND
	;;#ASMSTART
	v_dot2_f32_f16 v116, v140, v144, v116
	;;#ASMEND
	;;#ASMSTART
	v_dot2_f32_f16 v116, v141, v145, v116
	;;#ASMEND
	;;#ASMSTART
	v_dot2_f32_f16 v116, v142, v146, v116
	;;#ASMEND
	s_waitcnt lgkmcnt(5)
	;;#ASMSTART
	v_dot2_f32_f16 v117, v139, v147, v117
	;;#ASMEND
	;;#ASMSTART
	v_dot2_f32_f16 v117, v140, v148, v117
	;;#ASMEND
	;;#ASMSTART
	v_dot2_f32_f16 v117, v141, v149, v117
	;;#ASMEND
	;;#ASMSTART
	v_dot2_f32_f16 v117, v142, v150, v117
	;;#ASMEND
	;; [unrolled: 13-line block ×5, first 2 shown]
	;;#ASMSTART
	v_dot2_f32_f16 v121, v159, v147, v121
	;;#ASMEND
	;;#ASMSTART
	v_dot2_f32_f16 v121, v160, v148, v121
	;;#ASMEND
	;; [unrolled: 3-line block ×12, first 2 shown]
	s_waitcnt lgkmcnt(1)
	;;#ASMSTART
	v_dot2_f32_f16 v124, v163, v143, v124
	;;#ASMEND
	;;#ASMSTART
	v_dot2_f32_f16 v124, v164, v144, v124
	;;#ASMEND
	;; [unrolled: 3-line block ×16, first 2 shown]
	s_waitcnt lgkmcnt(0)
	;;#ASMSTART
	v_dot2_f32_f16 v128, v167, v143, v128
	;;#ASMEND
	;;#ASMSTART
	v_dot2_f32_f16 v128, v168, v144, v128
	;;#ASMEND
	;; [unrolled: 3-line block ×16, first 2 shown]
	ds_load_b128 v[139:142], v75 offset:96
	ds_load_b128 v[143:146], v76 offset:96
	;; [unrolled: 1-line block ×8, first 2 shown]
	s_waitcnt lgkmcnt(6)
	;;#ASMSTART
	v_dot2_f32_f16 v116, v139, v143, v116
	;;#ASMEND
	;;#ASMSTART
	v_dot2_f32_f16 v116, v140, v144, v116
	;;#ASMEND
	;;#ASMSTART
	v_dot2_f32_f16 v116, v141, v145, v116
	;;#ASMEND
	;;#ASMSTART
	v_dot2_f32_f16 v116, v142, v146, v116
	;;#ASMEND
	s_waitcnt lgkmcnt(5)
	;;#ASMSTART
	v_dot2_f32_f16 v117, v139, v147, v117
	;;#ASMEND
	;;#ASMSTART
	v_dot2_f32_f16 v117, v140, v148, v117
	;;#ASMEND
	;;#ASMSTART
	v_dot2_f32_f16 v117, v141, v149, v117
	;;#ASMEND
	;;#ASMSTART
	v_dot2_f32_f16 v117, v142, v150, v117
	;;#ASMEND
	;; [unrolled: 13-line block ×5, first 2 shown]
	;;#ASMSTART
	v_dot2_f32_f16 v121, v159, v147, v121
	;;#ASMEND
	;;#ASMSTART
	v_dot2_f32_f16 v121, v160, v148, v121
	;;#ASMEND
	;; [unrolled: 3-line block ×12, first 2 shown]
	s_waitcnt lgkmcnt(1)
	;;#ASMSTART
	v_dot2_f32_f16 v124, v163, v143, v124
	;;#ASMEND
	;;#ASMSTART
	v_dot2_f32_f16 v124, v164, v144, v124
	;;#ASMEND
	;; [unrolled: 3-line block ×16, first 2 shown]
	s_waitcnt lgkmcnt(0)
	;;#ASMSTART
	v_dot2_f32_f16 v128, v167, v143, v128
	;;#ASMEND
	;;#ASMSTART
	v_dot2_f32_f16 v128, v168, v144, v128
	;;#ASMEND
	;; [unrolled: 3-line block ×16, first 2 shown]
	ds_load_b128 v[139:142], v75 offset:112
	ds_load_b128 v[143:146], v76 offset:112
	;; [unrolled: 1-line block ×8, first 2 shown]
	s_waitcnt lgkmcnt(6)
	;;#ASMSTART
	v_dot2_f32_f16 v116, v139, v143, v116
	;;#ASMEND
	;;#ASMSTART
	v_dot2_f32_f16 v116, v140, v144, v116
	;;#ASMEND
	;;#ASMSTART
	v_dot2_f32_f16 v116, v141, v145, v116
	;;#ASMEND
	;;#ASMSTART
	v_dot2_f32_f16 v116, v142, v146, v116
	;;#ASMEND
	s_waitcnt lgkmcnt(5)
	;;#ASMSTART
	v_dot2_f32_f16 v117, v139, v147, v117
	;;#ASMEND
	;;#ASMSTART
	v_dot2_f32_f16 v117, v140, v148, v117
	;;#ASMEND
	;;#ASMSTART
	v_dot2_f32_f16 v117, v141, v149, v117
	;;#ASMEND
	;;#ASMSTART
	v_dot2_f32_f16 v117, v142, v150, v117
	;;#ASMEND
	s_waitcnt lgkmcnt(4)
	;;#ASMSTART
	v_dot2_f32_f16 v118, v139, v151, v118
	;;#ASMEND
	;;#ASMSTART
	v_dot2_f32_f16 v118, v140, v152, v118
	;;#ASMEND
	;;#ASMSTART
	v_dot2_f32_f16 v118, v141, v153, v118
	;;#ASMEND
	;;#ASMSTART
	v_dot2_f32_f16 v118, v142, v154, v118
	;;#ASMEND
	s_waitcnt lgkmcnt(3)
	;;#ASMSTART
	v_dot2_f32_f16 v119, v139, v155, v119
	;;#ASMEND
	;;#ASMSTART
	v_dot2_f32_f16 v119, v140, v156, v119
	;;#ASMEND
	;;#ASMSTART
	v_dot2_f32_f16 v119, v141, v157, v119
	;;#ASMEND
	;;#ASMSTART
	v_dot2_f32_f16 v119, v142, v158, v119
	;;#ASMEND
	s_waitcnt lgkmcnt(2)
	;;#ASMSTART
	v_dot2_f32_f16 v120, v159, v143, v120
	;;#ASMEND
	;;#ASMSTART
	v_dot2_f32_f16 v120, v160, v144, v120
	;;#ASMEND
	;;#ASMSTART
	v_dot2_f32_f16 v120, v161, v145, v120
	;;#ASMEND
	;;#ASMSTART
	v_dot2_f32_f16 v120, v162, v146, v120
	;;#ASMEND
	;;#ASMSTART
	v_dot2_f32_f16 v121, v159, v147, v121
	;;#ASMEND
	;;#ASMSTART
	v_dot2_f32_f16 v121, v160, v148, v121
	;;#ASMEND
	;; [unrolled: 3-line block ×12, first 2 shown]
	s_waitcnt lgkmcnt(1)
	;;#ASMSTART
	v_dot2_f32_f16 v124, v163, v143, v124
	;;#ASMEND
	;;#ASMSTART
	v_dot2_f32_f16 v124, v164, v144, v124
	;;#ASMEND
	;; [unrolled: 3-line block ×16, first 2 shown]
	s_waitcnt lgkmcnt(0)
	;;#ASMSTART
	v_dot2_f32_f16 v128, v167, v143, v128
	;;#ASMEND
	;;#ASMSTART
	v_dot2_f32_f16 v128, v168, v144, v128
	;;#ASMEND
	;; [unrolled: 3-line block ×16, first 2 shown]
	s_clause 0x7
	flat_load_u16 v166, v[50:51]
	flat_load_u16 v167, v[50:51] offset:64
	flat_load_u16 v168, v[50:51] offset:128
	;; [unrolled: 1-line block ×3, first 2 shown]
	flat_load_u16 v51, v[48:49]
	flat_load_u16 v169, v[48:49] offset:64
	flat_load_u16 v170, v[48:49] offset:128
	;; [unrolled: 1-line block ×3, first 2 shown]
	s_waitcnt vmcnt(0) lgkmcnt(0)
	s_barrier
	buffer_gl0_inv
	s_clause 0x7
	global_load_b128 v[46:49], v[46:47], off
	global_load_b128 v[138:141], v[2:3], off
	;; [unrolled: 1-line block ×8, first 2 shown]
	v_cvt_f32_f16_e64 v0, v166
	v_cvt_f32_f16_e64 v1, v167
	;; [unrolled: 1-line block ×3, first 2 shown]
	v_cvt_f32_f16_e32 v3, v50
	v_cvt_f32_f16_e32 v36, v51
	v_cvt_f32_f16_e64 v37, v169
	s_delay_alu instid0(VALU_DEP_4)
	v_dual_add_f32 v40, v120, v1 :: v_dual_add_f32 v43, v125, v2
	v_cvt_f32_f16_e64 v39, v171
	v_add_f32_e32 v51, v116, v0
	v_dual_add_f32 v41, v124, v2 :: v_dual_add_f32 v50, v117, v0
	v_add_f32_e32 v42, v121, v1
	v_add_f32_e32 v44, v122, v37
	;; [unrolled: 1-line block ×3, first 2 shown]
	v_dual_add_f32 v117, v128, v3 :: v_dual_add_f32 v0, 0x40051340, v40
	v_add_f32_e32 v119, v119, v36
	v_add_f32_e32 v36, v118, v36
	;; [unrolled: 1-line block ×3, first 2 shown]
	v_dual_add_f32 v120, 0x40051340, v51 :: v_dual_add_f32 v1, 0x40051340, v42
	v_dual_add_f32 v122, 0x40051340, v41 :: v_dual_add_f32 v121, 0x40051340, v50
	v_add_f32_e32 v124, 0x40051340, v117
	s_delay_alu instid0(VALU_DEP_3) | instskip(SKIP_3) | instid1(VALU_DEP_4)
	v_max3_f32 v0, v115, v120, v0
	v_cvt_f32_f16_e64 v38, v170
	v_add_f32_e32 v116, v129, v3
	v_dual_add_f32 v39, v130, v39 :: v_dual_add_f32 v2, 0x40051340, v44
	v_max3_f32 v0, v0, v122, v124
	s_delay_alu instid0(VALU_DEP_4)
	v_add_f32_e32 v45, v126, v38
	v_dual_add_f32 v3, 0x40051340, v37 :: v_dual_add_f32 v126, 0x40051340, v36
	v_add_f32_e32 v38, v127, v38
	ds_bpermute_b32 v120, v137, v0
	v_dual_add_f32 v123, 0x40051340, v43 :: v_dual_add_f32 v128, 0x40051340, v45
	v_dual_add_f32 v125, 0x40051340, v116 :: v_dual_add_f32 v130, 0x40051340, v39
	v_add_f32_e32 v127, 0x40051340, v119
	v_max3_f32 v2, v113, v126, v2
	v_max3_f32 v1, v114, v121, v1
	s_delay_alu instid0(VALU_DEP_2) | instskip(NEXT) | instid1(VALU_DEP_2)
	v_max3_f32 v2, v2, v128, v130
	v_max3_f32 v1, v1, v123, v125
	ds_bpermute_b32 v123, v137, v2
	ds_bpermute_b32 v121, v137, v1
	s_waitcnt lgkmcnt(2)
	v_dual_max_f32 v120, v120, v120 :: v_dual_add_f32 v129, 0x40051340, v38
	v_max3_f32 v3, v112, v127, v3
	s_delay_alu instid0(VALU_DEP_2) | instskip(SKIP_3) | instid1(VALU_DEP_1)
	v_max_f32_e32 v0, v0, v120
	ds_bpermute_b32 v120, v136, v0
	s_waitcnt lgkmcnt(0)
	v_dual_max_f32 v123, v123, v123 :: v_dual_max_f32 v120, v120, v120
	v_dual_add_f32 v131, 0x40051340, v118 :: v_dual_max_f32 v2, v2, v123
	s_delay_alu instid0(VALU_DEP_2) | instskip(NEXT) | instid1(VALU_DEP_2)
	v_max_f32_e32 v0, v0, v120
	v_max3_f32 v3, v3, v129, v131
	ds_bpermute_b32 v123, v136, v2
	ds_bpermute_b32 v120, v135, v0
	;; [unrolled: 1-line block ×3, first 2 shown]
	v_max_f32_e32 v121, v121, v121
	s_waitcnt lgkmcnt(1)
	v_dual_max_f32 v123, v123, v123 :: v_dual_max_f32 v120, v120, v120
	s_waitcnt lgkmcnt(0)
	v_max_f32_e32 v122, v122, v122
	s_delay_alu instid0(VALU_DEP_2) | instskip(NEXT) | instid1(VALU_DEP_2)
	v_max_f32_e32 v2, v2, v123
	v_dual_max_f32 v0, v0, v120 :: v_dual_max_f32 v3, v3, v122
	ds_bpermute_b32 v123, v135, v2
	ds_bpermute_b32 v120, v134, v0
	ds_bpermute_b32 v122, v136, v3
	v_max_f32_e32 v1, v1, v121
	s_waitcnt lgkmcnt(1)
	v_dual_max_f32 v123, v123, v123 :: v_dual_max_f32 v120, v120, v120
	s_waitcnt lgkmcnt(0)
	v_max_f32_e32 v122, v122, v122
	ds_bpermute_b32 v121, v136, v1
	v_max_f32_e32 v2, v2, v123
	v_dual_max_f32 v0, v0, v120 :: v_dual_max_f32 v3, v3, v122
	ds_bpermute_b32 v123, v134, v2
	ds_bpermute_b32 v120, v133, v0
	;; [unrolled: 1-line block ×3, first 2 shown]
	s_waitcnt lgkmcnt(3)
	v_max_f32_e32 v121, v121, v121
	s_delay_alu instid0(VALU_DEP_1)
	v_max_f32_e32 v1, v1, v121
	s_waitcnt lgkmcnt(1)
	v_dual_max_f32 v123, v123, v123 :: v_dual_max_f32 v120, v120, v120
	s_waitcnt lgkmcnt(0)
	v_max_f32_e32 v122, v122, v122
	ds_bpermute_b32 v121, v135, v1
	v_max_f32_e32 v2, v2, v123
	v_dual_max_f32 v0, v0, v120 :: v_dual_max_f32 v3, v3, v122
	ds_bpermute_b32 v123, v133, v2
	v_sub_f32_e32 v40, v40, v0
	ds_bpermute_b32 v122, v134, v3
	v_mul_f32_e32 v120, 0x3fb8aa3b, v40
	v_cmp_ngt_f32_e64 s21, 0xc2ce8ed0, v40
	s_delay_alu instid0(VALU_DEP_2) | instskip(SKIP_2) | instid1(VALU_DEP_1)
	v_fma_f32 v169, 0x3fb8aa3b, v40, -v120
	v_rndne_f32_e32 v170, v120
	s_waitcnt lgkmcnt(2)
	v_dual_max_f32 v121, v121, v121 :: v_dual_sub_f32 v120, v120, v170
	s_delay_alu instid0(VALU_DEP_1)
	v_max_f32_e32 v1, v1, v121
	s_waitcnt lgkmcnt(1)
	v_max_f32_e32 v123, v123, v123
	v_cvt_i32_f32_e32 v170, v170
	s_waitcnt lgkmcnt(0)
	v_max_f32_e32 v122, v122, v122
	ds_bpermute_b32 v121, v134, v1
	v_dual_max_f32 v2, v2, v123 :: v_dual_sub_f32 v117, v117, v0
	v_max_f32_e32 v3, v3, v122
	s_delay_alu instid0(VALU_DEP_2) | instskip(SKIP_1) | instid1(VALU_DEP_4)
	v_sub_f32_e32 v44, v44, v2
	v_sub_f32_e32 v36, v36, v2
	v_mul_f32_e32 v124, 0x3fb8aa3b, v117
	ds_bpermute_b32 v122, v133, v3
	v_cmp_ngt_f32_e64 s4, 0xc2ce8ed0, v117
	v_mul_f32_e32 v130, 0x3fb8aa3b, v44
	v_cmp_ngt_f32_e64 s10, 0xc2ce8ed0, v44
	v_fma_f32 v177, 0x3fb8aa3b, v117, -v124
	v_rndne_f32_e32 v178, v124
	v_fmac_f32_e32 v169, 0x32a5705f, v40
	v_fma_f32 v189, 0x3fb8aa3b, v44, -v130
	v_rndne_f32_e32 v190, v130
	v_cmp_ngt_f32_e64 s12, 0xc2ce8ed0, v36
	s_waitcnt lgkmcnt(1)
	v_dual_sub_f32 v124, v124, v178 :: v_dual_max_f32 v121, v121, v121
	v_add_f32_e32 v120, v120, v169
	v_sub_f32_e32 v130, v130, v190
	v_cvt_i32_f32_e32 v178, v178
	v_cvt_i32_f32_e32 v190, v190
	v_max_f32_e32 v1, v1, v121
	v_exp_f32_e32 v120, v120
	s_waitcnt lgkmcnt(0)
	v_max_f32_e32 v122, v122, v122
	ds_bpermute_b32 v121, v133, v1
	v_mul_f32_e32 v133, 0x3fb8aa3b, v36
	v_ldexp_f32 v120, v120, v170
	s_delay_alu instid0(VALU_DEP_2) | instskip(SKIP_1) | instid1(VALU_DEP_3)
	v_fma_f32 v193, 0x3fb8aa3b, v36, -v133
	v_rndne_f32_e32 v194, v133
	v_cndmask_b32_e64 v120, 0, v120, s21
	v_cmp_nlt_f32_e64 s21, 0x42b17218, v40
	s_waitcnt lgkmcnt(0)
	v_max_f32_e32 v121, v121, v121
	s_delay_alu instid0(VALU_DEP_1) | instskip(SKIP_3) | instid1(VALU_DEP_4)
	v_max_f32_e32 v1, v1, v121
	v_max_f32_e32 v3, v3, v122
	v_sub_f32_e32 v115, v115, v0
	v_sub_f32_e32 v41, v41, v0
	v_dual_sub_f32 v51, v51, v0 :: v_dual_sub_f32 v42, v42, v1
	v_dual_sub_f32 v50, v50, v1 :: v_dual_sub_f32 v113, v113, v2
	v_sub_f32_e32 v38, v38, v3
	v_dual_sub_f32 v119, v119, v3 :: v_dual_sub_f32 v114, v114, v1
	v_dual_sub_f32 v43, v43, v1 :: v_dual_sub_f32 v112, v112, v3
	;; [unrolled: 1-line block ×3, first 2 shown]
	v_dual_mul_f32 v123, 0x3fb8aa3b, v41 :: v_dual_mul_f32 v126, 0x3fb8aa3b, v42
	v_mul_f32_e32 v125, 0x3fb8aa3b, v115
	v_dual_mul_f32 v131, 0x3fb8aa3b, v119 :: v_dual_mul_f32 v166, 0x3fb8aa3b, v38
	v_dual_sub_f32 v45, v45, v2 :: v_dual_sub_f32 v118, v118, v3
	v_dual_sub_f32 v39, v39, v2 :: v_dual_mul_f32 v122, 0x3fb8aa3b, v51
	v_dual_mul_f32 v121, 0x3fb8aa3b, v50 :: v_dual_mul_f32 v128, 0x3fb8aa3b, v116
	s_delay_alu instid0(VALU_DEP_3)
	v_dual_mul_f32 v127, 0x3fb8aa3b, v43 :: v_dual_mul_f32 v134, 0x3fb8aa3b, v45
	v_fma_f32 v175, 0x3fb8aa3b, v41, -v123
	v_fma_f32 v203, 0x3fb8aa3b, v38, -v166
	v_rndne_f32_e32 v204, v166
	v_dual_mul_f32 v129, 0x3fb8aa3b, v114 :: v_dual_mul_f32 v136, 0x3fb8aa3b, v113
	v_dual_mul_f32 v135, 0x3fb8aa3b, v39 :: v_dual_mul_f32 v168, 0x3fb8aa3b, v112
	v_fma_f32 v171, 0x3fb8aa3b, v50, -v121
	v_rndne_f32_e32 v172, v121
	v_fma_f32 v173, 0x3fb8aa3b, v51, -v122
	v_rndne_f32_e32 v174, v122
	v_rndne_f32_e32 v176, v123
	v_fma_f32 v179, 0x3fb8aa3b, v115, -v125
	v_rndne_f32_e32 v180, v125
	v_fma_f32 v181, 0x3fb8aa3b, v42, -v126
	;; [unrolled: 2-line block ×4, first 2 shown]
	v_rndne_f32_e32 v186, v128
	v_fmac_f32_e32 v175, 0x32a5705f, v41
	v_dual_fmac_f32 v177, 0x32a5705f, v117 :: v_dual_sub_f32 v166, v166, v204
	v_fmac_f32_e32 v203, 0x32a5705f, v38
	v_fmac_f32_e32 v189, 0x32a5705f, v44
	v_dual_mul_f32 v137, 0x3fb8aa3b, v37 :: v_dual_sub_f32 v122, v122, v174
	v_rndne_f32_e32 v200, v136
	v_rndne_f32_e32 v208, v168
	v_fmac_f32_e32 v171, 0x32a5705f, v50
	v_dual_sub_f32 v121, v121, v172 :: v_dual_sub_f32 v126, v126, v182
	v_dual_fmac_f32 v173, 0x32a5705f, v51 :: v_dual_sub_f32 v128, v128, v186
	v_sub_f32_e32 v123, v123, v176
	v_fmac_f32_e32 v179, 0x32a5705f, v115
	s_delay_alu instid0(VALU_DEP_3)
	v_dual_sub_f32 v125, v125, v180 :: v_dual_add_f32 v122, v122, v173
	v_dual_fmac_f32 v181, 0x32a5705f, v42 :: v_dual_add_f32 v124, v124, v177
	v_fmac_f32_e32 v183, 0x32a5705f, v43
	v_dual_add_f32 v166, v166, v203 :: v_dual_fmac_f32 v185, 0x32a5705f, v116
	v_dual_add_f32 v130, v130, v189 :: v_dual_sub_f32 v127, v127, v184
	v_fma_f32 v199, 0x3fb8aa3b, v113, -v136
	v_fma_f32 v207, 0x3fb8aa3b, v112, -v168
	s_delay_alu instid0(VALU_DEP_4)
	v_add_f32_e32 v128, v128, v185
	v_sub_f32_e32 v136, v136, v200
	v_dual_sub_f32 v168, v168, v208 :: v_dual_add_f32 v121, v121, v171
	v_add_f32_e32 v123, v123, v175
	v_dual_add_f32 v125, v125, v179 :: v_dual_add_f32 v126, v126, v181
	v_add_f32_e32 v127, v127, v183
	s_delay_alu instid0(VALU_DEP_4)
	v_exp_f32_e32 v121, v121
	v_exp_f32_e32 v122, v122
	;; [unrolled: 1-line block ×8, first 2 shown]
	v_cvt_i32_f32_e32 v172, v172
	v_cvt_i32_f32_e32 v174, v174
	;; [unrolled: 1-line block ×7, first 2 shown]
	v_rndne_f32_e32 v196, v134
	v_mul_f32_e32 v167, 0x3fb8aa3b, v118
	v_ldexp_f32 v121, v121, v172
	v_cmp_ngt_f32_e32 vcc_lo, 0xc2ce8ed0, v50
	v_ldexp_f32 v122, v122, v174
	v_cmp_ngt_f32_e64 s2, 0xc2ce8ed0, v51
	v_ldexp_f32 v123, v123, v176
	v_cmp_ngt_f32_e64 s3, 0xc2ce8ed0, v41
	v_ldexp_f32 v124, v124, v178
	v_ldexp_f32 v125, v125, v180
	v_cmp_ngt_f32_e64 s5, 0xc2ce8ed0, v115
	v_ldexp_f32 v126, v126, v182
	v_cmp_ngt_f32_e64 s6, 0xc2ce8ed0, v42
	;; [unrolled: 2-line block ×4, first 2 shown]
	v_fma_f32 v195, 0x3fb8aa3b, v45, -v134
	v_sub_f32_e32 v134, v134, v196
	v_fma_f32 v197, 0x3fb8aa3b, v39, -v135
	v_rndne_f32_e32 v198, v135
	v_fma_f32 v201, 0x3fb8aa3b, v37, -v137
	v_rndne_f32_e32 v202, v137
	v_fma_f32 v205, 0x3fb8aa3b, v118, -v167
	v_rndne_f32_e32 v206, v167
	v_cndmask_b32_e32 v121, 0, v121, vcc_lo
	v_cmp_nlt_f32_e32 vcc_lo, 0x42b17218, v50
	v_cndmask_b32_e64 v50, 0, v122, s2
	v_cmp_nlt_f32_e64 s2, 0x42b17218, v51
	v_cndmask_b32_e64 v51, 0, v123, s3
	v_cmp_nlt_f32_e64 s3, 0x42b17218, v41
	;; [unrolled: 2-line block ×7, first 2 shown]
	v_fma_f32 v187, 0x3fb8aa3b, v114, -v129
	v_rndne_f32_e32 v188, v129
	v_rndne_f32_e32 v192, v131
	v_fmac_f32_e32 v195, 0x32a5705f, v45
	v_fmac_f32_e32 v197, 0x32a5705f, v39
	v_sub_f32_e32 v135, v135, v198
	v_fmac_f32_e32 v201, 0x32a5705f, v37
	v_sub_f32_e32 v137, v137, v202
	;; [unrolled: 2-line block ×3, first 2 shown]
	v_fmac_f32_e32 v207, 0x32a5705f, v112
	v_cndmask_b32_e64 v123, 0x7f800000, v41, s4
	v_cndmask_b32_e64 v41, 0x7f800000, v117, s5
	;; [unrolled: 1-line block ×3, first 2 shown]
	v_fmac_f32_e32 v199, 0x32a5705f, v113
	v_fma_f32 v191, 0x3fb8aa3b, v119, -v131
	v_dual_fmac_f32 v187, 0x32a5705f, v114 :: v_dual_add_f32 v134, v134, v195
	s_delay_alu instid0(VALU_DEP_3)
	v_dual_sub_f32 v129, v129, v188 :: v_dual_add_f32 v136, v136, v199
	v_dual_sub_f32 v131, v131, v192 :: v_dual_add_f32 v168, v168, v207
	v_add_f32_e32 v135, v135, v197
	v_add_f32_e32 v137, v137, v201
	v_add_f32_e32 v167, v167, v205
	v_exp_f32_e32 v134, v134
	v_exp_f32_e32 v136, v136
	;; [unrolled: 1-line block ×7, first 2 shown]
	v_cvt_i32_f32_e32 v196, v196
	v_cvt_i32_f32_e32 v198, v198
	;; [unrolled: 1-line block ×7, first 2 shown]
	v_ldexp_f32 v134, v134, v196
	v_cmp_ngt_f32_e64 s13, 0xc2ce8ed0, v45
	v_ldexp_f32 v135, v135, v198
	v_cmp_ngt_f32_e64 s15, 0xc2ce8ed0, v39
	v_ldexp_f32 v136, v136, v200
	v_cmp_ngt_f32_e64 s16, 0xc2ce8ed0, v113
	v_ldexp_f32 v137, v137, v202
	v_cmp_ngt_f32_e64 s17, 0xc2ce8ed0, v37
	v_ldexp_f32 v166, v166, v204
	v_cmp_ngt_f32_e64 s18, 0xc2ce8ed0, v38
	v_ldexp_f32 v167, v167, v206
	v_cmp_ngt_f32_e64 s19, 0xc2ce8ed0, v118
	v_ldexp_f32 v168, v168, v208
	v_cmp_ngt_f32_e64 s20, 0xc2ce8ed0, v112
	v_sub_f32_e32 v133, v133, v194
	v_cndmask_b32_e64 v122, 0, v134, s13
	v_cmp_nlt_f32_e64 s13, 0x42b17218, v45
	v_cndmask_b32_e64 v45, 0, v135, s15
	v_cmp_nlt_f32_e64 s15, 0x42b17218, v39
	;; [unrolled: 2-line block ×7, first 2 shown]
	v_cndmask_b32_e64 v112, 0x7f800000, v120, s21
	v_cndmask_b32_e32 v120, 0x7f800000, v121, vcc_lo
	v_cndmask_b32_e64 v121, 0x7f800000, v51, s3
	v_cndmask_b32_e64 v51, 0x7f800000, v115, s6
	v_fmac_f32_e32 v193, 0x32a5705f, v36
	v_cndmask_b32_e64 v115, 0x7f800000, v42, s7
	v_fmac_f32_e32 v191, 0x32a5705f, v119
	v_add_f32_e32 v129, v129, v187
	v_exp_f32_e32 v130, v130
	v_add_f32_e32 v133, v133, v193
	v_cvt_i32_f32_e32 v188, v188
	v_add_f32_e32 v131, v131, v191
	v_exp_f32_e32 v129, v129
	v_cvt_i32_f32_e32 v192, v192
	v_exp_f32_e32 v133, v133
	v_cvt_i32_f32_e32 v194, v194
	v_exp_f32_e32 v131, v131
	v_cmp_ngt_f32_e64 s9, 0xc2ce8ed0, v114
	v_ldexp_f32 v130, v130, v190
	v_cmp_ngt_f32_e64 s11, 0xc2ce8ed0, v119
	v_cndmask_b32_e64 v50, 0x7f800000, v50, s2
	v_cndmask_b32_e64 v42, 0x7f800000, v39, s16
	v_ldexp_f32 v129, v129, v188
	v_cndmask_b32_e64 v39, 0x7f800000, v113, s17
	v_ldexp_f32 v133, v133, v194
	;; [unrolled: 2-line block ×3, first 2 shown]
	v_cndmask_b32_e64 v116, 0, v129, s9
	v_cmp_nlt_f32_e64 s9, 0x42b17218, v114
	v_cndmask_b32_e64 v114, 0, v130, s10
	v_cmp_nlt_f32_e64 s10, 0x42b17218, v44
	;; [unrolled: 2-line block ×4, first 2 shown]
	v_cndmask_b32_e64 v43, 0x7f800000, v114, s10
	v_cndmask_b32_e64 v36, 0x7f800000, v116, s9
	v_cndmask_b32_e64 v44, 0x7f800000, v44, s11
	v_cndmask_b32_e64 v116, 0x7f800000, v122, s13
	v_cndmask_b32_e64 v114, 0x7f800000, v119, s12
	v_cndmask_b32_e64 v119, 0x7f800000, v45, s15
	v_cndmask_b32_e64 v122, 0x7f800000, v37, s18
	v_add_f32_e32 v45, v50, v112
	v_cvt_f16_f32_e32 v112, v112
	v_cvt_f16_f32_e32 v37, v120
	v_cvt_f16_f32_e32 v50, v50
	v_add_f32_e32 v120, v120, v51
	v_cvt_f16_f32_e32 v51, v51
	v_add_f32_e32 v127, v114, v43
	v_cvt_f16_f32_e32 v43, v43
	v_cvt_f16_f32_e32 v38, v44
	;; [unrolled: 1-line block ×3, first 2 shown]
	v_add_f32_e32 v130, v44, v39
	v_cvt_f16_f32_e32 v39, v39
	v_cndmask_b32_e64 v40, 0x7f800000, v118, s20
	v_cvt_f16_f32_e32 v113, v121
	v_cvt_f16_f32_e32 v118, v123
	;; [unrolled: 1-line block ×4, first 2 shown]
	v_cvt_f16_f32_e64 v128, v116
	v_cvt_f16_f32_e64 v129, v119
	;; [unrolled: 1-line block ×4, first 2 shown]
	v_pack_b32_f16 v38, v114, v38
	v_pack_b32_f16 v37, v50, v37
	;; [unrolled: 1-line block ×8, first 2 shown]
	v_add_f32_e32 v39, v121, v45
	ds_store_2addr_b64 v89, v[37:38], v[43:44] offset1:32
	ds_store_2addr_b64 v89, v[50:51], v[112:113] offset0:64 offset1:96
	s_waitcnt vmcnt(7)
	ds_store_b128 v78, v[46:49]
	s_waitcnt vmcnt(6)
	ds_store_b128 v81, v[138:141]
	;; [unrolled: 2-line block ×8, first 2 shown]
	v_add_f32_e32 v38, v115, v120
	s_waitcnt lgkmcnt(0)
	s_barrier
	buffer_gl0_inv
	ds_load_2addr_b32 v[128:129], v59 offset1:32
	ds_load_b128 v[44:47], v80
	v_cvt_f16_f32_e64 v134, v40
	v_dual_add_f32 v43, v116, v127 :: v_dual_add_f32 v48, v122, v130
	v_cvt_f16_f32_e64 v166, v41
	v_cvt_f16_f32_e64 v167, v36
	;; [unrolled: 1-line block ×3, first 2 shown]
	v_pk_mul_f16 v108, v134, v108 op_sel_hi:[0,1]
	v_dual_add_f32 v37, v123, v39 :: v_dual_add_f32 v38, v117, v38
	v_add_f32_e32 v39, v119, v43
	v_add_f32_e32 v43, v124, v48
	ds_load_b128 v[48:51], v80 offset:16
	ds_load_b128 v[112:115], v80 offset:32
	;; [unrolled: 1-line block ×3, first 2 shown]
	ds_load_2addr_b32 v[130:131], v59 offset0:64 offset1:96
	ds_load_2addr_b32 v[133:134], v59 offset0:128 offset1:160
	ds_load_2addr_b32 v[135:136], v59 offset0:192 offset1:224
	ds_load_2addr_b32 v[137:138], v90 offset1:32
	ds_load_2addr_b32 v[139:140], v90 offset0:64 offset1:96
	ds_load_b128 v[120:123], v80 offset:64
	ds_load_b128 v[124:127], v80 offset:80
	v_dual_fmac_f32 v37, v107, v41 :: v_dual_fmac_f32 v38, v106, v36
	v_fmac_f32_e32 v39, v105, v42
	s_waitcnt lgkmcnt(10)
	v_pk_mul_f16 v141, v128, v44 op_sel_hi:[1,0]
	v_pk_mul_f16 v44, v128, v44 op_sel:[0,1]
	v_pk_mul_f16 v142, v128, v45 op_sel_hi:[1,0]
	v_pk_fma_f16 v45, v128, v45, v108 op_sel:[0,1,0]
	s_delay_alu instid0(VALU_DEP_4) | instskip(NEXT) | instid1(VALU_DEP_4)
	v_pk_fma_f16 v108, v166, v111, v141 op_sel_hi:[0,1,1]
	v_pk_fma_f16 v44, v167, v110, v44 op_sel_hi:[0,1,1]
	s_delay_alu instid0(VALU_DEP_4) | instskip(NEXT) | instid1(VALU_DEP_4)
	v_pk_fma_f16 v109, v168, v109, v142 op_sel_hi:[0,1,1]
	v_pk_fma_f16 v45, v129, v47, v45 op_sel:[0,1,0]
	ds_load_2addr_b32 v[141:142], v90 offset0:128 offset1:160
	v_pk_fma_f16 v108, v129, v46, v108 op_sel_hi:[1,0,1]
	v_pk_fma_f16 v44, v129, v46, v44 op_sel:[0,1,0]
	v_pk_fma_f16 v46, v129, v47, v109 op_sel_hi:[1,0,1]
	s_waitcnt lgkmcnt(7)
	v_pk_fma_f16 v109, v130, v49, v45 op_sel:[0,1,0]
	ds_load_2addr_b32 v[128:129], v90 offset0:192 offset1:224
	v_pk_fma_f16 v108, v130, v48, v108 op_sel_hi:[1,0,1]
	v_pk_fma_f16 v48, v130, v48, v44 op_sel:[0,1,0]
	v_pk_fma_f16 v49, v130, v49, v46 op_sel_hi:[1,0,1]
	ds_load_b128 v[44:47], v80 offset:96
	v_pk_fma_f16 v109, v131, v51, v109 op_sel:[0,1,0]
	v_pk_fma_f16 v108, v131, v50, v108 op_sel_hi:[1,0,1]
	v_pk_fma_f16 v110, v131, v50, v48 op_sel:[0,1,0]
	v_pk_fma_f16 v111, v131, v51, v49 op_sel_hi:[1,0,1]
	ds_load_b128 v[48:51], v80 offset:112
	s_waitcnt lgkmcnt(9)
	v_pk_fma_f16 v109, v133, v113, v109 op_sel:[0,1,0]
	v_pk_fma_f16 v108, v133, v112, v108 op_sel_hi:[1,0,1]
	v_pk_fma_f16 v110, v133, v112, v110 op_sel:[0,1,0]
	v_pk_fma_f16 v111, v133, v113, v111 op_sel_hi:[1,0,1]
	ds_load_2addr_b32 v[130:131], v91 offset1:32
	v_pk_fma_f16 v109, v134, v115, v109 op_sel:[0,1,0]
	v_pk_fma_f16 v108, v134, v114, v108 op_sel_hi:[1,0,1]
	v_pk_fma_f16 v110, v134, v114, v110 op_sel:[0,1,0]
	v_pk_fma_f16 v111, v134, v115, v111 op_sel_hi:[1,0,1]
	ds_load_2addr_b32 v[133:134], v91 offset0:64 offset1:96
	s_waitcnt lgkmcnt(10)
	v_pk_fma_f16 v112, v135, v117, v109 op_sel:[0,1,0]
	v_pk_fma_f16 v113, v135, v116, v108 op_sel_hi:[1,0,1]
	v_pk_fma_f16 v114, v135, v116, v110 op_sel:[0,1,0]
	v_pk_fma_f16 v115, v135, v117, v111 op_sel_hi:[1,0,1]
	ds_load_b128 v[108:111], v80 offset:128
	v_pk_fma_f16 v116, v136, v119, v112 op_sel:[0,1,0]
	v_pk_fma_f16 v117, v136, v118, v113 op_sel_hi:[1,0,1]
	v_pk_fma_f16 v118, v136, v118, v114 op_sel:[0,1,0]
	v_pk_fma_f16 v119, v136, v119, v115 op_sel_hi:[1,0,1]
	ds_load_b128 v[112:115], v80 offset:144
	s_waitcnt lgkmcnt(9)
	v_pk_fma_f16 v116, v137, v121, v116 op_sel:[0,1,0]
	v_pk_fma_f16 v117, v137, v120, v117 op_sel_hi:[1,0,1]
	v_pk_fma_f16 v118, v137, v120, v118 op_sel:[0,1,0]
	v_pk_fma_f16 v119, v137, v121, v119 op_sel_hi:[1,0,1]
	ds_load_2addr_b32 v[135:136], v91 offset0:128 offset1:160
	v_pk_fma_f16 v116, v138, v123, v116 op_sel:[0,1,0]
	v_pk_fma_f16 v117, v138, v122, v117 op_sel_hi:[1,0,1]
	v_pk_fma_f16 v118, v138, v122, v118 op_sel:[0,1,0]
	v_pk_fma_f16 v119, v138, v123, v119 op_sel_hi:[1,0,1]
	ds_load_2addr_b32 v[137:138], v91 offset0:192 offset1:224
	s_waitcnt lgkmcnt(10)
	v_pk_fma_f16 v120, v139, v125, v116 op_sel:[0,1,0]
	v_pk_fma_f16 v121, v139, v124, v117 op_sel_hi:[1,0,1]
	v_pk_fma_f16 v122, v139, v124, v118 op_sel:[0,1,0]
	v_pk_fma_f16 v123, v139, v125, v119 op_sel_hi:[1,0,1]
	ds_load_b128 v[116:119], v80 offset:160
	v_pk_fma_f16 v124, v140, v127, v120 op_sel:[0,1,0]
	v_pk_fma_f16 v125, v140, v126, v121 op_sel_hi:[1,0,1]
	v_pk_fma_f16 v126, v140, v126, v122 op_sel:[0,1,0]
	v_pk_fma_f16 v127, v140, v127, v123 op_sel_hi:[1,0,1]
	ds_load_b128 v[120:123], v80 offset:176
	s_waitcnt lgkmcnt(9)
	v_pk_fma_f16 v139, v141, v45, v124 op_sel:[0,1,0]
	v_pk_fma_f16 v140, v141, v44, v125 op_sel_hi:[1,0,1]
	v_pk_fma_f16 v44, v141, v44, v126 op_sel:[0,1,0]
	v_pk_fma_f16 v45, v141, v45, v127 op_sel_hi:[1,0,1]
	ds_load_2addr_b32 v[124:125], v92 offset1:32
	v_pk_fma_f16 v139, v142, v47, v139 op_sel:[0,1,0]
	v_pk_fma_f16 v140, v142, v46, v140 op_sel_hi:[1,0,1]
	v_pk_fma_f16 v44, v142, v46, v44 op_sel:[0,1,0]
	v_pk_fma_f16 v45, v142, v47, v45 op_sel_hi:[1,0,1]
	ds_load_2addr_b32 v[126:127], v92 offset0:64 offset1:96
	s_waitcnt lgkmcnt(10)
	v_pk_fma_f16 v139, v128, v49, v139 op_sel:[0,1,0]
	v_pk_fma_f16 v140, v128, v48, v140 op_sel_hi:[1,0,1]
	v_pk_fma_f16 v48, v128, v48, v44 op_sel:[0,1,0]
	v_pk_fma_f16 v49, v128, v49, v45 op_sel_hi:[1,0,1]
	ds_load_b128 v[44:47], v80 offset:192
	v_pk_fma_f16 v128, v129, v51, v139 op_sel:[0,1,0]
	v_pk_fma_f16 v139, v129, v50, v140 op_sel_hi:[1,0,1]
	v_pk_fma_f16 v140, v129, v50, v48 op_sel:[0,1,0]
	v_pk_fma_f16 v129, v129, v51, v49 op_sel_hi:[1,0,1]
	ds_load_b128 v[48:51], v80 offset:208
	s_waitcnt lgkmcnt(9)
	v_pk_fma_f16 v141, v130, v109, v128 op_sel:[0,1,0]
	v_pk_fma_f16 v139, v130, v108, v139 op_sel_hi:[1,0,1]
	v_pk_fma_f16 v108, v130, v108, v140 op_sel:[0,1,0]
	v_pk_fma_f16 v109, v130, v109, v129 op_sel_hi:[1,0,1]
	ds_load_2addr_b32 v[128:129], v92 offset0:128 offset1:160
	v_pk_fma_f16 v140, v131, v111, v141 op_sel:[0,1,0]
	v_pk_fma_f16 v139, v131, v110, v139 op_sel_hi:[1,0,1]
	v_pk_fma_f16 v108, v131, v110, v108 op_sel:[0,1,0]
	v_pk_fma_f16 v109, v131, v111, v109 op_sel_hi:[1,0,1]
	ds_load_2addr_b32 v[130:131], v92 offset0:192 offset1:224
	s_waitcnt lgkmcnt(10)
	v_pk_fma_f16 v140, v133, v113, v140 op_sel:[0,1,0]
	;; [unrolled: 44-line block ×14, first 2 shown]
	v_pk_fma_f16 v139, v130, v112, v139 op_sel_hi:[1,0,1]
	v_pk_fma_f16 v112, v130, v112, v108 op_sel:[0,1,0]
	v_pk_fma_f16 v113, v130, v113, v109 op_sel_hi:[1,0,1]
	ds_load_b128 v[108:111], v80 offset:992
	v_pk_fma_f16 v130, v131, v115, v140 op_sel:[0,1,0]
	v_pk_fma_f16 v139, v131, v114, v139 op_sel_hi:[1,0,1]
	v_pk_fma_f16 v140, v131, v114, v112 op_sel:[0,1,0]
	v_pk_fma_f16 v131, v131, v115, v113 op_sel_hi:[1,0,1]
	ds_load_b128 v[112:115], v80 offset:1008
	s_waitcnt lgkmcnt(9)
	v_pk_fma_f16 v130, v133, v117, v130 op_sel:[0,1,0]
	v_pk_fma_f16 v139, v133, v116, v139 op_sel_hi:[1,0,1]
	v_pk_fma_f16 v116, v133, v116, v140 op_sel:[0,1,0]
	v_pk_fma_f16 v117, v133, v117, v131 op_sel_hi:[1,0,1]
	s_waitcnt lgkmcnt(0)
	v_pk_fma_f16 v130, v134, v119, v130 op_sel:[0,1,0]
	v_pk_fma_f16 v131, v134, v118, v139 op_sel_hi:[1,0,1]
	v_pk_fma_f16 v116, v134, v118, v116 op_sel:[0,1,0]
	v_pk_fma_f16 v117, v134, v119, v117 op_sel_hi:[1,0,1]
	s_barrier
	v_pk_fma_f16 v118, v135, v121, v130 op_sel:[0,1,0]
	v_pk_fma_f16 v119, v135, v120, v131 op_sel_hi:[1,0,1]
	v_pk_fma_f16 v116, v135, v120, v116 op_sel:[0,1,0]
	v_pk_fma_f16 v117, v135, v121, v117 op_sel_hi:[1,0,1]
	buffer_gl0_inv
	v_pk_fma_f16 v118, v136, v123, v118 op_sel:[0,1,0]
	v_pk_fma_f16 v119, v136, v122, v119 op_sel_hi:[1,0,1]
	v_pk_fma_f16 v116, v136, v122, v116 op_sel:[0,1,0]
	v_pk_fma_f16 v117, v136, v123, v117 op_sel_hi:[1,0,1]
	s_load_b32 s2, s[22:23], 0x4
	v_pk_fma_f16 v118, v137, v45, v118 op_sel:[0,1,0]
	v_pk_fma_f16 v119, v137, v44, v119 op_sel_hi:[1,0,1]
	v_pk_fma_f16 v44, v137, v44, v116 op_sel:[0,1,0]
	v_pk_fma_f16 v45, v137, v45, v117 op_sel_hi:[1,0,1]
	s_delay_alu instid0(VALU_DEP_4) | instskip(NEXT) | instid1(VALU_DEP_4)
	v_pk_fma_f16 v41, v138, v47, v118 op_sel:[0,1,0]
	v_pk_fma_f16 v107, v138, v46, v119 op_sel_hi:[1,0,1]
	s_delay_alu instid0(VALU_DEP_4) | instskip(NEXT) | instid1(VALU_DEP_4)
	v_pk_fma_f16 v44, v138, v46, v44 op_sel:[0,1,0]
	v_pk_fma_f16 v45, v138, v47, v45 op_sel_hi:[1,0,1]
	s_delay_alu instid0(VALU_DEP_4) | instskip(NEXT) | instid1(VALU_DEP_4)
	v_pk_fma_f16 v36, v124, v49, v41 op_sel:[0,1,0]
	v_pk_fma_f16 v41, v124, v48, v107 op_sel_hi:[1,0,1]
	s_delay_alu instid0(VALU_DEP_4) | instskip(NEXT) | instid1(VALU_DEP_4)
	v_pk_fma_f16 v44, v124, v48, v44 op_sel:[0,1,0]
	v_pk_fma_f16 v45, v124, v49, v45 op_sel_hi:[1,0,1]
	s_delay_alu instid0(VALU_DEP_4) | instskip(NEXT) | instid1(VALU_DEP_4)
	v_pk_fma_f16 v42, v125, v51, v36 op_sel:[0,1,0]
	v_pk_fma_f16 v41, v125, v50, v41 op_sel_hi:[1,0,1]
	s_delay_alu instid0(VALU_DEP_4) | instskip(NEXT) | instid1(VALU_DEP_4)
	v_pk_fma_f16 v44, v125, v50, v44 op_sel:[0,1,0]
	v_pk_fma_f16 v45, v125, v51, v45 op_sel_hi:[1,0,1]
	v_mov_b32_e32 v36, v43
	v_pk_fma_f16 v42, v126, v109, v42 op_sel:[0,1,0]
	v_pk_fma_f16 v41, v126, v108, v41 op_sel_hi:[1,0,1]
	v_pk_fma_f16 v43, v126, v108, v44 op_sel:[0,1,0]
	v_pk_fma_f16 v44, v126, v109, v45 op_sel_hi:[1,0,1]
	v_fmac_f32_e32 v36, v132, v40
	v_pk_fma_f16 v40, v127, v111, v42 op_sel:[0,1,0]
	v_pk_fma_f16 v41, v127, v110, v41 op_sel_hi:[1,0,1]
	v_pk_fma_f16 v42, v127, v110, v43 op_sel:[0,1,0]
	v_pk_fma_f16 v43, v127, v111, v44 op_sel_hi:[1,0,1]
	s_waitcnt lgkmcnt(0)
	s_lshl_b32 s2, s2, 7
	v_pk_fma_f16 v40, v128, v113, v40 op_sel:[0,1,0]
	v_pk_fma_f16 v41, v128, v112, v41 op_sel_hi:[1,0,1]
	v_pk_fma_f16 v42, v128, v112, v42 op_sel:[0,1,0]
	v_pk_fma_f16 v43, v128, v113, v43 op_sel_hi:[1,0,1]
	s_add_i32 s26, s2, s26
	v_pk_fma_f16 v108, v129, v115, v40 op_sel:[0,1,0]
	v_pk_fma_f16 v111, v129, v114, v41 op_sel_hi:[1,0,1]
	v_pk_fma_f16 v110, v129, v114, v42 op_sel:[0,1,0]
	v_pk_fma_f16 v109, v129, v115, v43 op_sel_hi:[1,0,1]
	s_cmp_ge_i32 s26, s40
	s_cbranch_scc0 .LBB40_9
; %bb.10:
	v_mov_b32_e32 v7, v60
.LBB40_11:
	v_cmp_lt_i32_e32 vcc_lo, v66, v61
	s_cmp_lg_u64 s[24:25], 0
	s_cselect_b32 s2, -1, 0
	s_cmp_eq_u32 s14, 0
	v_cndmask_b32_e32 v4, v7, v66, vcc_lo
	v_cmp_lt_i32_e32 vcc_lo, v65, v61
	v_lshlrev_b32_e32 v14, 1, v58
	s_cselect_b32 s3, -1, 0
	s_delay_alu instid0(SALU_CYCLE_1) | instskip(SKIP_2) | instid1(VALU_DEP_2)
	s_and_b32 s2, s3, s2
	v_cndmask_b32_e32 v9, v7, v65, vcc_lo
	v_cmp_lt_i32_e32 vcc_lo, v64, v61
	v_lshlrev_b32_e32 v9, 2, v9
	v_lshlrev_b32_e32 v4, 2, v4
	v_cndmask_b32_e32 v13, v7, v64, vcc_lo
	v_cmp_lt_i32_e32 vcc_lo, v63, v61
	ds_bpermute_b32 v5, v4, v37
	v_lshlrev_b32_e32 v13, 2, v13
	s_waitcnt lgkmcnt(0)
	v_add_f32_e32 v5, v37, v5
	ds_bpermute_b32 v6, v4, v38
	ds_bpermute_b32 v8, v4, v39
	;; [unrolled: 1-line block ×4, first 2 shown]
	s_waitcnt lgkmcnt(3)
	v_add_f32_e32 v6, v38, v6
	s_waitcnt lgkmcnt(2)
	v_add_f32_e32 v8, v39, v8
	s_waitcnt lgkmcnt(0)
	v_dual_add_f32 v4, v36, v4 :: v_dual_add_f32 v5, v5, v10
	ds_bpermute_b32 v11, v9, v6
	ds_bpermute_b32 v12, v9, v8
	;; [unrolled: 1-line block ×3, first 2 shown]
	s_waitcnt lgkmcnt(2)
	v_add_f32_e32 v6, v6, v11
	s_waitcnt lgkmcnt(1)
	v_add_f32_e32 v8, v8, v12
	;; [unrolled: 2-line block ×3, first 2 shown]
	ds_bpermute_b32 v9, v13, v5
	ds_bpermute_b32 v10, v13, v6
	;; [unrolled: 1-line block ×4, first 2 shown]
	v_cndmask_b32_e32 v13, v7, v63, vcc_lo
	v_cmp_lt_i32_e32 vcc_lo, v62, v61
	s_delay_alu instid0(VALU_DEP_2) | instskip(SKIP_2) | instid1(VALU_DEP_1)
	v_lshlrev_b32_e32 v13, 2, v13
	v_cndmask_b32_e32 v7, v7, v62, vcc_lo
	s_and_b32 vcc_lo, exec_lo, s2
	v_lshlrev_b32_e32 v7, 2, v7
	s_waitcnt lgkmcnt(2)
	v_dual_add_f32 v5, v5, v9 :: v_dual_add_f32 v6, v6, v10
	s_waitcnt lgkmcnt(0)
	v_add_f32_e32 v4, v4, v12
	ds_bpermute_b32 v9, v13, v5
	v_add_f32_e32 v8, v8, v11
	ds_bpermute_b32 v10, v13, v6
	ds_bpermute_b32 v12, v13, v4
	s_waitcnt lgkmcnt(2)
	v_add_f32_e32 v5, v5, v9
	ds_bpermute_b32 v11, v13, v8
	s_waitcnt lgkmcnt(1)
	v_dual_add_f32 v6, v6, v10 :: v_dual_add_f32 v9, v4, v12
	ds_bpermute_b32 v4, v7, v5
	ds_bpermute_b32 v10, v7, v6
	s_waitcnt lgkmcnt(2)
	v_add_f32_e32 v8, v8, v11
	s_waitcnt lgkmcnt(0)
	v_dual_add_f32 v4, v5, v4 :: v_dual_add_f32 v5, v6, v10
	ds_bpermute_b32 v11, v7, v8
	ds_bpermute_b32 v7, v7, v9
	s_waitcnt lgkmcnt(1)
	v_add_f32_e32 v6, v8, v11
	s_waitcnt lgkmcnt(0)
	v_add_f32_e32 v7, v9, v7
	s_cbranch_vccz .LBB40_14
; %bb.12:
	s_ashr_i32 s35, s34, 31
	v_dual_mov_b32 v8, 0 :: v_dual_max_f32 v9, v1, v1
	s_lshl_b64 s[2:3], s[34:35], 2
	v_max_f32_e32 v15, v2, v2
	s_add_u32 s2, s24, s2
	s_addc_u32 s3, s25, s3
	global_load_b64 v[12:13], v8, s[2:3]
	s_waitcnt vmcnt(0)
	v_dual_max_f32 v8, v0, v0 :: v_dual_max_f32 v11, v13, v13
	s_delay_alu instid0(VALU_DEP_1) | instskip(NEXT) | instid1(VALU_DEP_1)
	v_dual_max_f32 v10, v12, v12 :: v_dual_max_f32 v9, v9, v11
	v_max_f32_e32 v8, v8, v10
	v_max_f32_e32 v16, v3, v3
	s_delay_alu instid0(VALU_DEP_3) | instskip(NEXT) | instid1(VALU_DEP_3)
	v_dual_max_f32 v10, v15, v10 :: v_dual_sub_f32 v17, v1, v9
	v_sub_f32_e32 v15, v0, v8
	s_delay_alu instid0(VALU_DEP_3) | instskip(SKIP_1) | instid1(VALU_DEP_4)
	v_max_f32_e32 v11, v16, v11
	v_sub_f32_e32 v16, v12, v8
	v_dual_sub_f32 v18, v13, v9 :: v_dual_sub_f32 v19, v2, v10
	s_delay_alu instid0(VALU_DEP_3)
	v_dual_sub_f32 v12, v12, v10 :: v_dual_sub_f32 v13, v13, v11
	v_sub_f32_e32 v20, v3, v11
	v_dual_mov_b32 v0, v8 :: v_dual_mov_b32 v3, v11
	v_dual_mov_b32 v1, v9 :: v_dual_mov_b32 v2, v10
	v_dual_mul_f32 v9, 0x3fb8aa3b, v16 :: v_dual_mul_f32 v8, 0x3fb8aa3b, v15
	v_dual_mul_f32 v11, 0x3fb8aa3b, v18 :: v_dual_mul_f32 v10, 0x3fb8aa3b, v17
	v_mul_f32_e32 v21, 0x3fb8aa3b, v19
	s_delay_alu instid0(VALU_DEP_3) | instskip(NEXT) | instid1(VALU_DEP_4)
	v_fma_f32 v27, 0x3fb8aa3b, v16, -v9
	v_fma_f32 v25, 0x3fb8aa3b, v15, -v8
	v_rndne_f32_e32 v26, v8
	v_rndne_f32_e32 v28, v9
	v_fma_f32 v29, 0x3fb8aa3b, v17, -v10
	v_rndne_f32_e32 v30, v10
	s_delay_alu instid0(VALU_DEP_4) | instskip(SKIP_2) | instid1(VALU_DEP_4)
	v_dual_fmac_f32 v25, 0x32a5705f, v15 :: v_dual_sub_f32 v8, v8, v26
	v_rndne_f32_e32 v34, v21
	v_mul_f32_e32 v22, 0x3fb8aa3b, v12
	v_dual_fmac_f32 v27, 0x32a5705f, v16 :: v_dual_sub_f32 v10, v10, v30
	s_delay_alu instid0(VALU_DEP_4)
	v_dual_sub_f32 v9, v9, v28 :: v_dual_add_f32 v8, v8, v25
	v_rndne_f32_e32 v32, v11
	v_fma_f32 v33, 0x3fb8aa3b, v19, -v21
	v_sub_f32_e32 v21, v21, v34
	v_rndne_f32_e32 v36, v22
	v_fmac_f32_e32 v29, 0x32a5705f, v17
	v_add_f32_e32 v9, v9, v27
	v_exp_f32_e32 v8, v8
	v_fma_f32 v31, 0x3fb8aa3b, v18, -v11
	v_fma_f32 v35, 0x3fb8aa3b, v12, -v22
	v_cvt_i32_f32_e32 v26, v26
	v_sub_f32_e32 v22, v22, v36
	v_dual_sub_f32 v11, v11, v32 :: v_dual_add_f32 v10, v10, v29
	v_exp_f32_e32 v9, v9
	v_dual_mul_f32 v23, 0x3fb8aa3b, v20 :: v_dual_mul_f32 v24, 0x3fb8aa3b, v13
	v_cvt_i32_f32_e32 v28, v28
	s_delay_alu instid0(VALU_DEP_3)
	v_exp_f32_e32 v10, v10
	v_ldexp_f32 v8, v8, v26
	v_cmp_ngt_f32_e32 vcc_lo, 0xc2ce8ed0, v15
	v_rndne_f32_e32 v40, v24
	v_cvt_i32_f32_e32 v30, v30
	v_fmac_f32_e32 v31, 0x32a5705f, v18
	v_dual_fmac_f32 v33, 0x32a5705f, v19 :: v_dual_cndmask_b32 v8, 0, v8
	v_ldexp_f32 v9, v9, v28
	v_cmp_ngt_f32_e32 vcc_lo, 0xc2ce8ed0, v16
	v_fma_f32 v39, 0x3fb8aa3b, v13, -v24
	v_sub_f32_e32 v24, v24, v40
	v_ldexp_f32 v10, v10, v30
	v_fma_f32 v37, 0x3fb8aa3b, v20, -v23
	v_cndmask_b32_e32 v9, 0, v9, vcc_lo
	v_add_f32_e32 v11, v11, v31
	v_cmp_ngt_f32_e32 vcc_lo, 0xc2ce8ed0, v17
	v_fmac_f32_e32 v39, 0x32a5705f, v13
	v_cvt_i32_f32_e32 v32, v32
	v_cvt_i32_f32_e32 v34, v34
	v_exp_f32_e32 v11, v11
	v_dual_cndmask_b32 v10, 0, v10 :: v_dual_fmac_f32 v35, 0x32a5705f, v12
	v_dual_add_f32 v24, v24, v39 :: v_dual_add_f32 v21, v21, v33
	v_fmac_f32_e32 v37, 0x32a5705f, v20
	v_cmp_ngt_f32_e32 vcc_lo, 0xc2ce8ed0, v18
	s_delay_alu instid0(VALU_DEP_4) | instskip(NEXT) | instid1(VALU_DEP_4)
	v_add_f32_e32 v22, v22, v35
	v_exp_f32_e32 v24, v24
	v_exp_f32_e32 v21, v21
	s_delay_alu instid0(TRANS32_DEP_3)
	v_ldexp_f32 v11, v11, v32
	v_rndne_f32_e32 v38, v23
	v_exp_f32_e32 v22, v22
	v_cvt_i32_f32_e32 v36, v36
	v_cvt_i32_f32_e32 v27, v40
	v_cndmask_b32_e32 v11, 0, v11, vcc_lo
	v_cmp_ngt_f32_e32 vcc_lo, 0xc2ce8ed0, v19
	v_cvt_i32_f32_e32 v25, v38
	s_delay_alu instid0(TRANS32_DEP_2) | instskip(SKIP_2) | instid1(TRANS32_DEP_1)
	v_ldexp_f32 v21, v21, v34
	v_ldexp_f32 v24, v24, v27
	v_sub_f32_e32 v23, v23, v38
	v_ldexp_f32 v22, v22, v36
	s_delay_alu instid0(VALU_DEP_4) | instskip(SKIP_1) | instid1(VALU_DEP_3)
	v_cndmask_b32_e32 v21, 0, v21, vcc_lo
	v_cmp_ngt_f32_e32 vcc_lo, 0xc2ce8ed0, v12
	v_dual_cndmask_b32 v22, 0, v22 :: v_dual_add_f32 v23, v23, v37
	v_cmp_ngt_f32_e32 vcc_lo, 0xc2ce8ed0, v20
	s_delay_alu instid0(VALU_DEP_2) | instskip(SKIP_2) | instid1(VALU_DEP_1)
	v_exp_f32_e32 v23, v23
	s_waitcnt_depctr 0xfff
	v_ldexp_f32 v23, v23, v25
	v_cndmask_b32_e32 v23, 0, v23, vcc_lo
	v_cmp_ngt_f32_e32 vcc_lo, 0xc2ce8ed0, v13
	v_cndmask_b32_e32 v24, 0, v24, vcc_lo
	v_cmp_nlt_f32_e32 vcc_lo, 0x42b17218, v15
	v_cndmask_b32_e32 v15, 0x7f800000, v8, vcc_lo
	v_cmp_nlt_f32_e32 vcc_lo, 0x42b17218, v16
	;; [unrolled: 2-line block ×3, first 2 shown]
	s_delay_alu instid0(VALU_DEP_2)
	v_fmac_f32_e32 v8, v4, v15
	v_cndmask_b32_e32 v16, 0x7f800000, v10, vcc_lo
	v_cmp_nlt_f32_e32 vcc_lo, 0x42b17218, v18
	v_cvt_f16_f32_e32 v4, v15
	v_cndmask_b32_e32 v9, 0x7f800000, v11, vcc_lo
	v_cmp_nlt_f32_e32 vcc_lo, 0x42b17218, v19
	s_delay_alu instid0(VALU_DEP_3) | instskip(NEXT) | instid1(VALU_DEP_3)
	v_pk_mul_f16 v111, v111, v4 op_sel_hi:[1,0]
	v_dual_mov_b32 v4, v8 :: v_dual_fmac_f32 v9, v5, v16
	v_cndmask_b32_e32 v17, 0x7f800000, v21, vcc_lo
	v_cmp_nlt_f32_e32 vcc_lo, 0x42b17218, v12
	v_cvt_f16_f32_e32 v5, v16
	v_cndmask_b32_e32 v10, 0x7f800000, v22, vcc_lo
	v_cmp_nlt_f32_e32 vcc_lo, 0x42b17218, v20
	s_delay_alu instid0(VALU_DEP_3) | instskip(NEXT) | instid1(VALU_DEP_3)
	v_pk_mul_f16 v110, v110, v5 op_sel_hi:[1,0]
	v_dual_mov_b32 v5, v9 :: v_dual_fmac_f32 v10, v6, v17
	v_cvt_f16_f32_e32 v6, v17
	s_delay_alu instid0(VALU_DEP_1) | instskip(NEXT) | instid1(VALU_DEP_3)
	v_pk_mul_f16 v109, v109, v6 op_sel_hi:[1,0]
	v_mov_b32_e32 v6, v10
	v_cndmask_b32_e32 v12, 0x7f800000, v23, vcc_lo
	v_cmp_nlt_f32_e32 vcc_lo, 0x42b17218, v13
	s_delay_alu instid0(VALU_DEP_2) | instskip(SKIP_1) | instid1(VALU_DEP_2)
	v_cvt_f16_f32_e32 v13, v12
	v_cndmask_b32_e32 v11, 0x7f800000, v24, vcc_lo
	v_pk_mul_f16 v108, v108, v13 op_sel_hi:[1,0]
	s_delay_alu instid0(VALU_DEP_2) | instskip(NEXT) | instid1(VALU_DEP_1)
	v_fmac_f32_e32 v11, v7, v12
	v_mov_b32_e32 v7, v11
	s_mov_b32 s2, exec_lo
	v_cmpx_gt_i32_e64 s38, v57
	s_cbranch_execnz .LBB40_15
.LBB40_13:
	s_nop 0
	s_sendmsg sendmsg(MSG_DEALLOC_VGPRS)
	s_endpgm
.LBB40_14:
	s_delay_alu instid0(VALU_DEP_1)
	v_dual_mov_b32 v11, v7 :: v_dual_mov_b32 v10, v6
	v_dual_mov_b32 v9, v5 :: v_dual_mov_b32 v8, v4
	s_mov_b32 s2, exec_lo
	v_cmpx_gt_i32_e64 s38, v57
	s_cbranch_execz .LBB40_13
.LBB40_15:
	s_load_b32 s1, s[0:1], 0xd4
	v_mov_b32_e32 v15, 1.0
	s_waitcnt lgkmcnt(0)
	s_cmp_lg_u32 s1, 1
	s_cselect_b32 s3, -1, 0
	s_cmp_eq_u32 s1, 1
	s_cselect_b32 s4, -1, 0
	s_and_b32 vcc_lo, exec_lo, s3
	s_cbranch_vccnz .LBB40_17
; %bb.16:
	v_div_scale_f32 v12, null, v4, v4, 1.0
	s_delay_alu instid0(VALU_DEP_1) | instskip(SKIP_2) | instid1(VALU_DEP_1)
	v_rcp_f32_e32 v13, v12
	s_waitcnt_depctr 0xfff
	v_fma_f32 v15, -v12, v13, 1.0
	v_fmac_f32_e32 v13, v15, v13
	v_div_scale_f32 v15, vcc_lo, 1.0, v4, 1.0
	s_delay_alu instid0(VALU_DEP_1) | instskip(NEXT) | instid1(VALU_DEP_1)
	v_mul_f32_e32 v16, v15, v13
	v_fma_f32 v17, -v12, v16, v15
	s_delay_alu instid0(VALU_DEP_1) | instskip(NEXT) | instid1(VALU_DEP_1)
	v_fmac_f32_e32 v16, v17, v13
	v_fma_f32 v12, -v12, v16, v15
	s_delay_alu instid0(VALU_DEP_1) | instskip(NEXT) | instid1(VALU_DEP_1)
	v_div_fmas_f32 v12, v12, v13, v16
	v_div_fixup_f32 v15, v12, v4, 1.0
.LBB40_17:
	s_mul_i32 s2, s33, s38
	v_cvt_f32_f16_e32 v18, v111
	s_add_i32 s2, s2, s41
	v_cmp_eq_u32_e32 vcc_lo, 0, v58
	v_dual_mov_b32 v17, 0 :: v_dual_add_nc_u32 v4, s2, v56
	s_delay_alu instid0(VALU_DEP_3) | instskip(SKIP_1) | instid1(VALU_DEP_2)
	v_mul_f32_e32 v18, v15, v18
	s_and_b32 s3, vcc_lo, s3
	v_mul_lo_u32 v4, v4, s39
	s_delay_alu instid0(VALU_DEP_1) | instskip(NEXT) | instid1(VALU_DEP_1)
	v_add_nc_u32_e32 v16, s34, v4
	v_mad_u64_u32 v[12:13], null, s1, v16, s[14:15]
	v_lshrrev_b32_e32 v13, 16, v111
	s_delay_alu instid0(VALU_DEP_1) | instskip(NEXT) | instid1(VALU_DEP_3)
	v_cvt_f32_f16_e32 v13, v13
	v_lshl_add_u32 v16, v12, 6, v14
	s_delay_alu instid0(VALU_DEP_2) | instskip(NEXT) | instid1(VALU_DEP_2)
	v_mul_f32_e32 v19, v15, v13
	v_lshlrev_b64 v[16:17], 2, v[16:17]
	s_delay_alu instid0(VALU_DEP_1) | instskip(NEXT) | instid1(VALU_DEP_1)
	v_add_co_u32 v15, s0, s28, v16
	v_add_co_ci_u32_e64 v16, s0, s29, v17, s0
	global_store_b64 v[15:16], v[18:19], off
	s_and_saveexec_b32 s0, s3
	s_cbranch_execz .LBB40_19
; %bb.18:
	v_ashrrev_i32_e32 v13, 31, v12
	v_mov_b32_e32 v15, v0
	v_mov_b32_e32 v16, v8
	s_delay_alu instid0(VALU_DEP_3) | instskip(NEXT) | instid1(VALU_DEP_1)
	v_lshlrev_b64 v[12:13], 3, v[12:13]
	v_add_co_u32 v12, vcc_lo, s30, v12
	s_delay_alu instid0(VALU_DEP_2)
	v_add_co_ci_u32_e32 v13, vcc_lo, s31, v13, vcc_lo
	global_store_b64 v[12:13], v[15:16], off
.LBB40_19:
	s_or_b32 exec_lo, exec_lo, s0
	v_cndmask_b32_e64 v12, 0, 1, s4
	v_mov_b32_e32 v0, 1.0
	s_and_not1_b32 vcc_lo, exec_lo, s4
	s_cbranch_vccnz .LBB40_21
; %bb.20:
	v_div_scale_f32 v0, null, v5, v5, 1.0
	s_delay_alu instid0(VALU_DEP_1) | instskip(SKIP_2) | instid1(VALU_DEP_1)
	v_rcp_f32_e32 v8, v0
	s_waitcnt_depctr 0xfff
	v_fma_f32 v13, -v0, v8, 1.0
	v_fmac_f32_e32 v8, v13, v8
	v_div_scale_f32 v13, vcc_lo, 1.0, v5, 1.0
	s_delay_alu instid0(VALU_DEP_1) | instskip(NEXT) | instid1(VALU_DEP_1)
	v_mul_f32_e32 v15, v13, v8
	v_fma_f32 v16, -v0, v15, v13
	s_delay_alu instid0(VALU_DEP_1) | instskip(NEXT) | instid1(VALU_DEP_1)
	v_fmac_f32_e32 v15, v16, v8
	v_fma_f32 v0, -v0, v15, v13
	s_delay_alu instid0(VALU_DEP_1) | instskip(NEXT) | instid1(VALU_DEP_1)
	v_div_fmas_f32 v0, v0, v8, v15
	v_div_fixup_f32 v0, v0, v5, 1.0
.LBB40_21:
	s_add_i32 s0, s34, 1
	s_delay_alu instid0(SALU_CYCLE_1) | instskip(NEXT) | instid1(VALU_DEP_1)
	v_add_nc_u32_e32 v8, s0, v4
	v_mad_u64_u32 v[4:5], null, s1, v8, s[14:15]
	v_cvt_f32_f16_e32 v8, v110
	v_mov_b32_e32 v16, 0
	v_lshrrev_b32_e32 v5, 16, v110
	s_delay_alu instid0(VALU_DEP_3) | instskip(SKIP_1) | instid1(VALU_DEP_3)
	v_mul_f32_e32 v17, v0, v8
	v_lshl_add_u32 v15, v4, 6, v14
	v_cvt_f32_f16_e32 v5, v5
	s_delay_alu instid0(VALU_DEP_2) | instskip(NEXT) | instid1(VALU_DEP_2)
	v_lshlrev_b64 v[15:16], 2, v[15:16]
	v_mul_f32_e32 v18, v0, v5
	s_delay_alu instid0(VALU_DEP_2) | instskip(NEXT) | instid1(VALU_DEP_3)
	v_add_co_u32 v15, vcc_lo, s28, v15
	v_add_co_ci_u32_e32 v16, vcc_lo, s29, v16, vcc_lo
	global_store_b64 v[15:16], v[17:18], off
	s_and_saveexec_b32 s4, s3
	s_cbranch_execz .LBB40_23
; %bb.22:
	v_ashrrev_i32_e32 v5, 31, v4
	v_mov_b32_e32 v8, v1
	s_delay_alu instid0(VALU_DEP_2) | instskip(NEXT) | instid1(VALU_DEP_1)
	v_lshlrev_b64 v[4:5], 3, v[4:5]
	v_add_co_u32 v4, vcc_lo, s30, v4
	s_delay_alu instid0(VALU_DEP_2)
	v_add_co_ci_u32_e32 v5, vcc_lo, s31, v5, vcc_lo
	global_store_b64 v[4:5], v[8:9], off
.LBB40_23:
	s_or_b32 exec_lo, exec_lo, s4
	v_cmp_gt_i32_e32 vcc_lo, s38, v55
	s_and_b32 exec_lo, exec_lo, vcc_lo
	s_cbranch_execz .LBB40_13
; %bb.24:
	v_cmp_ne_u32_e32 vcc_lo, 1, v12
	v_mov_b32_e32 v4, 1.0
	s_cbranch_vccnz .LBB40_26
; %bb.25:
	v_div_scale_f32 v0, null, v6, v6, 1.0
	s_delay_alu instid0(VALU_DEP_1) | instskip(SKIP_2) | instid1(VALU_DEP_1)
	v_rcp_f32_e32 v1, v0
	s_waitcnt_depctr 0xfff
	v_fma_f32 v4, -v0, v1, 1.0
	v_fmac_f32_e32 v1, v4, v1
	v_div_scale_f32 v4, vcc_lo, 1.0, v6, 1.0
	s_delay_alu instid0(VALU_DEP_1) | instskip(NEXT) | instid1(VALU_DEP_1)
	v_mul_f32_e32 v5, v4, v1
	v_fma_f32 v8, -v0, v5, v4
	s_delay_alu instid0(VALU_DEP_1) | instskip(NEXT) | instid1(VALU_DEP_1)
	v_fmac_f32_e32 v5, v8, v1
	v_fma_f32 v0, -v0, v5, v4
	s_delay_alu instid0(VALU_DEP_1) | instskip(NEXT) | instid1(VALU_DEP_1)
	v_div_fmas_f32 v0, v0, v1, v5
	v_div_fixup_f32 v4, v0, v6, 1.0
.LBB40_26:
	v_add_nc_u32_e32 v0, s2, v54
	v_cvt_f32_f16_e32 v8, v109
	s_delay_alu instid0(VALU_DEP_2) | instskip(SKIP_1) | instid1(VALU_DEP_3)
	v_mad_u64_u32 v[5:6], null, v0, s39, s[34:35]
	v_mov_b32_e32 v6, 0
	v_mul_f32_e32 v8, v4, v8
	s_delay_alu instid0(VALU_DEP_3) | instskip(SKIP_1) | instid1(VALU_DEP_1)
	v_mad_u64_u32 v[0:1], null, s1, v5, s[14:15]
	v_lshrrev_b32_e32 v1, 16, v109
	v_cvt_f32_f16_e32 v1, v1
	s_delay_alu instid0(VALU_DEP_3) | instskip(NEXT) | instid1(VALU_DEP_2)
	v_lshl_add_u32 v5, v0, 6, v14
	v_mul_f32_e32 v9, v4, v1
	s_delay_alu instid0(VALU_DEP_2) | instskip(NEXT) | instid1(VALU_DEP_1)
	v_lshlrev_b64 v[5:6], 2, v[5:6]
	v_add_co_u32 v4, vcc_lo, s28, v5
	s_delay_alu instid0(VALU_DEP_2)
	v_add_co_ci_u32_e32 v5, vcc_lo, s29, v6, vcc_lo
	global_store_b64 v[4:5], v[8:9], off
	s_and_saveexec_b32 s4, s3
	s_cbranch_execz .LBB40_28
; %bb.27:
	v_ashrrev_i32_e32 v1, 31, v0
	v_mov_b32_e32 v9, v2
	s_delay_alu instid0(VALU_DEP_2) | instskip(NEXT) | instid1(VALU_DEP_1)
	v_lshlrev_b64 v[0:1], 3, v[0:1]
	v_add_co_u32 v0, vcc_lo, s30, v0
	s_delay_alu instid0(VALU_DEP_2)
	v_add_co_ci_u32_e32 v1, vcc_lo, s31, v1, vcc_lo
	global_store_b64 v[0:1], v[9:10], off
.LBB40_28:
	s_or_b32 exec_lo, exec_lo, s4
	v_cmp_gt_i32_e32 vcc_lo, s38, v53
	s_and_b32 exec_lo, exec_lo, vcc_lo
	s_cbranch_execz .LBB40_13
; %bb.29:
	v_cmp_ne_u32_e32 vcc_lo, 1, v12
	v_mov_b32_e32 v2, 1.0
	s_cbranch_vccnz .LBB40_31
; %bb.30:
	v_div_scale_f32 v0, null, v7, v7, 1.0
	s_delay_alu instid0(VALU_DEP_1) | instskip(SKIP_2) | instid1(VALU_DEP_1)
	v_rcp_f32_e32 v1, v0
	s_waitcnt_depctr 0xfff
	v_fma_f32 v2, -v0, v1, 1.0
	v_fmac_f32_e32 v1, v2, v1
	v_div_scale_f32 v2, vcc_lo, 1.0, v7, 1.0
	s_delay_alu instid0(VALU_DEP_1) | instskip(NEXT) | instid1(VALU_DEP_1)
	v_mul_f32_e32 v4, v2, v1
	v_fma_f32 v5, -v0, v4, v2
	s_delay_alu instid0(VALU_DEP_1) | instskip(NEXT) | instid1(VALU_DEP_1)
	v_fmac_f32_e32 v4, v5, v1
	v_fma_f32 v0, -v0, v4, v2
	s_delay_alu instid0(VALU_DEP_1) | instskip(NEXT) | instid1(VALU_DEP_1)
	v_div_fmas_f32 v0, v0, v1, v4
	v_div_fixup_f32 v2, v0, v7, 1.0
.LBB40_31:
	v_add_nc_u32_e32 v0, s2, v52
	v_cvt_f32_f16_e32 v6, v108
	s_delay_alu instid0(VALU_DEP_2) | instskip(SKIP_1) | instid1(VALU_DEP_2)
	v_mad_u64_u32 v[4:5], null, v0, s39, s[0:1]
	v_mov_b32_e32 v5, 0
	v_mad_u64_u32 v[0:1], null, s1, v4, s[14:15]
	v_lshrrev_b32_e32 v1, 16, v108
	s_delay_alu instid0(VALU_DEP_1) | instskip(NEXT) | instid1(VALU_DEP_3)
	v_cvt_f32_f16_e32 v7, v1
	v_lshl_add_u32 v4, v0, 6, v14
	v_mul_f32_e32 v1, v2, v6
	s_delay_alu instid0(VALU_DEP_3) | instskip(NEXT) | instid1(VALU_DEP_3)
	v_mul_f32_e32 v2, v2, v7
	v_lshlrev_b64 v[4:5], 2, v[4:5]
	s_delay_alu instid0(VALU_DEP_1) | instskip(NEXT) | instid1(VALU_DEP_2)
	v_add_co_u32 v4, vcc_lo, s28, v4
	v_add_co_ci_u32_e32 v5, vcc_lo, s29, v5, vcc_lo
	global_store_b64 v[4:5], v[1:2], off
	s_and_b32 exec_lo, exec_lo, s3
	s_cbranch_execz .LBB40_13
; %bb.32:
	v_ashrrev_i32_e32 v1, 31, v0
	v_mov_b32_e32 v10, v3
	s_delay_alu instid0(VALU_DEP_2) | instskip(NEXT) | instid1(VALU_DEP_1)
	v_lshlrev_b64 v[0:1], 3, v[0:1]
	v_add_co_u32 v0, vcc_lo, s30, v0
	s_delay_alu instid0(VALU_DEP_2)
	v_add_co_ci_u32_e32 v1, vcc_lo, s31, v1, vcc_lo
	global_store_b64 v[0:1], v[10:11], off
	s_nop 0
	s_sendmsg sendmsg(MSG_DEALLOC_VGPRS)
	s_endpgm
	.section	.rodata,"a",@progbits
	.p2align	6, 0x0
	.amdhsa_kernel _ZL15flash_attn_tileILi64ELi64ELi8ELi2ELb0EEvPKcS1_S1_S1_S1_PKiPfP15HIP_vector_typeIfLj2EEffffjfiS5_IjLj3EEiiiiiiiiiiiliiliiiiil
		.amdhsa_group_segment_fixed_size 24576
		.amdhsa_private_segment_fixed_size 0
		.amdhsa_kernarg_size 464
		.amdhsa_user_sgpr_count 13
		.amdhsa_user_sgpr_dispatch_ptr 0
		.amdhsa_user_sgpr_queue_ptr 0
		.amdhsa_user_sgpr_kernarg_segment_ptr 1
		.amdhsa_user_sgpr_dispatch_id 0
		.amdhsa_user_sgpr_private_segment_size 0
		.amdhsa_wavefront_size32 1
		.amdhsa_uses_dynamic_stack 0
		.amdhsa_enable_private_segment 0
		.amdhsa_system_sgpr_workgroup_id_x 1
		.amdhsa_system_sgpr_workgroup_id_y 1
		.amdhsa_system_sgpr_workgroup_id_z 1
		.amdhsa_system_sgpr_workgroup_info 0
		.amdhsa_system_vgpr_workitem_id 1
		.amdhsa_next_free_vgpr 209
		.amdhsa_next_free_sgpr 48
		.amdhsa_reserve_vcc 1
		.amdhsa_float_round_mode_32 0
		.amdhsa_float_round_mode_16_64 0
		.amdhsa_float_denorm_mode_32 3
		.amdhsa_float_denorm_mode_16_64 3
		.amdhsa_dx10_clamp 1
		.amdhsa_ieee_mode 1
		.amdhsa_fp16_overflow 0
		.amdhsa_workgroup_processor_mode 1
		.amdhsa_memory_ordered 1
		.amdhsa_forward_progress 0
		.amdhsa_shared_vgpr_count 0
		.amdhsa_exception_fp_ieee_invalid_op 0
		.amdhsa_exception_fp_denorm_src 0
		.amdhsa_exception_fp_ieee_div_zero 0
		.amdhsa_exception_fp_ieee_overflow 0
		.amdhsa_exception_fp_ieee_underflow 0
		.amdhsa_exception_fp_ieee_inexact 0
		.amdhsa_exception_int_div_zero 0
	.end_amdhsa_kernel
	.section	.text._ZL15flash_attn_tileILi64ELi64ELi8ELi2ELb0EEvPKcS1_S1_S1_S1_PKiPfP15HIP_vector_typeIfLj2EEffffjfiS5_IjLj3EEiiiiiiiiiiiliiliiiiil,"axG",@progbits,_ZL15flash_attn_tileILi64ELi64ELi8ELi2ELb0EEvPKcS1_S1_S1_S1_PKiPfP15HIP_vector_typeIfLj2EEffffjfiS5_IjLj3EEiiiiiiiiiiiliiliiiiil,comdat
.Lfunc_end40:
	.size	_ZL15flash_attn_tileILi64ELi64ELi8ELi2ELb0EEvPKcS1_S1_S1_S1_PKiPfP15HIP_vector_typeIfLj2EEffffjfiS5_IjLj3EEiiiiiiiiiiiliiliiiiil, .Lfunc_end40-_ZL15flash_attn_tileILi64ELi64ELi8ELi2ELb0EEvPKcS1_S1_S1_S1_PKiPfP15HIP_vector_typeIfLj2EEffffjfiS5_IjLj3EEiiiiiiiiiiiliiliiiiil
                                        ; -- End function
	.section	.AMDGPU.csdata,"",@progbits
; Kernel info:
; codeLenInByte = 25660
; NumSgprs: 50
; NumVgprs: 209
; ScratchSize: 0
; MemoryBound: 0
; FloatMode: 240
; IeeeMode: 1
; LDSByteSize: 24576 bytes/workgroup (compile time only)
; SGPRBlocks: 6
; VGPRBlocks: 26
; NumSGPRsForWavesPerEU: 50
; NumVGPRsForWavesPerEU: 209
; Occupancy: 5
; WaveLimiterHint : 1
; COMPUTE_PGM_RSRC2:SCRATCH_EN: 0
; COMPUTE_PGM_RSRC2:USER_SGPR: 13
; COMPUTE_PGM_RSRC2:TRAP_HANDLER: 0
; COMPUTE_PGM_RSRC2:TGID_X_EN: 1
; COMPUTE_PGM_RSRC2:TGID_Y_EN: 1
; COMPUTE_PGM_RSRC2:TGID_Z_EN: 1
; COMPUTE_PGM_RSRC2:TIDIG_COMP_CNT: 1
	.section	.text._ZL33flash_attn_stream_k_fixup_uniformILi64ELi8ELi2EEvPfPK15HIP_vector_typeIfLj2EEiiiiiiS1_IjLj3EES5_S5_,"axG",@progbits,_ZL33flash_attn_stream_k_fixup_uniformILi64ELi8ELi2EEvPfPK15HIP_vector_typeIfLj2EEiiiiiiS1_IjLj3EES5_S5_,comdat
	.globl	_ZL33flash_attn_stream_k_fixup_uniformILi64ELi8ELi2EEvPfPK15HIP_vector_typeIfLj2EEiiiiiiS1_IjLj3EES5_S5_ ; -- Begin function _ZL33flash_attn_stream_k_fixup_uniformILi64ELi8ELi2EEvPfPK15HIP_vector_typeIfLj2EEiiiiiiS1_IjLj3EES5_S5_
	.p2align	8
	.type	_ZL33flash_attn_stream_k_fixup_uniformILi64ELi8ELi2EEvPfPK15HIP_vector_typeIfLj2EEiiiiiiS1_IjLj3EES5_S5_,@function
_ZL33flash_attn_stream_k_fixup_uniformILi64ELi8ELi2EEvPfPK15HIP_vector_typeIfLj2EEiiiiiiS1_IjLj3EES5_S5_: ; @_ZL33flash_attn_stream_k_fixup_uniformILi64ELi8ELi2EEvPfPK15HIP_vector_typeIfLj2EEiiiiiiS1_IjLj3EES5_S5_
; %bb.0:
	s_clause 0x1
	s_load_b256 s[4:11], s[0:1], 0x1c
	s_load_b128 s[16:19], s[0:1], 0x3c
	s_waitcnt lgkmcnt(0)
	s_mul_hi_u32 s2, s7, s13
	s_delay_alu instid0(SALU_CYCLE_1) | instskip(NEXT) | instid1(SALU_CYCLE_1)
	s_add_i32 s2, s13, s2
	s_lshr_b32 s2, s2, s8
	s_delay_alu instid0(SALU_CYCLE_1) | instskip(SKIP_2) | instid1(SALU_CYCLE_1)
	s_mul_i32 s3, s2, s9
	s_load_b64 s[8:9], s[0:1], 0x10
	s_sub_i32 s7, s13, s3
	s_mul_hi_u32 s3, s7, s10
	s_delay_alu instid0(SALU_CYCLE_1) | instskip(NEXT) | instid1(SALU_CYCLE_1)
	s_add_i32 s3, s7, s3
	s_lshr_b32 s3, s3, s11
	s_delay_alu instid0(SALU_CYCLE_1) | instskip(NEXT) | instid1(SALU_CYCLE_1)
	s_mul_i32 s10, s3, s16
	s_sub_i32 s7, s7, s10
	s_delay_alu instid0(SALU_CYCLE_1) | instskip(NEXT) | instid1(SALU_CYCLE_1)
	s_mul_hi_u32 s10, s7, s17
	s_add_i32 s10, s7, s10
	s_delay_alu instid0(SALU_CYCLE_1) | instskip(NEXT) | instid1(SALU_CYCLE_1)
	s_lshr_b32 s10, s10, s18
	s_mul_i32 s11, s10, s19
	s_lshl_b32 s10, s10, 1
	s_sub_i32 s7, s7, s11
	s_delay_alu instid0(SALU_CYCLE_1) | instskip(NEXT) | instid1(SALU_CYCLE_1)
	s_lshl_b32 s11, s7, 3
	s_add_i32 s11, s11, s14
	s_waitcnt lgkmcnt(0)
	s_cmp_lt_i32 s11, s8
	s_cselect_b32 s11, -1, 0
	s_add_i32 s12, s10, s15
	s_delay_alu instid0(SALU_CYCLE_1) | instskip(SKIP_1) | instid1(SALU_CYCLE_1)
	s_cmp_lt_i32 s12, s5
	s_cselect_b32 s12, -1, 0
	s_and_b32 s11, s11, s12
	s_delay_alu instid0(SALU_CYCLE_1)
	s_and_not1_b32 vcc_lo, exec_lo, s11
	s_cbranch_vccnz .LBB41_6
; %bb.1:
	s_mul_i32 s2, s2, s8
	s_mul_i32 s5, s3, s5
	s_add_i32 s2, s2, s14
	s_mul_i32 s7, s9, s7
	s_mul_i32 s2, s2, s9
	s_lshl_b32 s7, s7, 9
	s_add_i32 s8, s2, s15
	s_load_b128 s[0:3], s[0:1], 0x0
	s_add_i32 s5, s8, s5
	s_lshl_b32 s9, s14, 1
	s_add_i32 s5, s5, s10
	s_delay_alu instid0(SALU_CYCLE_1) | instskip(NEXT) | instid1(SALU_CYCLE_1)
	s_lshl_b32 s5, s5, 6
	s_add_i32 s7, s7, s5
	s_mul_i32 s5, s13, s6
	v_or_b32_e32 v1, s7, v0
	s_add_i32 s10, s5, s6
	s_delay_alu instid0(VALU_DEP_1) | instskip(NEXT) | instid1(VALU_DEP_1)
	v_ashrrev_i32_e32 v2, 31, v1
	v_lshlrev_b64 v[1:2], 2, v[1:2]
	s_waitcnt lgkmcnt(0)
	s_delay_alu instid0(VALU_DEP_1) | instskip(NEXT) | instid1(VALU_DEP_2)
	v_add_co_u32 v1, vcc_lo, s0, v1
	v_add_co_ci_u32_e32 v2, vcc_lo, s1, v2, vcc_lo
	s_add_i32 s0, s9, s15
	s_lshl_b32 s1, s10, 4
	s_delay_alu instid0(SALU_CYCLE_1) | instskip(SKIP_2) | instid1(SALU_CYCLE_1)
	s_add_i32 s0, s0, s1
	global_load_b32 v5, v[1:2], off
	s_add_i32 s0, s0, -16
	s_ashr_i32 s1, s0, 31
	s_delay_alu instid0(SALU_CYCLE_1) | instskip(NEXT) | instid1(SALU_CYCLE_1)
	s_lshl_b64 s[0:1], s[0:1], 3
	s_add_u32 s0, s2, s0
	s_addc_u32 s1, s3, s1
	s_add_i32 s7, s10, -2
	s_load_b32 s11, s[0:1], 0x4
	s_cmp_lt_i32 s7, s5
	s_cbranch_scc1 .LBB41_4
; %bb.2:
	s_lshl_b32 s16, s4, 6
	s_load_b32 s12, s[0:1], 0x0
	s_ashr_i32 s17, s16, 31
	s_delay_alu instid0(SALU_CYCLE_1) | instskip(NEXT) | instid1(SALU_CYCLE_1)
	s_lshl_b64 s[0:1], s[16:17], 2
	s_add_u32 s7, s2, s0
	s_addc_u32 s8, s3, s1
	s_add_i32 s13, s13, 1
	s_lshl_b32 s0, s14, 7
	s_lshl_b32 s1, s15, 6
	s_mul_i32 s6, s6, s13
	s_add_i32 s0, s1, s0
	s_lshl_b32 s1, s6, 10
	s_delay_alu instid0(SALU_CYCLE_1)
	s_add_i32 s0, s0, s1
	s_lshl_b32 s1, s6, 4
	v_or_b32_e32 v0, s0, v0
	s_lshl_b32 s0, s4, 4
	s_add_i32 s1, s15, s1
	s_waitcnt lgkmcnt(0)
	v_mov_b32_e32 v6, s11
	s_add_i32 s0, s1, s0
	v_dual_mov_b32 v0, s12 :: v_dual_add_nc_u32 v3, 0xfffff800, v0
	s_add_i32 s0, s0, s9
	s_add_i32 s4, s10, -1
	s_sub_i32 s0, s0, 32
.LBB41_3:                               ; =>This Inner Loop Header: Depth=1
	s_delay_alu instid0(VALU_DEP_1) | instskip(SKIP_1) | instid1(SALU_CYCLE_1)
	v_ashrrev_i32_e32 v4, 31, v3
	s_ashr_i32 s1, s0, 31
	s_lshl_b64 s[10:11], s[0:1], 3
	s_delay_alu instid0(SALU_CYCLE_1) | instskip(NEXT) | instid1(VALU_DEP_1)
	s_add_u32 s10, s2, s10
	v_lshlrev_b64 v[7:8], 2, v[3:4]
	s_addc_u32 s11, s3, s11
	s_add_i32 s4, s4, -1
	s_add_i32 s0, s0, -16
	s_cmp_le_i32 s4, s5
	s_load_b64 s[10:11], s[10:11], 0x0
	v_add_co_u32 v7, vcc_lo, s7, v7
	v_add_co_ci_u32_e32 v8, vcc_lo, s8, v8, vcc_lo
	global_load_b32 v4, v[7:8], off
	v_max_f32_e32 v7, v0, v0
	s_waitcnt lgkmcnt(0)
	v_max_f32_e64 v8, s10, s10
	s_delay_alu instid0(VALU_DEP_1) | instskip(NEXT) | instid1(VALU_DEP_1)
	v_max_f32_e32 v7, v7, v8
	v_sub_f32_e32 v8, s10, v7
	s_delay_alu instid0(VALU_DEP_1) | instskip(NEXT) | instid1(VALU_DEP_1)
	v_dual_sub_f32 v0, v0, v7 :: v_dual_mul_f32 v9, 0x3fb8aa3b, v8
	v_fma_f32 v10, 0x3fb8aa3b, v8, -v9
	v_rndne_f32_e32 v11, v9
	s_delay_alu instid0(VALU_DEP_3) | instskip(NEXT) | instid1(VALU_DEP_2)
	v_mul_f32_e32 v12, 0x3fb8aa3b, v0
	v_dual_fmac_f32 v10, 0x32a5705f, v8 :: v_dual_sub_f32 v9, v9, v11
	v_cvt_i32_f32_e32 v11, v11
	s_delay_alu instid0(VALU_DEP_3) | instskip(SKIP_1) | instid1(VALU_DEP_4)
	v_fma_f32 v13, 0x3fb8aa3b, v0, -v12
	v_rndne_f32_e32 v14, v12
	v_add_f32_e32 v9, v9, v10
	v_cmp_ngt_f32_e32 vcc_lo, 0xc2ce8ed0, v8
	s_delay_alu instid0(VALU_DEP_3) | instskip(NEXT) | instid1(VALU_DEP_3)
	v_sub_f32_e32 v10, v12, v14
	v_exp_f32_e32 v9, v9
	s_waitcnt_depctr 0xfff
	v_ldexp_f32 v9, v9, v11
	v_cvt_i32_f32_e32 v11, v14
	s_delay_alu instid0(VALU_DEP_2) | instskip(SKIP_1) | instid1(VALU_DEP_2)
	v_cndmask_b32_e32 v9, 0, v9, vcc_lo
	v_cmp_nlt_f32_e32 vcc_lo, 0x42b17218, v8
	v_cndmask_b32_e32 v9, 0x7f800000, v9, vcc_lo
	v_cmp_ngt_f32_e32 vcc_lo, 0xc2ce8ed0, v0
	v_fmac_f32_e32 v13, 0x32a5705f, v0
	s_delay_alu instid0(VALU_DEP_1) | instskip(NEXT) | instid1(VALU_DEP_1)
	v_add_f32_e32 v10, v10, v13
	v_exp_f32_e32 v10, v10
	s_waitcnt_depctr 0xfff
	v_ldexp_f32 v10, v10, v11
	s_delay_alu instid0(VALU_DEP_1)
	v_dual_mov_b32 v11, v6 :: v_dual_cndmask_b32 v10, 0, v10
	v_cmp_le_f32_e32 vcc_lo, 0xc1a00000, v8
	s_waitcnt vmcnt(1)
	v_dual_cndmask_b32 v8, 0, v9 :: v_dual_mov_b32 v9, v5
	v_cmp_nlt_f32_e32 vcc_lo, 0x42b17218, v0
	v_cndmask_b32_e32 v5, 0x7f800000, v10, vcc_lo
	s_delay_alu instid0(VALU_DEP_3) | instskip(SKIP_2) | instid1(VALU_DEP_3)
	v_mul_f32_e32 v10, s11, v8
	v_cmp_le_f32_e32 vcc_lo, 0xc1a00000, v0
	v_mov_b32_e32 v0, v7
	v_mov_b32_e32 v6, v10
	s_waitcnt vmcnt(0)
	v_dual_cndmask_b32 v12, 0, v5 :: v_dual_mul_f32 v5, v4, v8
	s_delay_alu instid0(VALU_DEP_1) | instskip(NEXT) | instid1(VALU_DEP_2)
	v_dual_fmac_f32 v6, v11, v12 :: v_dual_add_nc_u32 v3, 0xfffffc00, v3
	v_fmac_f32_e32 v5, v9, v12
	s_cbranch_scc0 .LBB41_3
	s_branch .LBB41_5
.LBB41_4:
	s_waitcnt lgkmcnt(0)
	v_mov_b32_e32 v6, s11
.LBB41_5:
	s_waitcnt vmcnt(0)
	s_delay_alu instid0(VALU_DEP_1) | instskip(NEXT) | instid1(VALU_DEP_1)
	v_div_scale_f32 v0, null, v6, v6, v5
	v_rcp_f32_e32 v3, v0
	s_waitcnt_depctr 0xfff
	v_fma_f32 v4, -v0, v3, 1.0
	s_delay_alu instid0(VALU_DEP_1) | instskip(SKIP_1) | instid1(VALU_DEP_1)
	v_fmac_f32_e32 v3, v4, v3
	v_div_scale_f32 v4, vcc_lo, v5, v6, v5
	v_mul_f32_e32 v7, v4, v3
	s_delay_alu instid0(VALU_DEP_1) | instskip(NEXT) | instid1(VALU_DEP_1)
	v_fma_f32 v8, -v0, v7, v4
	v_fmac_f32_e32 v7, v8, v3
	s_delay_alu instid0(VALU_DEP_1) | instskip(NEXT) | instid1(VALU_DEP_1)
	v_fma_f32 v0, -v0, v7, v4
	v_div_fmas_f32 v0, v0, v3, v7
	s_delay_alu instid0(VALU_DEP_1)
	v_div_fixup_f32 v0, v0, v6, v5
	global_store_b32 v[1:2], v0, off
.LBB41_6:
	s_nop 0
	s_sendmsg sendmsg(MSG_DEALLOC_VGPRS)
	s_endpgm
	.section	.rodata,"a",@progbits
	.p2align	6, 0x0
	.amdhsa_kernel _ZL33flash_attn_stream_k_fixup_uniformILi64ELi8ELi2EEvPfPK15HIP_vector_typeIfLj2EEiiiiiiS1_IjLj3EES5_S5_
		.amdhsa_group_segment_fixed_size 0
		.amdhsa_private_segment_fixed_size 0
		.amdhsa_kernarg_size 76
		.amdhsa_user_sgpr_count 13
		.amdhsa_user_sgpr_dispatch_ptr 0
		.amdhsa_user_sgpr_queue_ptr 0
		.amdhsa_user_sgpr_kernarg_segment_ptr 1
		.amdhsa_user_sgpr_dispatch_id 0
		.amdhsa_user_sgpr_private_segment_size 0
		.amdhsa_wavefront_size32 1
		.amdhsa_uses_dynamic_stack 0
		.amdhsa_enable_private_segment 0
		.amdhsa_system_sgpr_workgroup_id_x 1
		.amdhsa_system_sgpr_workgroup_id_y 1
		.amdhsa_system_sgpr_workgroup_id_z 1
		.amdhsa_system_sgpr_workgroup_info 0
		.amdhsa_system_vgpr_workitem_id 0
		.amdhsa_next_free_vgpr 15
		.amdhsa_next_free_sgpr 20
		.amdhsa_reserve_vcc 1
		.amdhsa_float_round_mode_32 0
		.amdhsa_float_round_mode_16_64 0
		.amdhsa_float_denorm_mode_32 3
		.amdhsa_float_denorm_mode_16_64 3
		.amdhsa_dx10_clamp 1
		.amdhsa_ieee_mode 1
		.amdhsa_fp16_overflow 0
		.amdhsa_workgroup_processor_mode 1
		.amdhsa_memory_ordered 1
		.amdhsa_forward_progress 0
		.amdhsa_shared_vgpr_count 0
		.amdhsa_exception_fp_ieee_invalid_op 0
		.amdhsa_exception_fp_denorm_src 0
		.amdhsa_exception_fp_ieee_div_zero 0
		.amdhsa_exception_fp_ieee_overflow 0
		.amdhsa_exception_fp_ieee_underflow 0
		.amdhsa_exception_fp_ieee_inexact 0
		.amdhsa_exception_int_div_zero 0
	.end_amdhsa_kernel
	.section	.text._ZL33flash_attn_stream_k_fixup_uniformILi64ELi8ELi2EEvPfPK15HIP_vector_typeIfLj2EEiiiiiiS1_IjLj3EES5_S5_,"axG",@progbits,_ZL33flash_attn_stream_k_fixup_uniformILi64ELi8ELi2EEvPfPK15HIP_vector_typeIfLj2EEiiiiiiS1_IjLj3EES5_S5_,comdat
.Lfunc_end41:
	.size	_ZL33flash_attn_stream_k_fixup_uniformILi64ELi8ELi2EEvPfPK15HIP_vector_typeIfLj2EEiiiiiiS1_IjLj3EES5_S5_, .Lfunc_end41-_ZL33flash_attn_stream_k_fixup_uniformILi64ELi8ELi2EEvPfPK15HIP_vector_typeIfLj2EEiiiiiiS1_IjLj3EES5_S5_
                                        ; -- End function
	.section	.AMDGPU.csdata,"",@progbits
; Kernel info:
; codeLenInByte = 996
; NumSgprs: 22
; NumVgprs: 15
; ScratchSize: 0
; MemoryBound: 0
; FloatMode: 240
; IeeeMode: 1
; LDSByteSize: 0 bytes/workgroup (compile time only)
; SGPRBlocks: 2
; VGPRBlocks: 1
; NumSGPRsForWavesPerEU: 22
; NumVGPRsForWavesPerEU: 15
; Occupancy: 16
; WaveLimiterHint : 0
; COMPUTE_PGM_RSRC2:SCRATCH_EN: 0
; COMPUTE_PGM_RSRC2:USER_SGPR: 13
; COMPUTE_PGM_RSRC2:TRAP_HANDLER: 0
; COMPUTE_PGM_RSRC2:TGID_X_EN: 1
; COMPUTE_PGM_RSRC2:TGID_Y_EN: 1
; COMPUTE_PGM_RSRC2:TGID_Z_EN: 1
; COMPUTE_PGM_RSRC2:TIDIG_COMP_CNT: 0
	.section	.text._ZL33flash_attn_stream_k_fixup_generalILi64ELi8ELi2EEvPfPK15HIP_vector_typeIfLj2EEiiiiS1_IjLj3EES5_S5_S5_,"axG",@progbits,_ZL33flash_attn_stream_k_fixup_generalILi64ELi8ELi2EEvPfPK15HIP_vector_typeIfLj2EEiiiiS1_IjLj3EES5_S5_S5_,comdat
	.globl	_ZL33flash_attn_stream_k_fixup_generalILi64ELi8ELi2EEvPfPK15HIP_vector_typeIfLj2EEiiiiS1_IjLj3EES5_S5_S5_ ; -- Begin function _ZL33flash_attn_stream_k_fixup_generalILi64ELi8ELi2EEvPfPK15HIP_vector_typeIfLj2EEiiiiS1_IjLj3EES5_S5_S5_
	.p2align	8
	.type	_ZL33flash_attn_stream_k_fixup_generalILi64ELi8ELi2EEvPfPK15HIP_vector_typeIfLj2EEiiiiS1_IjLj3EES5_S5_S5_,@function
_ZL33flash_attn_stream_k_fixup_generalILi64ELi8ELi2EEvPfPK15HIP_vector_typeIfLj2EEiiiiS1_IjLj3EES5_S5_S5_: ; @_ZL33flash_attn_stream_k_fixup_generalILi64ELi8ELi2EEvPfPK15HIP_vector_typeIfLj2EEiiiiS1_IjLj3EES5_S5_S5_
; %bb.0:
	s_clause 0x1
	s_load_b128 s[4:7], s[0:1], 0x10
	s_load_b32 s20, s[0:1], 0x50
	s_mov_b32 s2, 0
	s_waitcnt lgkmcnt(0)
	s_mul_hi_i32 s3, s7, s13
	s_mul_i32 s12, s7, s13
	s_cmp_lg_u64 s[2:3], 0
	s_cbranch_scc0 .LBB42_21
; %bb.1:
	v_cvt_f32_ubyte0_e32 v1, 0
	v_cvt_f32_u32_e32 v2, s20
	s_sub_u32 s10, 0, s20
	s_subb_u32 s11, 0, 0
	s_delay_alu instid0(VALU_DEP_1) | instskip(NEXT) | instid1(VALU_DEP_1)
	v_fmamk_f32 v1, v1, 0x4f800000, v2
	v_rcp_f32_e32 v1, v1
	s_waitcnt_depctr 0xfff
	v_mul_f32_e32 v1, 0x5f7ffffc, v1
	s_delay_alu instid0(VALU_DEP_1) | instskip(NEXT) | instid1(VALU_DEP_1)
	v_mul_f32_e32 v2, 0x2f800000, v1
	v_trunc_f32_e32 v2, v2
	s_delay_alu instid0(VALU_DEP_1) | instskip(SKIP_1) | instid1(VALU_DEP_2)
	v_fmamk_f32 v1, v2, 0xcf800000, v1
	v_cvt_u32_f32_e32 v2, v2
	v_cvt_u32_f32_e32 v1, v1
	s_delay_alu instid0(VALU_DEP_2) | instskip(NEXT) | instid1(VALU_DEP_2)
	v_readfirstlane_b32 s8, v2
	v_readfirstlane_b32 s9, v1
	s_delay_alu instid0(VALU_DEP_2) | instskip(NEXT) | instid1(VALU_DEP_1)
	s_mul_i32 s16, s10, s8
	s_mul_hi_u32 s18, s10, s9
	s_mul_i32 s17, s11, s9
	s_add_i32 s16, s18, s16
	s_mul_i32 s19, s10, s9
	s_add_i32 s16, s16, s17
	s_mul_hi_u32 s18, s9, s19
	s_mul_hi_u32 s21, s8, s19
	s_mul_i32 s17, s8, s19
	s_mul_hi_u32 s19, s9, s16
	s_mul_i32 s9, s9, s16
	s_mul_hi_u32 s22, s8, s16
	s_add_u32 s9, s18, s9
	s_addc_u32 s18, 0, s19
	s_add_u32 s9, s9, s17
	s_mul_i32 s16, s8, s16
	s_addc_u32 s9, s18, s21
	s_addc_u32 s17, s22, 0
	s_add_u32 s9, s9, s16
	s_addc_u32 s16, 0, s17
	v_add_co_u32 v1, s9, v1, s9
	s_delay_alu instid0(VALU_DEP_1) | instskip(SKIP_1) | instid1(VALU_DEP_1)
	s_cmp_lg_u32 s9, 0
	s_addc_u32 s8, s8, s16
	v_readfirstlane_b32 s9, v1
	s_mul_i32 s16, s10, s8
	s_delay_alu instid0(VALU_DEP_1)
	s_mul_hi_u32 s17, s10, s9
	s_mul_i32 s11, s11, s9
	s_add_i32 s16, s17, s16
	s_mul_i32 s10, s10, s9
	s_add_i32 s16, s16, s11
	s_mul_hi_u32 s17, s8, s10
	s_mul_i32 s18, s8, s10
	s_mul_hi_u32 s10, s9, s10
	s_mul_hi_u32 s19, s9, s16
	s_mul_i32 s9, s9, s16
	s_mul_hi_u32 s11, s8, s16
	s_add_u32 s9, s10, s9
	s_addc_u32 s10, 0, s19
	s_add_u32 s9, s9, s18
	s_mul_i32 s16, s8, s16
	s_addc_u32 s9, s10, s17
	s_addc_u32 s10, s11, 0
	s_add_u32 s9, s9, s16
	s_addc_u32 s10, 0, s10
	v_add_co_u32 v1, s9, v1, s9
	s_delay_alu instid0(VALU_DEP_1) | instskip(SKIP_2) | instid1(SALU_CYCLE_1)
	s_cmp_lg_u32 s9, 0
	s_addc_u32 s16, s8, s10
	s_ashr_i32 s8, s3, 31
	s_add_u32 s10, s12, s8
	s_addc_u32 s11, s3, s8
	v_readfirstlane_b32 s3, v1
	s_mov_b32 s9, s8
	s_delay_alu instid0(SALU_CYCLE_1) | instskip(NEXT) | instid1(SALU_CYCLE_1)
	s_xor_b64 s[10:11], s[10:11], s[8:9]
	s_mul_i32 s18, s10, s16
	s_delay_alu instid0(VALU_DEP_1)
	s_mul_hi_u32 s19, s10, s3
	s_mul_hi_u32 s17, s10, s16
	;; [unrolled: 1-line block ×3, first 2 shown]
	s_mul_i32 s3, s11, s3
	s_add_u32 s18, s19, s18
	s_addc_u32 s17, 0, s17
	s_mul_hi_u32 s21, s11, s16
	s_add_u32 s3, s18, s3
	s_mul_i32 s16, s11, s16
	s_addc_u32 s3, s17, s22
	s_addc_u32 s17, s21, 0
	s_add_u32 s3, s3, s16
	s_addc_u32 s16, 0, s17
	s_mul_i32 s18, s20, s3
	s_add_u32 s17, s3, 1
	v_sub_co_u32 v1, s10, s10, s18
	s_mul_hi_u32 s18, s20, s3
	s_addc_u32 s19, s16, 0
	s_mul_i32 s21, s20, s16
	s_delay_alu instid0(VALU_DEP_1)
	v_sub_co_u32 v2, s22, v1, s20
	s_add_u32 s23, s3, 2
	s_addc_u32 s24, s16, 0
	s_add_i32 s18, s18, s21
	s_cmp_lg_u32 s10, 0
	v_readfirstlane_b32 s10, v2
	s_subb_u32 s11, s11, s18
	s_cmp_lg_u32 s22, 0
	s_subb_u32 s18, s11, 0
	s_delay_alu instid0(VALU_DEP_1) | instskip(SKIP_4) | instid1(SALU_CYCLE_1)
	s_cmp_ge_u32 s10, s20
	s_cselect_b32 s10, -1, 0
	s_cmp_eq_u32 s18, 0
	v_readfirstlane_b32 s18, v1
	s_cselect_b32 s10, s10, -1
	s_cmp_lg_u32 s10, 0
	s_cselect_b32 s10, s23, s17
	s_cselect_b32 s17, s24, s19
	s_cmp_ge_u32 s18, s20
	s_cselect_b32 s18, -1, 0
	s_cmp_eq_u32 s11, 0
	s_cselect_b32 s11, s18, -1
	s_delay_alu instid0(SALU_CYCLE_1) | instskip(SKIP_2) | instid1(SALU_CYCLE_1)
	s_cmp_lg_u32 s11, 0
	s_cselect_b32 s11, s17, s16
	s_cselect_b32 s10, s10, s3
	s_xor_b64 s[10:11], s[10:11], s[8:9]
	s_delay_alu instid0(SALU_CYCLE_1)
	s_sub_u32 s16, s10, s8
	s_load_b128 s[8:11], s[0:1], 0x44
	s_and_not1_b32 vcc_lo, exec_lo, s2
	s_cbranch_vccnz .LBB42_3
.LBB42_2:
	v_cvt_f32_u32_e32 v1, s20
	s_sub_i32 s3, 0, s20
	s_delay_alu instid0(VALU_DEP_1) | instskip(SKIP_2) | instid1(VALU_DEP_1)
	v_rcp_iflag_f32_e32 v1, v1
	s_waitcnt_depctr 0xfff
	v_mul_f32_e32 v1, 0x4f7ffffe, v1
	v_cvt_u32_f32_e32 v1, v1
	s_delay_alu instid0(VALU_DEP_1) | instskip(NEXT) | instid1(VALU_DEP_1)
	v_readfirstlane_b32 s2, v1
	s_mul_i32 s3, s3, s2
	s_delay_alu instid0(SALU_CYCLE_1) | instskip(NEXT) | instid1(SALU_CYCLE_1)
	s_mul_hi_u32 s3, s2, s3
	s_add_i32 s2, s2, s3
	s_delay_alu instid0(SALU_CYCLE_1) | instskip(NEXT) | instid1(SALU_CYCLE_1)
	s_mul_hi_u32 s2, s12, s2
	s_mul_i32 s3, s2, s20
	s_waitcnt lgkmcnt(0)
	s_add_i32 s11, s2, 1
	s_sub_i32 s3, s12, s3
	s_delay_alu instid0(SALU_CYCLE_1)
	s_sub_i32 s12, s3, s20
	s_cmp_ge_u32 s3, s20
	s_cselect_b32 s2, s11, s2
	s_cselect_b32 s3, s12, s3
	s_add_i32 s11, s2, 1
	s_cmp_ge_u32 s3, s20
	s_cselect_b32 s16, s11, s2
.LBB42_3:
	s_waitcnt lgkmcnt(0)
	s_add_i32 s11, s13, 1
	s_mov_b32 s2, 0
	s_mul_hi_i32 s3, s7, s11
	s_mul_i32 s11, s7, s11
	s_cmp_lg_u64 s[2:3], 0
	s_cbranch_scc0 .LBB42_22
; %bb.4:
	v_cvt_f32_ubyte0_e32 v1, 0
	v_cvt_f32_u32_e32 v2, s20
	s_sub_u32 s18, 0, s20
	s_subb_u32 s19, 0, 0
	s_delay_alu instid0(VALU_DEP_1) | instskip(NEXT) | instid1(VALU_DEP_1)
	v_fmamk_f32 v1, v1, 0x4f800000, v2
	v_rcp_f32_e32 v1, v1
	s_waitcnt_depctr 0xfff
	v_mul_f32_e32 v1, 0x5f7ffffc, v1
	s_delay_alu instid0(VALU_DEP_1) | instskip(NEXT) | instid1(VALU_DEP_1)
	v_mul_f32_e32 v2, 0x2f800000, v1
	v_trunc_f32_e32 v2, v2
	s_delay_alu instid0(VALU_DEP_1) | instskip(SKIP_1) | instid1(VALU_DEP_2)
	v_fmamk_f32 v1, v2, 0xcf800000, v1
	v_cvt_u32_f32_e32 v2, v2
	v_cvt_u32_f32_e32 v1, v1
	s_delay_alu instid0(VALU_DEP_2) | instskip(NEXT) | instid1(VALU_DEP_2)
	v_readfirstlane_b32 s12, v2
	v_readfirstlane_b32 s17, v1
	s_delay_alu instid0(VALU_DEP_2) | instskip(NEXT) | instid1(VALU_DEP_1)
	s_mul_i32 s21, s18, s12
	s_mul_hi_u32 s23, s18, s17
	s_mul_i32 s22, s19, s17
	s_add_i32 s21, s23, s21
	s_mul_i32 s24, s18, s17
	s_add_i32 s21, s21, s22
	s_mul_hi_u32 s23, s17, s24
	s_mul_hi_u32 s25, s12, s24
	s_mul_i32 s22, s12, s24
	s_mul_hi_u32 s24, s17, s21
	s_mul_i32 s17, s17, s21
	s_mul_hi_u32 s26, s12, s21
	s_add_u32 s17, s23, s17
	s_addc_u32 s23, 0, s24
	s_add_u32 s17, s17, s22
	s_mul_i32 s21, s12, s21
	s_addc_u32 s17, s23, s25
	s_addc_u32 s22, s26, 0
	s_add_u32 s17, s17, s21
	s_addc_u32 s21, 0, s22
	v_add_co_u32 v1, s17, v1, s17
	s_delay_alu instid0(VALU_DEP_1) | instskip(SKIP_1) | instid1(VALU_DEP_1)
	s_cmp_lg_u32 s17, 0
	s_addc_u32 s12, s12, s21
	v_readfirstlane_b32 s17, v1
	s_mul_i32 s21, s18, s12
	s_delay_alu instid0(VALU_DEP_1)
	s_mul_hi_u32 s22, s18, s17
	s_mul_i32 s19, s19, s17
	s_add_i32 s21, s22, s21
	s_mul_i32 s18, s18, s17
	s_add_i32 s21, s21, s19
	s_mul_hi_u32 s22, s12, s18
	s_mul_i32 s23, s12, s18
	s_mul_hi_u32 s18, s17, s18
	s_mul_hi_u32 s24, s17, s21
	s_mul_i32 s17, s17, s21
	s_mul_hi_u32 s19, s12, s21
	s_add_u32 s17, s18, s17
	s_addc_u32 s18, 0, s24
	s_add_u32 s17, s17, s23
	s_mul_i32 s21, s12, s21
	s_addc_u32 s17, s18, s22
	s_addc_u32 s18, s19, 0
	s_add_u32 s17, s17, s21
	s_addc_u32 s18, 0, s18
	v_add_co_u32 v1, s17, v1, s17
	s_delay_alu instid0(VALU_DEP_1) | instskip(SKIP_2) | instid1(SALU_CYCLE_1)
	s_cmp_lg_u32 s17, 0
	s_addc_u32 s12, s12, s18
	s_ashr_i32 s18, s3, 31
	s_add_u32 s22, s11, s18
	s_addc_u32 s23, s3, s18
	v_readfirstlane_b32 s3, v1
	s_mov_b32 s19, s18
	s_delay_alu instid0(SALU_CYCLE_1) | instskip(NEXT) | instid1(SALU_CYCLE_1)
	s_xor_b64 s[22:23], s[22:23], s[18:19]
	s_mul_i32 s21, s22, s12
	s_delay_alu instid0(VALU_DEP_1)
	s_mul_hi_u32 s24, s22, s3
	s_mul_hi_u32 s17, s22, s12
	;; [unrolled: 1-line block ×3, first 2 shown]
	s_mul_i32 s3, s23, s3
	s_add_u32 s21, s24, s21
	s_addc_u32 s17, 0, s17
	s_mul_hi_u32 s25, s23, s12
	s_add_u32 s3, s21, s3
	s_mul_i32 s12, s23, s12
	s_addc_u32 s3, s17, s26
	s_addc_u32 s17, s25, 0
	s_add_u32 s3, s3, s12
	s_addc_u32 s12, 0, s17
	s_mul_i32 s21, s20, s3
	s_add_u32 s17, s3, 1
	v_sub_co_u32 v1, s21, s22, s21
	s_mul_hi_u32 s22, s20, s3
	s_addc_u32 s24, s12, 0
	s_mul_i32 s25, s20, s12
	s_delay_alu instid0(VALU_DEP_1)
	v_sub_co_u32 v2, s26, v1, s20
	s_add_u32 s27, s3, 2
	s_addc_u32 s28, s12, 0
	s_add_i32 s22, s22, s25
	s_cmp_lg_u32 s21, 0
	v_readfirstlane_b32 s21, v2
	s_subb_u32 s22, s23, s22
	s_cmp_lg_u32 s26, 0
	s_subb_u32 s23, s22, 0
	s_delay_alu instid0(VALU_DEP_1) | instskip(SKIP_4) | instid1(SALU_CYCLE_1)
	s_cmp_ge_u32 s21, s20
	s_cselect_b32 s21, -1, 0
	s_cmp_eq_u32 s23, 0
	v_readfirstlane_b32 s23, v1
	s_cselect_b32 s21, s21, -1
	s_cmp_lg_u32 s21, 0
	s_cselect_b32 s17, s27, s17
	s_cselect_b32 s21, s28, s24
	s_cmp_ge_u32 s23, s20
	s_cselect_b32 s23, -1, 0
	s_cmp_eq_u32 s22, 0
	s_cselect_b32 s22, s23, -1
	s_delay_alu instid0(SALU_CYCLE_1) | instskip(SKIP_2) | instid1(SALU_CYCLE_1)
	s_cmp_lg_u32 s22, 0
	s_cselect_b32 s23, s21, s12
	s_cselect_b32 s22, s17, s3
	s_xor_b64 s[22:23], s[22:23], s[18:19]
	s_delay_alu instid0(SALU_CYCLE_1)
	s_sub_u32 s18, s22, s18
	s_and_not1_b32 vcc_lo, exec_lo, s2
	s_cbranch_vccnz .LBB42_6
.LBB42_5:
	v_cvt_f32_u32_e32 v1, s20
	s_sub_i32 s3, 0, s20
	s_delay_alu instid0(VALU_DEP_1) | instskip(SKIP_2) | instid1(VALU_DEP_1)
	v_rcp_iflag_f32_e32 v1, v1
	s_waitcnt_depctr 0xfff
	v_mul_f32_e32 v1, 0x4f7ffffe, v1
	v_cvt_u32_f32_e32 v1, v1
	s_delay_alu instid0(VALU_DEP_1) | instskip(NEXT) | instid1(VALU_DEP_1)
	v_readfirstlane_b32 s2, v1
	s_mul_i32 s3, s3, s2
	s_delay_alu instid0(SALU_CYCLE_1) | instskip(NEXT) | instid1(SALU_CYCLE_1)
	s_mul_hi_u32 s3, s2, s3
	s_add_i32 s2, s2, s3
	s_delay_alu instid0(SALU_CYCLE_1) | instskip(NEXT) | instid1(SALU_CYCLE_1)
	s_mul_hi_u32 s2, s11, s2
	s_mul_i32 s3, s2, s20
	s_delay_alu instid0(SALU_CYCLE_1)
	s_sub_i32 s3, s11, s3
	s_add_i32 s11, s2, 1
	s_sub_i32 s12, s3, s20
	s_cmp_ge_u32 s3, s20
	s_cselect_b32 s2, s11, s2
	s_cselect_b32 s3, s12, s3
	s_add_i32 s11, s2, 1
	s_cmp_ge_u32 s3, s20
	s_cselect_b32 s18, s11, s2
.LBB42_6:
	s_delay_alu instid0(SALU_CYCLE_1) | instskip(SKIP_3) | instid1(SALU_CYCLE_1)
	s_cmp_eq_u32 s16, s18
	s_mul_hi_u32 s2, s16, s8
	s_cselect_b32 s3, -1, 0
	s_add_i32 s2, s2, s16
	s_lshr_b32 s11, s2, s9
	s_delay_alu instid0(SALU_CYCLE_1) | instskip(NEXT) | instid1(SALU_CYCLE_1)
	s_mul_i32 s2, s11, s10
	s_cmp_eq_u32 s2, s16
	s_mul_hi_u32 s2, s18, s8
	s_cselect_b32 s12, -1, 0
	s_add_i32 s2, s2, s18
	s_delay_alu instid0(SALU_CYCLE_1) | instskip(NEXT) | instid1(SALU_CYCLE_1)
	s_lshr_b32 s2, s2, s9
	s_cmp_eq_u32 s11, s2
	s_mul_i32 s2, s2, s10
	s_cselect_b32 s17, -1, 0
	s_cmp_lg_u32 s2, s18
	s_cselect_b32 s2, -1, 0
	s_or_b32 s3, s3, s12
	s_and_b32 s2, s17, s2
	s_delay_alu instid0(SALU_CYCLE_1) | instskip(NEXT) | instid1(SALU_CYCLE_1)
	s_or_b32 s2, s3, s2
	s_and_b32 vcc_lo, exec_lo, s2
	s_cbranch_vccnz .LBB42_24
; %bb.7:
	s_load_b256 s[24:31], s[0:1], 0x20
	s_waitcnt lgkmcnt(0)
	s_mul_hi_u32 s2, s16, s24
	s_delay_alu instid0(SALU_CYCLE_1) | instskip(NEXT) | instid1(SALU_CYCLE_1)
	s_add_i32 s2, s2, s16
	s_lshr_b32 s17, s2, s25
	s_load_b32 s2, s[0:1], 0x40
	s_mul_i32 s3, s17, s26
	s_delay_alu instid0(SALU_CYCLE_1) | instskip(NEXT) | instid1(SALU_CYCLE_1)
	s_sub_i32 s3, s16, s3
	s_mul_hi_u32 s12, s3, s27
	s_delay_alu instid0(SALU_CYCLE_1) | instskip(NEXT) | instid1(SALU_CYCLE_1)
	s_add_i32 s12, s3, s12
	s_lshr_b32 s21, s12, s28
	s_delay_alu instid0(SALU_CYCLE_1) | instskip(NEXT) | instid1(SALU_CYCLE_1)
	s_mul_i32 s12, s21, s29
	s_sub_i32 s3, s3, s12
	s_delay_alu instid0(SALU_CYCLE_1) | instskip(NEXT) | instid1(SALU_CYCLE_1)
	s_mul_hi_u32 s12, s3, s30
	s_add_i32 s12, s3, s12
	s_delay_alu instid0(SALU_CYCLE_1)
	s_lshr_b32 s12, s12, s31
	s_waitcnt lgkmcnt(0)
	s_mul_i32 s2, s12, s2
	s_lshl_b32 s23, s12, 1
	s_sub_i32 s2, s3, s2
	s_mov_b32 s12, 0
	s_mul_hi_u32 s3, s2, s8
	s_delay_alu instid0(SALU_CYCLE_1) | instskip(NEXT) | instid1(SALU_CYCLE_1)
	s_add_i32 s2, s2, s3
	s_lshr_b32 s22, s2, s9
	s_delay_alu instid0(SALU_CYCLE_1) | instskip(NEXT) | instid1(SALU_CYCLE_1)
	s_lshl_b32 s2, s22, 3
	s_add_i32 s2, s2, s14
	s_delay_alu instid0(SALU_CYCLE_1) | instskip(SKIP_2) | instid1(SALU_CYCLE_1)
	s_cmp_lt_i32 s2, s4
	s_cselect_b32 s2, -1, 0
	s_add_i32 s3, s23, s15
	s_cmp_lt_i32 s3, s6
	s_cselect_b32 s3, -1, 0
	s_delay_alu instid0(SALU_CYCLE_1) | instskip(NEXT) | instid1(SALU_CYCLE_1)
	s_and_b32 s2, s2, s3
	s_and_not1_b32 vcc_lo, exec_lo, s2
	s_cbranch_vccnz .LBB42_24
; %bb.8:
	s_load_b128 s[0:3], s[0:1], 0x0
	s_lshl_b32 s18, s20, 6
	s_mov_b32 s19, s12
	s_lshl_b32 s24, s14, 1
	s_lshl_b64 s[18:19], s[18:19], 2
	s_mul_i32 s4, s17, s4
	s_add_i32 s17, s24, s15
	s_mul_i32 s21, s21, s6
	v_cvt_f32_ubyte0_e32 v4, 0
	v_cvt_f32_u32_e32 v5, s20
	s_waitcnt lgkmcnt(0)
	s_add_u32 s18, s2, s18
	s_addc_u32 s19, s3, s19
	s_add_i32 s4, s4, s14
	s_delay_alu instid0(SALU_CYCLE_1) | instskip(SKIP_4) | instid1(SALU_CYCLE_1)
	s_mul_i32 s4, s4, s5
	s_mul_i32 s5, s5, s22
	s_add_i32 s4, s4, s15
	s_lshl_b32 s5, s5, 9
	s_add_i32 s4, s4, s21
	s_add_i32 s4, s4, s23
	s_delay_alu instid0(SALU_CYCLE_1) | instskip(NEXT) | instid1(SALU_CYCLE_1)
	s_lshl_b32 s4, s4, 6
	s_add_i32 s5, s5, s4
	s_delay_alu instid0(SALU_CYCLE_1) | instskip(SKIP_1) | instid1(VALU_DEP_2)
	v_or_b32_e32 v1, s5, v0
	v_lshl_or_b32 v0, s17, 6, v0
	v_ashrrev_i32_e32 v2, 31, v1
	s_delay_alu instid0(VALU_DEP_1) | instskip(NEXT) | instid1(VALU_DEP_1)
	v_lshlrev_b64 v[1:2], 2, v[1:2]
	v_add_co_u32 v1, vcc_lo, s0, v1
	s_delay_alu instid0(VALU_DEP_2) | instskip(SKIP_1) | instid1(SALU_CYCLE_1)
	v_add_co_ci_u32_e32 v2, vcc_lo, s1, v2, vcc_lo
	s_lshl_b32 s0, s13, 4
	s_add_i32 s0, s17, s0
	global_load_b32 v3, v[1:2], off
	s_ashr_i32 s1, s0, 31
	s_delay_alu instid0(SALU_CYCLE_1) | instskip(NEXT) | instid1(SALU_CYCLE_1)
	s_lshl_b64 s[0:1], s[0:1], 3
	s_add_u32 s0, s2, s0
	s_addc_u32 s1, s3, s1
	s_add_i32 s14, s13, -1
	s_load_b64 s[0:1], s[0:1], 0x0
	v_fmac_f32_e32 v5, 0x4f800000, v4
	s_sub_i32 s6, 0, s20
	s_waitcnt lgkmcnt(0)
	v_mov_b32_e32 v8, s0
	s_delay_alu instid0(VALU_DEP_2) | instskip(SKIP_2) | instid1(VALU_DEP_2)
	v_rcp_f32_e32 v4, v5
	v_cvt_f32_u32_e32 v5, s20
	v_mov_b32_e32 v7, s1
	v_rcp_iflag_f32_e32 v5, v5
	s_waitcnt_depctr 0xfff
	v_mul_f32_e32 v4, 0x5f7ffffc, v4
	s_delay_alu instid0(VALU_DEP_1) | instskip(SKIP_1) | instid1(VALU_DEP_2)
	v_mul_f32_e32 v6, 0x2f800000, v4
	v_mul_f32_e32 v9, 0x4f7ffffe, v5
	v_trunc_f32_e32 v6, v6
	s_delay_alu instid0(VALU_DEP_1) | instskip(SKIP_1) | instid1(VALU_DEP_4)
	v_fmac_f32_e32 v4, 0xcf800000, v6
	v_cvt_u32_f32_e32 v5, v6
	v_cvt_u32_f32_e32 v6, v9
	s_delay_alu instid0(VALU_DEP_3)
	v_cvt_u32_f32_e32 v4, v4
.LBB42_9:                               ; =>This Inner Loop Header: Depth=1
	s_mul_hi_i32 s13, s14, s7
	s_mul_i32 s4, s14, s7
	s_cmp_lg_u64 s[12:13], 0
	s_mov_b32 s5, -1
                                        ; implicit-def: $sgpr0_sgpr1
	s_cbranch_scc0 .LBB42_11
; %bb.10:                               ;   in Loop: Header=BB42_9 Depth=1
	v_readfirstlane_b32 s0, v4
	v_readfirstlane_b32 s1, v5
	s_sub_u32 s5, 0, s20
	s_subb_u32 s15, 0, 0
	s_delay_alu instid0(VALU_DEP_2) | instskip(NEXT) | instid1(VALU_DEP_1)
	s_mul_hi_u32 s21, s5, s0
	s_mul_i32 s22, s5, s1
	s_mul_i32 s23, s15, s0
	s_add_i32 s21, s21, s22
	s_mul_i32 s22, s5, s0
	s_add_i32 s21, s21, s23
	s_mul_hi_u32 s23, s0, s22
	s_mul_i32 s24, s0, s21
	s_mul_hi_u32 s0, s0, s21
	s_add_u32 s23, s23, s24
	s_mul_i32 s25, s1, s22
	s_addc_u32 s0, 0, s0
	s_mul_hi_u32 s22, s1, s22
	s_mul_hi_u32 s24, s1, s21
	s_add_u32 s23, s23, s25
	s_addc_u32 s0, s0, s22
	s_mul_i32 s21, s1, s21
	s_addc_u32 s22, s24, 0
	s_add_u32 s0, s0, s21
	s_addc_u32 s21, 0, s22
	v_add_co_u32 v9, s0, v4, s0
	s_delay_alu instid0(VALU_DEP_1) | instskip(SKIP_1) | instid1(VALU_DEP_1)
	s_cmp_lg_u32 s0, 0
	s_addc_u32 s1, s1, s21
	v_readfirstlane_b32 s0, v9
	s_mul_i32 s21, s5, s1
	s_delay_alu instid0(VALU_DEP_1)
	s_mul_hi_u32 s22, s5, s0
	s_mul_i32 s15, s15, s0
	s_add_i32 s21, s22, s21
	s_mul_i32 s5, s5, s0
	s_add_i32 s21, s21, s15
	s_mul_hi_u32 s15, s1, s5
	s_mul_i32 s23, s1, s5
	s_mul_i32 s24, s0, s21
	s_mul_hi_u32 s5, s0, s5
	s_mul_hi_u32 s0, s0, s21
	s_add_u32 s5, s5, s24
	s_addc_u32 s0, 0, s0
	s_mul_hi_u32 s22, s1, s21
	s_add_u32 s5, s5, s23
	s_addc_u32 s0, s0, s15
	s_mul_i32 s5, s1, s21
	s_addc_u32 s15, s22, 0
	s_add_u32 s0, s0, s5
	s_addc_u32 s5, 0, s15
	v_add_co_u32 v9, s0, v9, s0
	s_delay_alu instid0(VALU_DEP_1) | instskip(SKIP_2) | instid1(SALU_CYCLE_1)
	s_cmp_lg_u32 s0, 0
	s_addc_u32 s5, s1, s5
	s_ashr_i32 s0, s13, 31
	s_add_u32 s22, s4, s0
	s_addc_u32 s23, s13, s0
	v_readfirstlane_b32 s13, v9
	s_mov_b32 s1, s0
	s_delay_alu instid0(SALU_CYCLE_1) | instskip(NEXT) | instid1(SALU_CYCLE_1)
	s_xor_b64 s[22:23], s[22:23], s[0:1]
	s_mul_i32 s15, s22, s5
	s_delay_alu instid0(VALU_DEP_1)
	s_mul_hi_u32 s21, s22, s13
	s_mul_hi_u32 s24, s22, s5
	s_add_u32 s15, s21, s15
	s_mul_i32 s25, s23, s13
	s_addc_u32 s21, 0, s24
	s_mul_hi_u32 s13, s23, s13
	s_mul_hi_u32 s24, s23, s5
	s_add_u32 s15, s15, s25
	s_addc_u32 s13, s21, s13
	s_mul_i32 s5, s23, s5
	s_addc_u32 s15, s24, 0
	s_add_u32 s5, s13, s5
	s_addc_u32 s13, 0, s15
	s_mul_i32 s21, s20, s5
	s_add_u32 s15, s5, 1
	v_sub_co_u32 v9, s21, s22, s21
	s_addc_u32 s22, s13, 0
	s_mul_i32 s25, s20, s13
	s_mul_hi_u32 s27, s20, s5
	s_delay_alu instid0(VALU_DEP_1)
	v_sub_co_u32 v10, s26, v9, s20
	s_add_u32 s24, s5, 2
	s_addc_u32 s28, s13, 0
	s_add_i32 s27, s27, s25
	s_cmp_lg_u32 s21, 0
	v_readfirstlane_b32 s21, v10
	s_subb_u32 s23, s23, s27
	s_cmp_lg_u32 s26, 0
	s_subb_u32 s25, s23, 0
	s_delay_alu instid0(VALU_DEP_1) | instskip(SKIP_4) | instid1(SALU_CYCLE_1)
	s_cmp_ge_u32 s21, s20
	s_cselect_b32 s21, -1, 0
	s_cmp_eq_u32 s25, 0
	v_readfirstlane_b32 s25, v9
	s_cselect_b32 s21, s21, -1
	s_cmp_lg_u32 s21, 0
	s_cselect_b32 s15, s24, s15
	s_cselect_b32 s21, s28, s22
	s_cmp_ge_u32 s25, s20
	s_cselect_b32 s22, -1, 0
	s_cmp_eq_u32 s23, 0
	s_cselect_b32 s22, s22, -1
	s_delay_alu instid0(SALU_CYCLE_1) | instskip(SKIP_4) | instid1(SALU_CYCLE_1)
	s_cmp_lg_u32 s22, 0
	s_cselect_b32 s23, s21, s13
	s_cselect_b32 s22, s15, s5
	s_mov_b32 s5, 0
	s_xor_b64 s[22:23], s[22:23], s[0:1]
	s_sub_u32 s0, s22, s0
.LBB42_11:                              ;   in Loop: Header=BB42_9 Depth=1
	s_and_not1_b32 vcc_lo, exec_lo, s5
	s_cbranch_vccnz .LBB42_13
; %bb.12:                               ;   in Loop: Header=BB42_9 Depth=1
	v_readfirstlane_b32 s0, v6
	s_delay_alu instid0(VALU_DEP_1) | instskip(NEXT) | instid1(SALU_CYCLE_1)
	s_mul_i32 s1, s6, s0
	s_mul_hi_u32 s1, s0, s1
	s_delay_alu instid0(SALU_CYCLE_1) | instskip(NEXT) | instid1(SALU_CYCLE_1)
	s_add_i32 s0, s0, s1
	s_mul_hi_u32 s0, s4, s0
	s_delay_alu instid0(SALU_CYCLE_1) | instskip(NEXT) | instid1(SALU_CYCLE_1)
	s_mul_i32 s1, s0, s20
	s_sub_i32 s1, s4, s1
	s_add_i32 s4, s0, 1
	s_sub_i32 s5, s1, s20
	s_cmp_ge_u32 s1, s20
	s_cselect_b32 s0, s4, s0
	s_cselect_b32 s1, s5, s1
	s_add_i32 s4, s0, 1
	s_cmp_ge_u32 s1, s20
	s_cselect_b32 s0, s4, s0
.LBB42_13:                              ;   in Loop: Header=BB42_9 Depth=1
	s_delay_alu instid0(SALU_CYCLE_1)
	s_cmp_lg_u32 s16, s0
	s_cbranch_scc0 .LBB42_17
; %bb.14:                               ;   in Loop: Header=BB42_9 Depth=1
	s_add_i32 s1, s14, s20
	s_mov_b32 s5, s12
	s_lshl_b32 s1, s1, 4
	s_mov_b32 s15, s16
	s_add_i32 s4, s1, s17
	s_mul_hi_u32 s1, s0, s8
	s_lshl_b64 s[4:5], s[4:5], 3
	s_delay_alu instid0(SALU_CYCLE_1) | instskip(SKIP_2) | instid1(SALU_CYCLE_1)
	s_add_u32 s4, s2, s4
	s_addc_u32 s5, s3, s5
	s_add_i32 s1, s1, s0
	s_lshr_b32 s1, s1, s9
	s_delay_alu instid0(SALU_CYCLE_1) | instskip(NEXT) | instid1(SALU_CYCLE_1)
	s_mul_i32 s13, s1, s10
	s_cmp_eq_u32 s13, s0
	s_cselect_b32 s13, -1, 0
	s_cmp_lt_u32 s1, s11
	s_cselect_b32 s1, -1, 0
	s_delay_alu instid0(SALU_CYCLE_1)
	s_or_b32 s1, s1, s13
	s_mov_b32 s13, -1
	s_and_b32 vcc_lo, exec_lo, s1
	s_mov_b32 s1, s14
	s_cbranch_vccnz .LBB42_16
; %bb.15:                               ;   in Loop: Header=BB42_9 Depth=1
	s_add_i32 s1, s14, -1
	s_mov_b32 s13, 0
	s_mov_b32 s15, s0
.LBB42_16:                              ;   in Loop: Header=BB42_9 Depth=1
	v_lshl_add_u32 v9, s14, 10, v0
	s_load_b64 s[4:5], s[4:5], 0x0
	s_delay_alu instid0(VALU_DEP_1) | instskip(NEXT) | instid1(VALU_DEP_1)
	v_ashrrev_i32_e32 v10, 31, v9
	v_lshlrev_b64 v[9:10], 2, v[9:10]
	s_delay_alu instid0(VALU_DEP_1) | instskip(NEXT) | instid1(VALU_DEP_2)
	v_add_co_u32 v9, vcc_lo, s18, v9
	v_add_co_ci_u32_e32 v10, vcc_lo, s19, v10, vcc_lo
	s_waitcnt lgkmcnt(0)
	v_max_f32_e64 v11, s4, s4
	global_load_b32 v10, v[9:10], off
	v_max_f32_e32 v9, v8, v8
	s_delay_alu instid0(VALU_DEP_1) | instskip(NEXT) | instid1(VALU_DEP_1)
	v_max_f32_e32 v9, v9, v11
	v_sub_f32_e32 v12, v8, v9
	s_delay_alu instid0(VALU_DEP_1) | instskip(NEXT) | instid1(VALU_DEP_1)
	v_dual_mul_f32 v14, 0x3fb8aa3b, v12 :: v_dual_sub_f32 v11, s4, v9
	v_rndne_f32_e32 v18, v14
	s_delay_alu instid0(VALU_DEP_2) | instskip(SKIP_2) | instid1(VALU_DEP_4)
	v_mul_f32_e32 v13, 0x3fb8aa3b, v11
	v_fma_f32 v17, 0x3fb8aa3b, v12, -v14
	v_cmp_ngt_f32_e32 vcc_lo, 0xc2ce8ed0, v11
	v_sub_f32_e32 v14, v14, v18
	s_delay_alu instid0(VALU_DEP_4) | instskip(SKIP_2) | instid1(VALU_DEP_3)
	v_fma_f32 v15, 0x3fb8aa3b, v11, -v13
	v_rndne_f32_e32 v16, v13
	v_fmac_f32_e32 v17, 0x32a5705f, v12
	v_fmac_f32_e32 v15, 0x32a5705f, v11
	s_delay_alu instid0(VALU_DEP_2) | instskip(NEXT) | instid1(VALU_DEP_1)
	v_dual_sub_f32 v13, v13, v16 :: v_dual_add_f32 v14, v14, v17
	v_add_f32_e32 v13, v13, v15
	s_delay_alu instid0(VALU_DEP_2) | instskip(SKIP_2) | instid1(VALU_DEP_3)
	v_exp_f32_e32 v14, v14
	v_cvt_i32_f32_e32 v15, v16
	v_cvt_i32_f32_e32 v16, v18
	v_exp_f32_e32 v13, v13
	s_waitcnt_depctr 0xfff
	v_ldexp_f32 v14, v14, v16
	v_ldexp_f32 v13, v13, v15
	s_delay_alu instid0(VALU_DEP_1) | instskip(SKIP_1) | instid1(VALU_DEP_4)
	v_cndmask_b32_e32 v13, 0, v13, vcc_lo
	v_cmp_ngt_f32_e32 vcc_lo, 0xc2ce8ed0, v12
	v_cndmask_b32_e32 v14, 0, v14, vcc_lo
	v_cmp_nlt_f32_e32 vcc_lo, 0x42b17218, v11
	s_delay_alu instid0(VALU_DEP_4) | instskip(SKIP_1) | instid1(VALU_DEP_4)
	v_cndmask_b32_e32 v13, 0x7f800000, v13, vcc_lo
	v_cmp_nlt_f32_e32 vcc_lo, 0x42b17218, v12
	v_cndmask_b32_e32 v14, 0x7f800000, v14, vcc_lo
	v_cmp_le_f32_e32 vcc_lo, 0xc1a00000, v11
	s_delay_alu instid0(VALU_DEP_4) | instskip(SKIP_1) | instid1(VALU_DEP_4)
	v_cndmask_b32_e32 v11, 0, v13, vcc_lo
	v_cmp_le_f32_e32 vcc_lo, 0xc1a00000, v12
	v_cndmask_b32_e32 v12, 0, v14, vcc_lo
	s_waitcnt vmcnt(0)
	s_delay_alu instid0(VALU_DEP_3) | instskip(NEXT) | instid1(VALU_DEP_1)
	v_mul_f32_e32 v10, v10, v11
	v_dual_mul_f32 v11, s5, v11 :: v_dual_fmac_f32 v10, v3, v12
	s_delay_alu instid0(VALU_DEP_1)
	v_fmac_f32_e32 v11, v7, v12
	s_cbranch_execz .LBB42_18
	s_branch .LBB42_19
.LBB42_17:                              ;   in Loop: Header=BB42_9 Depth=1
                                        ; implicit-def: $sgpr13
                                        ; implicit-def: $vgpr10
                                        ; implicit-def: $vgpr9
                                        ; implicit-def: $vgpr11
                                        ; implicit-def: $sgpr1
                                        ; implicit-def: $sgpr15
.LBB42_18:                              ;   in Loop: Header=BB42_9 Depth=1
	v_mov_b32_e32 v11, v7
	s_waitcnt vmcnt(0)
	v_dual_mov_b32 v9, v8 :: v_dual_mov_b32 v10, v3
	s_add_i32 s1, s14, -1
	s_mov_b32 s13, 0
	s_mov_b32 s15, s16
.LBB42_19:                              ;   in Loop: Header=BB42_9 Depth=1
	s_and_not1_b32 vcc_lo, exec_lo, s13
	s_cbranch_vccz .LBB42_23
; %bb.20:                               ;   in Loop: Header=BB42_9 Depth=1
	v_dual_mov_b32 v7, v11 :: v_dual_mov_b32 v8, v9
	s_waitcnt vmcnt(0)
	v_mov_b32_e32 v3, v10
	s_mov_b32 s16, s15
	s_mov_b32 s14, s1
	s_branch .LBB42_9
.LBB42_21:
                                        ; implicit-def: $sgpr16_sgpr17
	s_load_b128 s[8:11], s[0:1], 0x44
	s_branch .LBB42_2
.LBB42_22:
                                        ; implicit-def: $sgpr18_sgpr19
	s_branch .LBB42_5
.LBB42_23:
	v_div_scale_f32 v0, null, v11, v11, v10
	s_waitcnt vmcnt(0)
	s_delay_alu instid0(VALU_DEP_1) | instskip(SKIP_2) | instid1(VALU_DEP_1)
	v_rcp_f32_e32 v3, v0
	s_waitcnt_depctr 0xfff
	v_fma_f32 v4, -v0, v3, 1.0
	v_fmac_f32_e32 v3, v4, v3
	v_div_scale_f32 v4, vcc_lo, v10, v11, v10
	s_delay_alu instid0(VALU_DEP_1) | instskip(NEXT) | instid1(VALU_DEP_1)
	v_mul_f32_e32 v5, v4, v3
	v_fma_f32 v6, -v0, v5, v4
	s_delay_alu instid0(VALU_DEP_1) | instskip(NEXT) | instid1(VALU_DEP_1)
	v_fmac_f32_e32 v5, v6, v3
	v_fma_f32 v0, -v0, v5, v4
	s_delay_alu instid0(VALU_DEP_1) | instskip(NEXT) | instid1(VALU_DEP_1)
	v_div_fmas_f32 v0, v0, v3, v5
	v_div_fixup_f32 v0, v0, v11, v10
	global_store_b32 v[1:2], v0, off
.LBB42_24:
	s_nop 0
	s_sendmsg sendmsg(MSG_DEALLOC_VGPRS)
	s_endpgm
	.section	.rodata,"a",@progbits
	.p2align	6, 0x0
	.amdhsa_kernel _ZL33flash_attn_stream_k_fixup_generalILi64ELi8ELi2EEvPfPK15HIP_vector_typeIfLj2EEiiiiS1_IjLj3EES5_S5_S5_
		.amdhsa_group_segment_fixed_size 0
		.amdhsa_private_segment_fixed_size 0
		.amdhsa_kernarg_size 336
		.amdhsa_user_sgpr_count 13
		.amdhsa_user_sgpr_dispatch_ptr 0
		.amdhsa_user_sgpr_queue_ptr 0
		.amdhsa_user_sgpr_kernarg_segment_ptr 1
		.amdhsa_user_sgpr_dispatch_id 0
		.amdhsa_user_sgpr_private_segment_size 0
		.amdhsa_wavefront_size32 1
		.amdhsa_uses_dynamic_stack 0
		.amdhsa_enable_private_segment 0
		.amdhsa_system_sgpr_workgroup_id_x 1
		.amdhsa_system_sgpr_workgroup_id_y 1
		.amdhsa_system_sgpr_workgroup_id_z 1
		.amdhsa_system_sgpr_workgroup_info 0
		.amdhsa_system_vgpr_workitem_id 0
		.amdhsa_next_free_vgpr 19
		.amdhsa_next_free_sgpr 32
		.amdhsa_reserve_vcc 1
		.amdhsa_float_round_mode_32 0
		.amdhsa_float_round_mode_16_64 0
		.amdhsa_float_denorm_mode_32 3
		.amdhsa_float_denorm_mode_16_64 3
		.amdhsa_dx10_clamp 1
		.amdhsa_ieee_mode 1
		.amdhsa_fp16_overflow 0
		.amdhsa_workgroup_processor_mode 1
		.amdhsa_memory_ordered 1
		.amdhsa_forward_progress 0
		.amdhsa_shared_vgpr_count 0
		.amdhsa_exception_fp_ieee_invalid_op 0
		.amdhsa_exception_fp_denorm_src 0
		.amdhsa_exception_fp_ieee_div_zero 0
		.amdhsa_exception_fp_ieee_overflow 0
		.amdhsa_exception_fp_ieee_underflow 0
		.amdhsa_exception_fp_ieee_inexact 0
		.amdhsa_exception_int_div_zero 0
	.end_amdhsa_kernel
	.section	.text._ZL33flash_attn_stream_k_fixup_generalILi64ELi8ELi2EEvPfPK15HIP_vector_typeIfLj2EEiiiiS1_IjLj3EES5_S5_S5_,"axG",@progbits,_ZL33flash_attn_stream_k_fixup_generalILi64ELi8ELi2EEvPfPK15HIP_vector_typeIfLj2EEiiiiS1_IjLj3EES5_S5_S5_,comdat
.Lfunc_end42:
	.size	_ZL33flash_attn_stream_k_fixup_generalILi64ELi8ELi2EEvPfPK15HIP_vector_typeIfLj2EEiiiiS1_IjLj3EES5_S5_S5_, .Lfunc_end42-_ZL33flash_attn_stream_k_fixup_generalILi64ELi8ELi2EEvPfPK15HIP_vector_typeIfLj2EEiiiiS1_IjLj3EES5_S5_S5_
                                        ; -- End function
	.section	.AMDGPU.csdata,"",@progbits
; Kernel info:
; codeLenInByte = 3224
; NumSgprs: 34
; NumVgprs: 19
; ScratchSize: 0
; MemoryBound: 0
; FloatMode: 240
; IeeeMode: 1
; LDSByteSize: 0 bytes/workgroup (compile time only)
; SGPRBlocks: 4
; VGPRBlocks: 2
; NumSGPRsForWavesPerEU: 34
; NumVGPRsForWavesPerEU: 19
; Occupancy: 16
; WaveLimiterHint : 0
; COMPUTE_PGM_RSRC2:SCRATCH_EN: 0
; COMPUTE_PGM_RSRC2:USER_SGPR: 13
; COMPUTE_PGM_RSRC2:TRAP_HANDLER: 0
; COMPUTE_PGM_RSRC2:TGID_X_EN: 1
; COMPUTE_PGM_RSRC2:TGID_Y_EN: 1
; COMPUTE_PGM_RSRC2:TGID_Z_EN: 1
; COMPUTE_PGM_RSRC2:TIDIG_COMP_CNT: 0
	.section	.text._ZL15flash_attn_tileILi64ELi64ELi4ELi2ELb0EEvPKcS1_S1_S1_S1_PKiPfP15HIP_vector_typeIfLj2EEffffjfiS5_IjLj3EEiiiiiiiiiiiliiliiiiil,"axG",@progbits,_ZL15flash_attn_tileILi64ELi64ELi4ELi2ELb0EEvPKcS1_S1_S1_S1_PKiPfP15HIP_vector_typeIfLj2EEffffjfiS5_IjLj3EEiiiiiiiiiiiliiliiiiil,comdat
	.globl	_ZL15flash_attn_tileILi64ELi64ELi4ELi2ELb0EEvPKcS1_S1_S1_S1_PKiPfP15HIP_vector_typeIfLj2EEffffjfiS5_IjLj3EEiiiiiiiiiiiliiliiiiil ; -- Begin function _ZL15flash_attn_tileILi64ELi64ELi4ELi2ELb0EEvPKcS1_S1_S1_S1_PKiPfP15HIP_vector_typeIfLj2EEffffjfiS5_IjLj3EEiiiiiiiiiiiliiliiiiil
	.p2align	8
	.type	_ZL15flash_attn_tileILi64ELi64ELi4ELi2ELb0EEvPKcS1_S1_S1_S1_PKiPfP15HIP_vector_typeIfLj2EEffffjfiS5_IjLj3EEiiiiiiiiiiiliiliiiiil,@function
_ZL15flash_attn_tileILi64ELi64ELi4ELi2ELb0EEvPKcS1_S1_S1_S1_PKiPfP15HIP_vector_typeIfLj2EEffffjfiS5_IjLj3EEiiiiiiiiiiiliiliiiiil: ; @_ZL15flash_attn_tileILi64ELi64ELi4ELi2ELb0EEvPKcS1_S1_S1_S1_PKiPfP15HIP_vector_typeIfLj2EEffffjfiS5_IjLj3EEiiiiiiiiiiiliiliiiiil
; %bb.0:
	s_clause 0x1
	s_load_b128 s[36:39], s[0:1], 0x5c
	s_load_b64 s[40:41], s[0:1], 0x80
	s_mov_b64 s[42:43], 0
	s_waitcnt lgkmcnt(0)
	s_lshr_b32 s2, s39, 31
	s_delay_alu instid0(SALU_CYCLE_1) | instskip(NEXT) | instid1(SALU_CYCLE_1)
	s_add_i32 s2, s39, s2
	s_ashr_i32 s2, s2, 1
	s_delay_alu instid0(SALU_CYCLE_1) | instskip(SKIP_1) | instid1(VALU_DEP_1)
	v_cvt_f32_u32_e32 v1, s2
	s_sub_i32 s4, 0, s2
	v_rcp_iflag_f32_e32 v1, v1
	s_waitcnt_depctr 0xfff
	v_mul_f32_e32 v1, 0x4f7ffffe, v1
	s_delay_alu instid0(VALU_DEP_1) | instskip(NEXT) | instid1(VALU_DEP_1)
	v_cvt_u32_f32_e32 v1, v1
	v_readfirstlane_b32 s3, v1
	s_delay_alu instid0(VALU_DEP_1) | instskip(NEXT) | instid1(SALU_CYCLE_1)
	s_mul_i32 s4, s4, s3
	s_mul_hi_u32 s4, s3, s4
	s_delay_alu instid0(SALU_CYCLE_1) | instskip(NEXT) | instid1(SALU_CYCLE_1)
	s_add_i32 s3, s3, s4
	s_mul_hi_u32 s3, s15, s3
	s_delay_alu instid0(SALU_CYCLE_1) | instskip(SKIP_2) | instid1(SALU_CYCLE_1)
	s_mul_i32 s4, s3, s2
	s_add_i32 s5, s3, 1
	s_sub_i32 s4, s15, s4
	s_sub_i32 s6, s4, s2
	s_cmp_ge_u32 s4, s2
	s_cselect_b32 s3, s5, s3
	s_cselect_b32 s4, s6, s4
	s_add_i32 s5, s3, 1
	s_cmp_ge_u32 s4, s2
	s_cselect_b32 s33, s5, s3
	s_abs_i32 s2, s41
	s_abs_i32 s7, s39
	v_cvt_f32_u32_e32 v1, s2
	s_sub_i32 s4, 0, s2
	s_lshl_b32 s5, s15, 1
	s_mul_i32 s6, s33, s39
	s_delay_alu instid0(VALU_DEP_1) | instskip(SKIP_3) | instid1(VALU_DEP_1)
	v_rcp_iflag_f32_e32 v1, v1
	s_sub_i32 s34, s5, s6
	s_waitcnt_depctr 0xfff
	v_mul_f32_e32 v1, 0x4f7ffffe, v1
	v_cvt_u32_f32_e32 v1, v1
	s_delay_alu instid0(VALU_DEP_1) | instskip(NEXT) | instid1(VALU_DEP_1)
	v_readfirstlane_b32 s3, v1
	s_mul_i32 s4, s4, s3
	s_delay_alu instid0(SALU_CYCLE_1) | instskip(NEXT) | instid1(SALU_CYCLE_1)
	s_mul_hi_u32 s4, s3, s4
	s_add_i32 s3, s3, s4
	s_xor_b32 s4, s39, s41
	s_mul_hi_u32 s3, s7, s3
	s_ashr_i32 s4, s4, 31
	s_mul_i32 s5, s3, s2
	s_add_i32 s6, s3, 1
	s_sub_i32 s5, s7, s5
	s_delay_alu instid0(SALU_CYCLE_1)
	s_sub_i32 s7, s5, s2
	s_cmp_ge_u32 s5, s2
	s_cselect_b32 s3, s6, s3
	s_cselect_b32 s5, s7, s5
	s_add_i32 s6, s3, 1
	s_cmp_ge_u32 s5, s2
	s_cselect_b32 s2, s6, s3
	s_delay_alu instid0(SALU_CYCLE_1) | instskip(NEXT) | instid1(SALU_CYCLE_1)
	s_xor_b32 s2, s2, s4
	s_sub_i32 s9, s2, s4
	s_clause 0x1
	s_load_b512 s[16:31], s[0:1], 0x0
	s_load_b64 s[2:3], s[0:1], 0xb8
	s_abs_i32 s8, s9
	s_delay_alu instid0(SALU_CYCLE_1) | instskip(NEXT) | instid1(VALU_DEP_1)
	v_cvt_f32_u32_e32 v1, s8
	v_rcp_iflag_f32_e32 v1, v1
	s_waitcnt_depctr 0xfff
	v_mul_f32_e32 v1, 0x4f7ffffe, v1
	s_waitcnt lgkmcnt(0)
	s_cmp_eq_u64 s[22:23], 0
	s_delay_alu instid0(VALU_DEP_1) | instskip(NEXT) | instid1(VALU_DEP_1)
	v_cvt_u32_f32_e32 v1, v1
	v_readfirstlane_b32 s10, v1
	s_cbranch_scc1 .LBB43_2
; %bb.1:
	s_abs_i32 s2, s2
	s_abs_i32 s6, s33
	v_cvt_f32_u32_e32 v1, s2
	s_sub_i32 s5, 0, s2
	s_delay_alu instid0(VALU_DEP_1) | instskip(SKIP_2) | instid1(VALU_DEP_1)
	v_rcp_iflag_f32_e32 v1, v1
	s_waitcnt_depctr 0xfff
	v_mul_f32_e32 v1, 0x4f7ffffe, v1
	v_cvt_u32_f32_e32 v1, v1
	s_delay_alu instid0(VALU_DEP_1) | instskip(NEXT) | instid1(VALU_DEP_1)
	v_readfirstlane_b32 s4, v1
	s_mul_i32 s5, s5, s4
	s_delay_alu instid0(SALU_CYCLE_1) | instskip(NEXT) | instid1(SALU_CYCLE_1)
	s_mul_hi_u32 s5, s4, s5
	s_add_i32 s7, s4, s5
	s_load_b64 s[4:5], s[0:1], 0xc8
	s_mul_hi_u32 s7, s6, s7
	s_delay_alu instid0(SALU_CYCLE_1) | instskip(NEXT) | instid1(SALU_CYCLE_1)
	s_mul_i32 s7, s7, s2
	s_sub_i32 s6, s6, s7
	s_ashr_i32 s7, s33, 31
	s_sub_i32 s11, s6, s2
	s_cmp_ge_u32 s6, s2
	s_cselect_b32 s6, s11, s6
	s_delay_alu instid0(SALU_CYCLE_1) | instskip(SKIP_2) | instid1(SALU_CYCLE_1)
	s_sub_i32 s11, s6, s2
	s_cmp_ge_u32 s6, s2
	s_cselect_b32 s2, s11, s6
	s_xor_b32 s2, s2, s7
	s_delay_alu instid0(SALU_CYCLE_1)
	s_sub_i32 s2, s2, s7
	s_waitcnt lgkmcnt(0)
	s_mul_i32 s5, s2, s5
	s_mul_hi_u32 s6, s2, s4
	s_ashr_i32 s7, s2, 31
	s_add_i32 s5, s6, s5
	s_mul_i32 s7, s7, s4
	s_mul_i32 s2, s2, s4
	s_add_i32 s5, s5, s7
	s_add_u32 s42, s22, s2
	s_addc_u32 s43, s23, s5
.LBB43_2:
	v_bfe_u32 v1, v0, 10, 10
	s_load_b128 s[4:7], s[0:1], 0x70
	v_and_b32_e32 v32, 0x3ff, v0
	s_delay_alu instid0(VALU_DEP_2) | instskip(NEXT) | instid1(VALU_DEP_2)
	v_lshl_add_u32 v33, s13, 2, v1
	v_lshlrev_b32_e32 v0, 3, v32
	s_delay_alu instid0(VALU_DEP_2) | instskip(NEXT) | instid1(VALU_DEP_1)
	v_mul_hi_u32 v2, s36, v33
	v_add_nc_u32_e32 v2, v33, v2
	s_waitcnt lgkmcnt(0)
	s_mul_i32 s2, s33, s6
	s_mul_i32 s6, s34, s5
	s_delay_alu instid0(VALU_DEP_1)
	v_lshrrev_b32_e32 v2, s37, v2
	s_ashr_i32 s7, s2, 31
	s_add_u32 s2, s16, s2
	s_addc_u32 s7, s17, s7
	s_ashr_i32 s11, s6, 31
	v_mul_lo_u32 v2, v2, s38
	s_add_u32 s2, s2, s6
	s_addc_u32 s6, s7, s11
	s_ashr_i32 s7, s4, 31
	s_delay_alu instid0(SALU_CYCLE_1) | instskip(SKIP_1) | instid1(VALU_DEP_2)
	v_alignbit_b32 v5, s7, s4, 2
	s_lshr_b32 s4, s7, 2
	v_sub_nc_u32_e32 v2, v33, v2
	s_delay_alu instid0(VALU_DEP_1) | instskip(NEXT) | instid1(VALU_DEP_1)
	v_mad_u64_u32 v[3:4], null, v5, v2, 0
	v_mad_u64_u32 v[5:6], null, s4, v2, v[4:5]
	s_and_b32 s4, s5, -4
	s_delay_alu instid0(VALU_DEP_1) | instskip(NEXT) | instid1(VALU_DEP_1)
	v_mov_b32_e32 v4, v5
	v_lshlrev_b64 v[3:4], 2, v[3:4]
	s_delay_alu instid0(VALU_DEP_1) | instskip(NEXT) | instid1(VALU_DEP_2)
	v_add_co_u32 v3, vcc_lo, s2, v3
	v_add_co_ci_u32_e32 v4, vcc_lo, s6, v4, vcc_lo
	s_ashr_i32 s2, s5, 31
	s_delay_alu instid0(VALU_DEP_2) | instskip(NEXT) | instid1(VALU_DEP_2)
	v_add_co_u32 v3, vcc_lo, v3, v0
	v_add_co_ci_u32_e32 v4, vcc_lo, 0, v4, vcc_lo
	v_lshlrev_b32_e32 v0, 6, v1
	s_delay_alu instid0(VALU_DEP_3) | instskip(NEXT) | instid1(VALU_DEP_3)
	v_add_co_u32 v5, vcc_lo, v3, s4
	v_add_co_ci_u32_e32 v6, vcc_lo, s2, v4, vcc_lo
	s_load_b32 s2, s[0:1], 0x40
	s_delay_alu instid0(VALU_DEP_3)
	v_add_lshl_u32 v0, v0, v32, 2
	s_clause 0x1
	global_load_b64 v[3:4], v[3:4], off
	global_load_b64 v[5:6], v[5:6], off
	s_cmp_eq_u64 s[26:27], 0
	v_add_nc_u32_e32 v0, 0x5000, v0
	s_waitcnt vmcnt(1) lgkmcnt(0)
	v_fma_mixlo_f16 v3, v3, s2, 0
	s_waitcnt vmcnt(0)
	v_fma_mixlo_f16 v5, v5, s2, 0
	s_delay_alu instid0(VALU_DEP_2) | instskip(NEXT) | instid1(VALU_DEP_2)
	v_fma_mixhi_f16 v3, v4, s2, 0
	v_fma_mixhi_f16 v5, v6, s2, 0
	ds_store_2addr_b32 v0, v3, v5 offset1:32
	s_waitcnt lgkmcnt(0)
	s_barrier
	buffer_gl0_inv
	s_cbranch_scc1 .LBB43_4
; %bb.3:
	s_load_b32 s2, s[0:1], 0xd0
	s_mov_b32 s5, 0
	s_waitcnt lgkmcnt(0)
	s_mul_i32 s2, s2, s33
	s_delay_alu instid0(SALU_CYCLE_1) | instskip(NEXT) | instid1(SALU_CYCLE_1)
	s_add_i32 s4, s2, s13
	s_lshl_b64 s[4:5], s[4:5], 2
	s_delay_alu instid0(SALU_CYCLE_1)
	s_add_u32 s4, s26, s4
	s_addc_u32 s5, s27, s5
	s_load_b32 s40, s[4:5], 0x0
.LBB43_4:
	v_mbcnt_lo_u32_b32 v69, -1, 0
	s_lshl_b32 s26, s14, 7
	s_waitcnt lgkmcnt(0)
	s_cmp_lt_i32 s26, s40
	s_cbranch_scc1 .LBB43_6
; %bb.5:
	v_mbcnt_lo_u32_b32 v0, -1, 0
	v_mov_b32_e32 v71, 32
	s_mov_b32 s2, 0
	s_mov_b32 s4, 0xfeffffff
	s_delay_alu instid0(VALU_DEP_2)
	v_xor_b32_e32 v78, 16, v0
	v_xor_b32_e32 v76, 8, v0
	;; [unrolled: 1-line block ×5, first 2 shown]
	s_branch .LBB43_7
.LBB43_6:
	s_mov_b32 s2, -1
                                        ; implicit-def: $sgpr4
                                        ; implicit-def: $vgpr0
                                        ; implicit-def: $vgpr71
                                        ; implicit-def: $vgpr78
                                        ; implicit-def: $vgpr76
                                        ; implicit-def: $vgpr75
                                        ; implicit-def: $vgpr74
                                        ; implicit-def: $vgpr72
.LBB43_7:
	s_delay_alu instid0(SALU_CYCLE_1) | instskip(SKIP_2) | instid1(VALU_DEP_3)
	v_cndmask_b32_e64 v3, 0, 1, s2
	v_dual_mov_b32 v68, s4 :: v_dual_mov_b32 v67, s4
	v_dual_mov_b32 v116, s2 :: v_dual_mov_b32 v115, s2
	v_cmp_ne_u32_e32 vcc_lo, 1, v3
	v_dual_mov_b32 v114, s2 :: v_dual_mov_b32 v87, s2
	s_cbranch_vccnz .LBB43_11
; %bb.8:
	s_clause 0x1
	s_load_b128 s[4:7], s[0:1], 0x98
	s_load_b64 s[12:13], s[0:1], 0x8c
	s_sub_i32 s2, 0, s8
	s_abs_i32 s11, s34
	s_mul_i32 s2, s2, s10
	s_ashr_i32 s15, s34, 31
	s_mul_hi_u32 s2, s10, s2
	s_ashr_i32 s9, s9, 31
	s_add_i32 s10, s10, s2
	s_ashr_i32 s2, s3, 1
	s_mul_hi_u32 s3, s11, s10
	s_ashr_i32 s10, s33, 31
	s_load_b64 s[16:17], s[0:1], 0xa8
	s_mul_i32 s22, s3, s8
	v_lshrrev_b32_e32 v0, 3, v32
	v_dual_mov_b32 v87, 0 :: v_dual_lshlrev_b32 v70, 2, v32
	v_mov_b32_e32 v114, 0
	v_lshl_add_u32 v79, v1, 8, 0x5000
	s_delay_alu instid0(VALU_DEP_4)
	v_lshl_add_u32 v14, v1, 2, v0
	s_waitcnt lgkmcnt(0)
	s_ashr_i32 s27, s6, 2
	s_mul_i32 s5, s33, s5
	s_mul_hi_u32 s6, s33, s4
	s_ashr_i32 s35, s12, 2
	s_mul_i32 s12, s10, s4
	s_add_i32 s5, s6, s5
	s_mul_i32 s4, s33, s4
	s_add_i32 s5, s5, s12
	s_add_u32 s4, s18, s4
	s_addc_u32 s5, s19, s5
	s_xor_b32 s6, s15, s9
	s_sub_i32 s9, s11, s22
	s_add_i32 s11, s3, 1
	s_sub_i32 s12, s9, s8
	s_cmp_ge_u32 s9, s8
	s_mul_i32 s10, s10, s16
	s_cselect_b32 s3, s11, s3
	s_cselect_b32 s9, s12, s9
	s_add_i32 s11, s3, 1
	s_cmp_ge_u32 s9, s8
	s_mul_i32 s8, s33, s17
	s_cselect_b32 s3, s11, s3
	s_mul_hi_u32 s9, s33, s16
	s_xor_b32 s3, s3, s6
	v_mul_lo_u32 v3, s35, v14
	s_sub_i32 s3, s3, s6
	v_mul_lo_u32 v0, s27, v14
	s_mul_i32 s6, s3, s13
	s_mul_i32 s11, s33, s16
	s_ashr_i32 s12, s6, 31
	s_add_u32 s36, s4, s6
	s_addc_u32 s37, s5, s12
	s_add_i32 s4, s9, s8
	s_mul_i32 s3, s3, s7
	s_add_i32 s4, s4, s10
	s_add_u32 s5, s20, s11
	s_addc_u32 s4, s21, s4
	s_ashr_i32 s6, s3, 31
	s_add_u32 s41, s5, s3
	s_addc_u32 s44, s4, s6
	s_lshl_b32 s3, s35, 4
	s_lshl_b32 s4, s27, 4
	v_dual_mov_b32 v68, 0xfeffffff :: v_dual_add_nc_u32 v5, s3, v3
	v_dual_mov_b32 v116, 0 :: v_dual_add_nc_u32 v13, s4, v0
	v_and_b32_e32 v31, 28, v70
	s_delay_alu instid0(VALU_DEP_3) | instskip(SKIP_1) | instid1(VALU_DEP_4)
	v_add_nc_u32_e32 v7, s3, v5
	v_ashrrev_i32_e32 v4, 31, v3
	v_add_nc_u32_e32 v17, s4, v13
	v_ashrrev_i32_e32 v6, 31, v5
	v_dual_mov_b32 v67, 0xfeffffff :: v_dual_lshlrev_b32 v18, 2, v31
	v_add_nc_u32_e32 v9, s3, v7
	s_delay_alu instid0(VALU_DEP_4) | instskip(SKIP_1) | instid1(VALU_DEP_4)
	v_add_nc_u32_e32 v21, s4, v17
	v_ashrrev_i32_e32 v8, 31, v7
	v_mad_u32_u24 v73, 0x90, v14, v18
	v_lshl_or_b32 v88, v14, 7, v18
	v_add_nc_u32_e32 v11, s3, v9
	v_add_nc_u32_e32 v25, s4, v21
	v_ashrrev_i32_e32 v10, 31, v9
	v_lshl_add_u32 v89, v1, 9, 0x4800
	v_ashrrev_i32_e32 v1, 31, v0
	v_add_nc_u32_e32 v15, s3, v11
	v_add_nc_u32_e32 v27, s4, v25
	v_ashrrev_i32_e32 v12, 31, v11
	v_ashrrev_i32_e32 v14, 31, v13
	v_ashrrev_i32_e32 v18, 31, v17
	v_add_nc_u32_e32 v19, s3, v15
	v_add_nc_u32_e32 v29, s4, v27
	v_ashrrev_i32_e32 v16, 31, v15
	v_ashrrev_i32_e32 v22, 31, v21
	;; [unrolled: 5-line block ×3, first 2 shown]
	v_ashrrev_i32_e32 v30, 31, v29
	v_ashrrev_i32_e32 v24, 31, v23
	;; [unrolled: 1-line block ×3, first 2 shown]
	v_mad_u64_u32 v[34:35], null, v2, s2, v[32:33]
	v_lshlrev_b64 v[35:36], 2, v[3:4]
	v_lshlrev_b64 v[37:38], 2, v[5:6]
	;; [unrolled: 1-line block ×16, first 2 shown]
	v_mul_u32_u24_e32 v77, 0x90, v32
	v_dual_mov_b32 v71, 32 :: v_dual_add_nc_u32 v80, 0x900, v73
	v_add_nc_u32_e32 v81, 0x1200, v73
	v_dual_mov_b32 v115, 0 :: v_dual_add_nc_u32 v82, 0x1b00, v73
	v_add_nc_u32_e32 v83, 0x2400, v73
	v_add_nc_u32_e32 v84, 0x2d00, v73
	;; [unrolled: 1-line block ×11, first 2 shown]
	v_lshlrev_b32_e32 v97, 2, v31
	v_xor_b32_e32 v78, 16, v69
	v_xor_b32_e32 v76, 8, v69
	;; [unrolled: 1-line block ×5, first 2 shown]
	v_add_nc_u32_e32 v98, v89, v70
	v_add_nc_u32_e32 v99, 0x400, v70
	v_add_nc_u32_e32 v100, 0x800, v70
	v_add_nc_u32_e32 v101, 0xc00, v70
	v_add_nc_u32_e32 v102, 0x1000, v70
	v_add_nc_u32_e32 v103, 0x1400, v70
	v_add_nc_u32_e32 v104, 0x1800, v70
	v_add_nc_u32_e32 v105, 0x1c00, v70
	v_add_nc_u32_e32 v106, 0x2000, v70
	v_add_nc_u32_e32 v107, 0x2400, v70
	v_add_nc_u32_e32 v108, 0x2800, v70
	v_add_nc_u32_e32 v109, 0x2c00, v70
	v_add_nc_u32_e32 v110, 0x3000, v70
	v_add_nc_u32_e32 v111, 0x3400, v70
	v_add_nc_u32_e32 v112, 0x3800, v70
	v_add_nc_u32_e32 v113, 0x3c00, v70
	s_add_u32 s22, s0, 0xd0
	s_addc_u32 s23, s1, 0
.LBB43_9:                               ; =>This Inner Loop Header: Depth=1
	s_mul_hi_i32 s3, s26, s35
	s_mul_i32 s2, s26, s35
	v_dual_mov_b32 v117, 0 :: v_dual_mov_b32 v118, 0
	s_lshl_b64 s[2:3], s[2:3], 2
	v_dual_mov_b32 v119, 0 :: v_dual_mov_b32 v120, 0
	s_add_u32 s8, s36, s2
	s_addc_u32 s9, s37, s3
	v_add_co_u32 v0, vcc_lo, s8, v37
	v_add_co_u32 v1, s2, s8, v39
	v_add_co_u32 v2, s3, s8, v41
	;; [unrolled: 1-line block ×7, first 2 shown]
	s_delay_alu instid0(VALU_DEP_1)
	v_add_co_ci_u32_e64 v10, s8, s9, v36, s8
	v_add_co_ci_u32_e32 v11, vcc_lo, s9, v38, vcc_lo
	v_add_co_ci_u32_e64 v13, vcc_lo, s9, v40, s2
	v_add_co_ci_u32_e64 v14, vcc_lo, s9, v42, s3
	v_add_co_ci_u32_e64 v15, vcc_lo, s9, v44, s4
	v_add_co_ci_u32_e64 v18, vcc_lo, s9, v46, s5
	v_add_co_ci_u32_e64 v19, vcc_lo, s9, v48, s6
	v_add_co_ci_u32_e64 v22, vcc_lo, s9, v50, s7
	v_add_co_u32 v4, vcc_lo, v0, v97
	v_add_co_u32 v0, s8, v9, v97
	v_add_co_u32 v8, s2, v1, v97
	v_add_co_ci_u32_e64 v1, s8, 0, v10, s8
	v_add_co_u32 v12, s3, v2, v97
	v_add_co_u32 v20, s5, v5, v97
	v_add_co_ci_u32_e32 v5, vcc_lo, 0, v11, vcc_lo
	v_add_co_u32 v16, s4, v3, v97
	v_add_co_u32 v24, s6, v6, v97
	;; [unrolled: 1-line block ×3, first 2 shown]
	v_add_co_ci_u32_e64 v9, vcc_lo, 0, v13, s2
	v_add_co_ci_u32_e64 v13, vcc_lo, 0, v14, s3
	;; [unrolled: 1-line block ×6, first 2 shown]
	s_clause 0x7
	global_load_b128 v[0:3], v[0:1], off
	global_load_b128 v[4:7], v[4:5], off
	;; [unrolled: 1-line block ×8, first 2 shown]
	v_dual_mov_b32 v124, 0 :: v_dual_add_nc_u32 v125, s26, v34
	v_dual_mov_b32 v123, 0 :: v_dual_mov_b32 v122, 0
	v_mov_b32_e32 v121, 0
	s_delay_alu instid0(VALU_DEP_3)
	v_ashrrev_i32_e32 v126, 31, v125
	v_cmp_gt_i32_e64 s2, 32, v78
	v_cmp_gt_i32_e64 s3, 32, v76
	s_mul_hi_i32 s7, s26, s27
	s_mul_i32 s6, s26, s27
	v_lshlrev_b64 v[125:126], 1, v[125:126]
	v_cmp_gt_i32_e64 s4, 32, v75
	v_cmp_gt_i32_e64 s5, 32, v74
	s_waitcnt vmcnt(7)
	ds_store_b128 v73, v[0:3]
	s_waitcnt vmcnt(6)
	ds_store_b128 v80, v[4:7]
	;; [unrolled: 2-line block ×8, first 2 shown]
	s_waitcnt lgkmcnt(0)
	s_barrier
	buffer_gl0_inv
	ds_load_b128 v[0:3], v77
	ds_load_b128 v[4:7], v79
	ds_load_b128 v[8:11], v79 offset:128
	ds_load_b128 v[12:15], v77 offset:4608
	;; [unrolled: 1-line block ×4, first 2 shown]
	s_waitcnt lgkmcnt(4)
	;;#ASMSTART
	v_dot2_f32_f16 v117, v0, v4, v117
	;;#ASMEND
	;;#ASMSTART
	v_dot2_f32_f16 v117, v1, v5, v117
	;;#ASMEND
	;;#ASMSTART
	v_dot2_f32_f16 v117, v2, v6, v117
	;;#ASMEND
	;;#ASMSTART
	v_dot2_f32_f16 v117, v3, v7, v117
	;;#ASMEND
	s_waitcnt lgkmcnt(3)
	;;#ASMSTART
	v_dot2_f32_f16 v118, v0, v8, v118
	;;#ASMEND
	;;#ASMSTART
	v_dot2_f32_f16 v118, v1, v9, v118
	;;#ASMEND
	;;#ASMSTART
	v_dot2_f32_f16 v118, v2, v10, v118
	;;#ASMEND
	;;#ASMSTART
	v_dot2_f32_f16 v118, v3, v11, v118
	;;#ASMEND
	;; [unrolled: 13-line block ×3, first 2 shown]
	;;#ASMSTART
	v_dot2_f32_f16 v120, v12, v8, v120
	;;#ASMEND
	;;#ASMSTART
	v_dot2_f32_f16 v120, v13, v9, v120
	;;#ASMEND
	;; [unrolled: 3-line block ×4, first 2 shown]
	s_waitcnt lgkmcnt(1)
	;;#ASMSTART
	v_dot2_f32_f16 v124, v16, v4, v124
	;;#ASMEND
	;;#ASMSTART
	v_dot2_f32_f16 v124, v17, v5, v124
	;;#ASMEND
	;; [unrolled: 3-line block ×8, first 2 shown]
	s_waitcnt lgkmcnt(0)
	;;#ASMSTART
	v_dot2_f32_f16 v121, v20, v4, v121
	;;#ASMEND
	;;#ASMSTART
	v_dot2_f32_f16 v121, v21, v5, v121
	;;#ASMEND
	;; [unrolled: 3-line block ×8, first 2 shown]
	ds_load_b128 v[0:3], v77 offset:16
	ds_load_b128 v[4:7], v79 offset:16
	;; [unrolled: 1-line block ×6, first 2 shown]
	s_waitcnt lgkmcnt(4)
	;;#ASMSTART
	v_dot2_f32_f16 v117, v0, v4, v117
	;;#ASMEND
	;;#ASMSTART
	v_dot2_f32_f16 v117, v1, v5, v117
	;;#ASMEND
	;;#ASMSTART
	v_dot2_f32_f16 v117, v2, v6, v117
	;;#ASMEND
	;;#ASMSTART
	v_dot2_f32_f16 v117, v3, v7, v117
	;;#ASMEND
	s_waitcnt lgkmcnt(3)
	;;#ASMSTART
	v_dot2_f32_f16 v118, v0, v8, v118
	;;#ASMEND
	;;#ASMSTART
	v_dot2_f32_f16 v118, v1, v9, v118
	;;#ASMEND
	;;#ASMSTART
	v_dot2_f32_f16 v118, v2, v10, v118
	;;#ASMEND
	;;#ASMSTART
	v_dot2_f32_f16 v118, v3, v11, v118
	;;#ASMEND
	;; [unrolled: 13-line block ×3, first 2 shown]
	;;#ASMSTART
	v_dot2_f32_f16 v120, v12, v8, v120
	;;#ASMEND
	;;#ASMSTART
	v_dot2_f32_f16 v120, v13, v9, v120
	;;#ASMEND
	;; [unrolled: 3-line block ×4, first 2 shown]
	s_waitcnt lgkmcnt(1)
	;;#ASMSTART
	v_dot2_f32_f16 v124, v16, v4, v124
	;;#ASMEND
	;;#ASMSTART
	v_dot2_f32_f16 v124, v17, v5, v124
	;;#ASMEND
	;; [unrolled: 3-line block ×8, first 2 shown]
	s_waitcnt lgkmcnt(0)
	;;#ASMSTART
	v_dot2_f32_f16 v121, v20, v4, v121
	;;#ASMEND
	;;#ASMSTART
	v_dot2_f32_f16 v121, v21, v5, v121
	;;#ASMEND
	;; [unrolled: 3-line block ×8, first 2 shown]
	ds_load_b128 v[0:3], v77 offset:32
	ds_load_b128 v[4:7], v79 offset:32
	;; [unrolled: 1-line block ×6, first 2 shown]
	s_waitcnt lgkmcnt(4)
	;;#ASMSTART
	v_dot2_f32_f16 v117, v0, v4, v117
	;;#ASMEND
	;;#ASMSTART
	v_dot2_f32_f16 v117, v1, v5, v117
	;;#ASMEND
	;;#ASMSTART
	v_dot2_f32_f16 v117, v2, v6, v117
	;;#ASMEND
	;;#ASMSTART
	v_dot2_f32_f16 v117, v3, v7, v117
	;;#ASMEND
	s_waitcnt lgkmcnt(3)
	;;#ASMSTART
	v_dot2_f32_f16 v118, v0, v8, v118
	;;#ASMEND
	;;#ASMSTART
	v_dot2_f32_f16 v118, v1, v9, v118
	;;#ASMEND
	;;#ASMSTART
	v_dot2_f32_f16 v118, v2, v10, v118
	;;#ASMEND
	;;#ASMSTART
	v_dot2_f32_f16 v118, v3, v11, v118
	;;#ASMEND
	;; [unrolled: 13-line block ×3, first 2 shown]
	;;#ASMSTART
	v_dot2_f32_f16 v120, v12, v8, v120
	;;#ASMEND
	;;#ASMSTART
	v_dot2_f32_f16 v120, v13, v9, v120
	;;#ASMEND
	;; [unrolled: 3-line block ×4, first 2 shown]
	s_waitcnt lgkmcnt(1)
	;;#ASMSTART
	v_dot2_f32_f16 v124, v16, v4, v124
	;;#ASMEND
	;;#ASMSTART
	v_dot2_f32_f16 v124, v17, v5, v124
	;;#ASMEND
	;; [unrolled: 3-line block ×8, first 2 shown]
	s_waitcnt lgkmcnt(0)
	;;#ASMSTART
	v_dot2_f32_f16 v121, v20, v4, v121
	;;#ASMEND
	;;#ASMSTART
	v_dot2_f32_f16 v121, v21, v5, v121
	;;#ASMEND
	;; [unrolled: 3-line block ×8, first 2 shown]
	ds_load_b128 v[0:3], v77 offset:48
	ds_load_b128 v[4:7], v79 offset:48
	;; [unrolled: 1-line block ×6, first 2 shown]
	s_waitcnt lgkmcnt(4)
	;;#ASMSTART
	v_dot2_f32_f16 v117, v0, v4, v117
	;;#ASMEND
	;;#ASMSTART
	v_dot2_f32_f16 v117, v1, v5, v117
	;;#ASMEND
	;;#ASMSTART
	v_dot2_f32_f16 v117, v2, v6, v117
	;;#ASMEND
	;;#ASMSTART
	v_dot2_f32_f16 v117, v3, v7, v117
	;;#ASMEND
	s_waitcnt lgkmcnt(3)
	;;#ASMSTART
	v_dot2_f32_f16 v118, v0, v8, v118
	;;#ASMEND
	;;#ASMSTART
	v_dot2_f32_f16 v118, v1, v9, v118
	;;#ASMEND
	;;#ASMSTART
	v_dot2_f32_f16 v118, v2, v10, v118
	;;#ASMEND
	;;#ASMSTART
	v_dot2_f32_f16 v118, v3, v11, v118
	;;#ASMEND
	;; [unrolled: 13-line block ×3, first 2 shown]
	;;#ASMSTART
	v_dot2_f32_f16 v120, v12, v8, v120
	;;#ASMEND
	;;#ASMSTART
	v_dot2_f32_f16 v120, v13, v9, v120
	;;#ASMEND
	;; [unrolled: 3-line block ×4, first 2 shown]
	s_waitcnt lgkmcnt(1)
	;;#ASMSTART
	v_dot2_f32_f16 v124, v16, v4, v124
	;;#ASMEND
	;;#ASMSTART
	v_dot2_f32_f16 v124, v17, v5, v124
	;;#ASMEND
	;; [unrolled: 3-line block ×8, first 2 shown]
	s_waitcnt lgkmcnt(0)
	;;#ASMSTART
	v_dot2_f32_f16 v121, v20, v4, v121
	;;#ASMEND
	;;#ASMSTART
	v_dot2_f32_f16 v121, v21, v5, v121
	;;#ASMEND
	;; [unrolled: 3-line block ×8, first 2 shown]
	ds_load_b128 v[0:3], v77 offset:64
	ds_load_b128 v[4:7], v79 offset:64
	;; [unrolled: 1-line block ×6, first 2 shown]
	s_waitcnt lgkmcnt(4)
	;;#ASMSTART
	v_dot2_f32_f16 v117, v0, v4, v117
	;;#ASMEND
	;;#ASMSTART
	v_dot2_f32_f16 v117, v1, v5, v117
	;;#ASMEND
	;;#ASMSTART
	v_dot2_f32_f16 v117, v2, v6, v117
	;;#ASMEND
	;;#ASMSTART
	v_dot2_f32_f16 v117, v3, v7, v117
	;;#ASMEND
	s_waitcnt lgkmcnt(3)
	;;#ASMSTART
	v_dot2_f32_f16 v118, v0, v8, v118
	;;#ASMEND
	;;#ASMSTART
	v_dot2_f32_f16 v118, v1, v9, v118
	;;#ASMEND
	;;#ASMSTART
	v_dot2_f32_f16 v118, v2, v10, v118
	;;#ASMEND
	;;#ASMSTART
	v_dot2_f32_f16 v118, v3, v11, v118
	;;#ASMEND
	;; [unrolled: 13-line block ×3, first 2 shown]
	;;#ASMSTART
	v_dot2_f32_f16 v120, v12, v8, v120
	;;#ASMEND
	;;#ASMSTART
	v_dot2_f32_f16 v120, v13, v9, v120
	;;#ASMEND
	;; [unrolled: 3-line block ×4, first 2 shown]
	s_waitcnt lgkmcnt(1)
	;;#ASMSTART
	v_dot2_f32_f16 v124, v16, v4, v124
	;;#ASMEND
	;;#ASMSTART
	v_dot2_f32_f16 v124, v17, v5, v124
	;;#ASMEND
	;; [unrolled: 3-line block ×8, first 2 shown]
	s_waitcnt lgkmcnt(0)
	;;#ASMSTART
	v_dot2_f32_f16 v121, v20, v4, v121
	;;#ASMEND
	;;#ASMSTART
	v_dot2_f32_f16 v121, v21, v5, v121
	;;#ASMEND
	;; [unrolled: 3-line block ×8, first 2 shown]
	ds_load_b128 v[0:3], v77 offset:80
	ds_load_b128 v[4:7], v79 offset:80
	;; [unrolled: 1-line block ×6, first 2 shown]
	s_waitcnt lgkmcnt(4)
	;;#ASMSTART
	v_dot2_f32_f16 v117, v0, v4, v117
	;;#ASMEND
	;;#ASMSTART
	v_dot2_f32_f16 v117, v1, v5, v117
	;;#ASMEND
	;;#ASMSTART
	v_dot2_f32_f16 v117, v2, v6, v117
	;;#ASMEND
	;;#ASMSTART
	v_dot2_f32_f16 v117, v3, v7, v117
	;;#ASMEND
	s_waitcnt lgkmcnt(3)
	;;#ASMSTART
	v_dot2_f32_f16 v118, v0, v8, v118
	;;#ASMEND
	;;#ASMSTART
	v_dot2_f32_f16 v118, v1, v9, v118
	;;#ASMEND
	;;#ASMSTART
	v_dot2_f32_f16 v118, v2, v10, v118
	;;#ASMEND
	;;#ASMSTART
	v_dot2_f32_f16 v118, v3, v11, v118
	;;#ASMEND
	;; [unrolled: 13-line block ×3, first 2 shown]
	;;#ASMSTART
	v_dot2_f32_f16 v120, v12, v8, v120
	;;#ASMEND
	;;#ASMSTART
	v_dot2_f32_f16 v120, v13, v9, v120
	;;#ASMEND
	;; [unrolled: 3-line block ×4, first 2 shown]
	s_waitcnt lgkmcnt(1)
	;;#ASMSTART
	v_dot2_f32_f16 v124, v16, v4, v124
	;;#ASMEND
	;;#ASMSTART
	v_dot2_f32_f16 v124, v17, v5, v124
	;;#ASMEND
	;; [unrolled: 3-line block ×8, first 2 shown]
	s_waitcnt lgkmcnt(0)
	;;#ASMSTART
	v_dot2_f32_f16 v121, v20, v4, v121
	;;#ASMEND
	;;#ASMSTART
	v_dot2_f32_f16 v121, v21, v5, v121
	;;#ASMEND
	;; [unrolled: 3-line block ×8, first 2 shown]
	ds_load_b128 v[0:3], v77 offset:96
	ds_load_b128 v[4:7], v79 offset:96
	;; [unrolled: 1-line block ×6, first 2 shown]
	s_waitcnt lgkmcnt(4)
	;;#ASMSTART
	v_dot2_f32_f16 v117, v0, v4, v117
	;;#ASMEND
	;;#ASMSTART
	v_dot2_f32_f16 v117, v1, v5, v117
	;;#ASMEND
	;;#ASMSTART
	v_dot2_f32_f16 v117, v2, v6, v117
	;;#ASMEND
	;;#ASMSTART
	v_dot2_f32_f16 v117, v3, v7, v117
	;;#ASMEND
	s_waitcnt lgkmcnt(3)
	;;#ASMSTART
	v_dot2_f32_f16 v118, v0, v8, v118
	;;#ASMEND
	;;#ASMSTART
	v_dot2_f32_f16 v118, v1, v9, v118
	;;#ASMEND
	;;#ASMSTART
	v_dot2_f32_f16 v118, v2, v10, v118
	;;#ASMEND
	;;#ASMSTART
	v_dot2_f32_f16 v118, v3, v11, v118
	;;#ASMEND
	;; [unrolled: 13-line block ×3, first 2 shown]
	;;#ASMSTART
	v_dot2_f32_f16 v120, v12, v8, v120
	;;#ASMEND
	;;#ASMSTART
	v_dot2_f32_f16 v120, v13, v9, v120
	;;#ASMEND
	;; [unrolled: 3-line block ×4, first 2 shown]
	s_waitcnt lgkmcnt(1)
	;;#ASMSTART
	v_dot2_f32_f16 v124, v16, v4, v124
	;;#ASMEND
	;;#ASMSTART
	v_dot2_f32_f16 v124, v17, v5, v124
	;;#ASMEND
	;; [unrolled: 3-line block ×8, first 2 shown]
	s_waitcnt lgkmcnt(0)
	;;#ASMSTART
	v_dot2_f32_f16 v121, v20, v4, v121
	;;#ASMEND
	;;#ASMSTART
	v_dot2_f32_f16 v121, v21, v5, v121
	;;#ASMEND
	;; [unrolled: 3-line block ×8, first 2 shown]
	ds_load_b128 v[0:3], v77 offset:112
	ds_load_b128 v[4:7], v79 offset:112
	;; [unrolled: 1-line block ×6, first 2 shown]
	s_waitcnt lgkmcnt(4)
	;;#ASMSTART
	v_dot2_f32_f16 v117, v0, v4, v117
	;;#ASMEND
	;;#ASMSTART
	v_dot2_f32_f16 v117, v1, v5, v117
	;;#ASMEND
	;; [unrolled: 3-line block ×4, first 2 shown]
	s_waitcnt lgkmcnt(3)
	;;#ASMSTART
	v_dot2_f32_f16 v118, v0, v8, v118
	;;#ASMEND
	v_mov_b32_e32 v0, v115
	;;#ASMSTART
	v_dot2_f32_f16 v118, v1, v9, v118
	;;#ASMEND
	;;#ASMSTART
	v_dot2_f32_f16 v118, v2, v10, v118
	;;#ASMEND
	;; [unrolled: 3-line block ×3, first 2 shown]
	s_waitcnt lgkmcnt(2)
	;;#ASMSTART
	v_dot2_f32_f16 v119, v12, v4, v119
	;;#ASMEND
	;;#ASMSTART
	v_dot2_f32_f16 v119, v13, v5, v119
	;;#ASMEND
	;; [unrolled: 3-line block ×8, first 2 shown]
	s_waitcnt lgkmcnt(1)
	;;#ASMSTART
	v_dot2_f32_f16 v124, v16, v4, v124
	;;#ASMEND
	;;#ASMSTART
	v_dot2_f32_f16 v124, v17, v5, v124
	;;#ASMEND
	;; [unrolled: 3-line block ×6, first 2 shown]
	v_add_co_u32 v125, vcc_lo, s42, v125
	;;#ASMSTART
	v_dot2_f32_f16 v123, v18, v10, v123
	;;#ASMEND
	;;#ASMSTART
	v_dot2_f32_f16 v123, v19, v11, v123
	;;#ASMEND
	s_waitcnt lgkmcnt(0)
	;;#ASMSTART
	v_dot2_f32_f16 v121, v20, v4, v121
	;;#ASMEND
	v_add_co_ci_u32_e32 v126, vcc_lo, s43, v126, vcc_lo
	;;#ASMSTART
	v_dot2_f32_f16 v121, v21, v5, v121
	;;#ASMEND
	;;#ASMSTART
	v_dot2_f32_f16 v121, v22, v6, v121
	;;#ASMEND
	;; [unrolled: 3-line block ×7, first 2 shown]
	s_clause 0x3
	flat_load_u16 v129, v[125:126] offset:64
	flat_load_u16 v130, v[125:126] offset:128
	flat_load_u16 v131, v[125:126]
	flat_load_u16 v132, v[125:126] offset:192
	v_cmp_gt_i32_e32 vcc_lo, 32, v72
	v_cndmask_b32_e64 v2, v69, v78, s2
	v_cndmask_b32_e64 v3, v69, v76, s3
	s_lshl_b64 s[2:3], s[6:7], 2
	v_dual_mov_b32 v115, v68 :: v_dual_cndmask_b32 v6, v69, v72
	s_add_u32 s8, s41, s2
	v_cndmask_b32_e64 v4, v69, v75, s4
	v_cndmask_b32_e64 v5, v69, v74, s5
	s_addc_u32 s9, s44, s3
	v_add_co_u32 v7, vcc_lo, s8, v53
	v_add_co_u32 v8, s2, s8, v55
	v_add_co_u32 v9, s3, s8, v57
	;; [unrolled: 1-line block ×7, first 2 shown]
	v_dual_mov_b32 v1, v116 :: v_dual_lshlrev_b32 v134, 2, v3
	v_add_co_ci_u32_e64 v3, s8, s9, v52, s8
	v_lshlrev_b32_e32 v137, 2, v6
	v_add_co_ci_u32_e32 v6, vcc_lo, s9, v54, vcc_lo
	v_add_co_ci_u32_e64 v17, vcc_lo, s9, v56, s2
	v_lshlrev_b32_e32 v135, 2, v4
	v_add_co_ci_u32_e64 v18, vcc_lo, s9, v58, s3
	v_add_co_ci_u32_e64 v19, vcc_lo, s9, v60, s4
	;; [unrolled: 1-line block ×5, first 2 shown]
	v_add_co_u32 v4, s8, v15, v97
	v_dual_mov_b32 v133, v67 :: v_dual_lshlrev_b32 v116, 2, v2
	v_add_co_u32 v2, vcc_lo, v7, v97
	v_lshlrev_b32_e32 v136, 2, v5
	v_add_co_u32 v12, s2, v8, v97
	v_add_co_ci_u32_e64 v5, s8, 0, v3, s8
	v_add_co_u32 v16, s3, v9, v97
	v_add_co_ci_u32_e32 v3, vcc_lo, 0, v6, vcc_lo
	v_add_co_u32 v20, s4, v10, v97
	v_add_co_u32 v24, s5, v11, v97
	v_add_co_u32 v28, s6, v13, v97
	v_add_co_ci_u32_e64 v13, vcc_lo, 0, v17, s2
	v_add_co_u32 v67, s7, v14, v97
	v_add_co_ci_u32_e64 v17, vcc_lo, 0, v18, s3
	v_add_co_ci_u32_e64 v21, vcc_lo, 0, v19, s4
	;; [unrolled: 1-line block ×5, first 2 shown]
	s_waitcnt vmcnt(0) lgkmcnt(0)
	s_barrier
	buffer_gl0_inv
	s_clause 0x7
	global_load_b128 v[4:7], v[4:5], off
	global_load_b128 v[8:11], v[2:3], off
	;; [unrolled: 1-line block ×8, first 2 shown]
	v_cvt_f32_f16_e64 v2, v129
	v_cvt_f32_f16_e64 v3, v130
	;; [unrolled: 1-line block ×4, first 2 shown]
	s_delay_alu instid0(VALU_DEP_3) | instskip(NEXT) | instid1(VALU_DEP_3)
	v_dual_add_f32 v119, v119, v2 :: v_dual_add_f32 v124, v124, v3
	v_dual_add_f32 v117, v117, v67 :: v_dual_add_f32 v2, v120, v2
	v_add_f32_e32 v3, v123, v3
	v_add_f32_e32 v118, v118, v67
	;; [unrolled: 1-line block ×3, first 2 shown]
	s_delay_alu instid0(VALU_DEP_4) | instskip(SKIP_1) | instid1(VALU_DEP_4)
	v_dual_add_f32 v121, v121, v68 :: v_dual_add_f32 v68, 0x40051340, v2
	v_dual_add_f32 v67, 0x40051340, v119 :: v_dual_add_f32 v122, 0x40051340, v117
	;; [unrolled: 1-line block ×3, first 2 shown]
	v_add_f32_e32 v129, 0x40051340, v124
	s_delay_alu instid0(VALU_DEP_4) | instskip(NEXT) | instid1(VALU_DEP_4)
	v_dual_add_f32 v131, 0x40051340, v121 :: v_dual_add_f32 v132, 0x40051340, v120
	v_max3_f32 v67, v133, v122, v67
	s_delay_alu instid0(VALU_DEP_4) | instskip(NEXT) | instid1(VALU_DEP_2)
	v_max3_f32 v68, v115, v123, v68
	v_max3_f32 v67, v67, v129, v131
	s_delay_alu instid0(VALU_DEP_2)
	v_max3_f32 v68, v68, v130, v132
	ds_bpermute_b32 v122, v116, v67
	ds_bpermute_b32 v116, v116, v68
	s_waitcnt lgkmcnt(1)
	v_max_f32_e32 v122, v122, v122
	s_waitcnt lgkmcnt(0)
	s_delay_alu instid0(VALU_DEP_1) | instskip(NEXT) | instid1(VALU_DEP_1)
	v_dual_max_f32 v116, v116, v116 :: v_dual_max_f32 v67, v67, v122
	v_max_f32_e32 v68, v68, v116
	ds_bpermute_b32 v116, v134, v67
	s_waitcnt lgkmcnt(0)
	v_max_f32_e32 v116, v116, v116
	s_delay_alu instid0(VALU_DEP_1) | instskip(SKIP_3) | instid1(VALU_DEP_1)
	v_max_f32_e32 v67, v67, v116
	ds_bpermute_b32 v116, v135, v67
	s_waitcnt lgkmcnt(0)
	v_max_f32_e32 v116, v116, v116
	v_max_f32_e32 v67, v67, v116
	ds_bpermute_b32 v116, v136, v67
	s_waitcnt lgkmcnt(0)
	v_max_f32_e32 v116, v116, v116
	s_delay_alu instid0(VALU_DEP_1) | instskip(SKIP_3) | instid1(VALU_DEP_1)
	v_max_f32_e32 v67, v67, v116
	ds_bpermute_b32 v116, v137, v67
	s_waitcnt lgkmcnt(0)
	v_max_f32_e32 v116, v116, v116
	v_max_f32_e32 v67, v67, v116
	s_delay_alu instid0(VALU_DEP_1) | instskip(SKIP_4) | instid1(VALU_DEP_3)
	v_sub_f32_e32 v119, v119, v67
	ds_bpermute_b32 v122, v134, v68
	v_sub_f32_e32 v121, v121, v67
	v_mul_f32_e32 v123, 0x3fb8aa3b, v119
	v_cmp_ngt_f32_e64 s10, 0xc2ce8ed0, v119
	v_mul_f32_e32 v131, 0x3fb8aa3b, v121
	v_cmp_ngt_f32_e64 s4, 0xc2ce8ed0, v121
	v_cmp_nlt_f32_e64 s15, 0x42b17218, v121
	v_rndne_f32_e32 v138, v123
	v_cmp_nlt_f32_e64 s21, 0x42b17218, v119
	v_fma_f32 v145, 0x3fb8aa3b, v121, -v131
	v_rndne_f32_e32 v146, v131
	s_delay_alu instid0(VALU_DEP_2) | instskip(NEXT) | instid1(VALU_DEP_2)
	v_fmac_f32_e32 v145, 0x32a5705f, v121
	v_sub_f32_e32 v121, v131, v146
	v_cvt_i32_f32_e32 v131, v146
	s_waitcnt lgkmcnt(0)
	v_max_f32_e32 v122, v122, v122
	s_delay_alu instid0(VALU_DEP_1) | instskip(SKIP_3) | instid1(VALU_DEP_1)
	v_max_f32_e32 v68, v68, v122
	ds_bpermute_b32 v122, v135, v68
	s_waitcnt lgkmcnt(0)
	v_max_f32_e32 v122, v122, v122
	v_max_f32_e32 v68, v68, v122
	ds_bpermute_b32 v122, v136, v68
	s_waitcnt lgkmcnt(0)
	v_max_f32_e32 v122, v122, v122
	s_delay_alu instid0(VALU_DEP_1) | instskip(SKIP_2) | instid1(VALU_DEP_1)
	v_max_f32_e32 v68, v68, v122
	ds_bpermute_b32 v122, v137, v68
	v_fma_f32 v137, 0x3fb8aa3b, v119, -v123
	v_fmac_f32_e32 v137, 0x32a5705f, v119
	v_sub_f32_e32 v119, v123, v138
	v_cvt_i32_f32_e32 v123, v138
	s_delay_alu instid0(VALU_DEP_2) | instskip(NEXT) | instid1(VALU_DEP_1)
	v_add_f32_e32 v119, v119, v137
	v_exp_f32_e32 v119, v119
	s_waitcnt lgkmcnt(0)
	v_max_f32_e32 v122, v122, v122
	s_delay_alu instid0(VALU_DEP_1)
	v_dual_max_f32 v68, v68, v122 :: v_dual_sub_f32 v117, v117, v67
	v_sub_f32_e32 v122, v124, v67
	s_waitcnt_depctr 0xfff
	v_ldexp_f32 v119, v119, v123
	v_sub_f32_e32 v3, v3, v68
	v_dual_mul_f32 v129, 0x3fb8aa3b, v117 :: v_dual_sub_f32 v118, v118, v68
	v_sub_f32_e32 v115, v115, v68
	v_cmp_ngt_f32_e64 s2, 0xc2ce8ed0, v117
	s_delay_alu instid0(VALU_DEP_4) | instskip(NEXT) | instid1(VALU_DEP_4)
	v_mul_f32_e32 v134, 0x3fb8aa3b, v3
	v_fma_f32 v141, 0x3fb8aa3b, v117, -v129
	v_sub_f32_e32 v120, v120, v68
	v_mul_f32_e32 v136, 0x3fb8aa3b, v115
	v_cmp_ngt_f32_e64 s7, 0xc2ce8ed0, v3
	v_fma_f32 v151, 0x3fb8aa3b, v3, -v134
	v_rndne_f32_e32 v152, v134
	v_mul_f32_e32 v124, 0x3fb8aa3b, v118
	v_fmac_f32_e32 v141, 0x32a5705f, v117
	v_mul_f32_e32 v135, 0x3fb8aa3b, v120
	v_cmp_nlt_f32_e64 s18, 0x42b17218, v3
	v_fma_f32 v155, 0x3fb8aa3b, v115, -v136
	v_rndne_f32_e32 v156, v136
	v_mul_f32_e32 v130, 0x3fb8aa3b, v122
	v_rndne_f32_e32 v154, v135
	v_fmac_f32_e32 v151, 0x32a5705f, v3
	v_sub_f32_e32 v3, v134, v152
	v_fma_f32 v139, 0x3fb8aa3b, v118, -v124
	v_sub_f32_e32 v2, v2, v68
	v_rndne_f32_e32 v140, v124
	v_cmp_ngt_f32_e32 vcc_lo, 0xc2ce8ed0, v118
	v_cmp_ngt_f32_e64 s9, 0xc2ce8ed0, v115
	v_dual_fmac_f32 v139, 0x32a5705f, v118 :: v_dual_sub_f32 v116, v133, v67
	v_mul_f32_e32 v133, 0x3fb8aa3b, v2
	v_cmp_nlt_f32_e64 s11, 0x42b17218, v118
	v_cmp_nlt_f32_e64 s20, 0x42b17218, v115
	v_rndne_f32_e32 v142, v129
	v_mul_f32_e32 v132, 0x3fb8aa3b, v116
	v_fma_f32 v153, 0x3fb8aa3b, v120, -v135
	v_fmac_f32_e32 v155, 0x32a5705f, v115
	v_sub_f32_e32 v115, v136, v156
	v_fma_f32 v143, 0x3fb8aa3b, v122, -v130
	v_sub_f32_e32 v118, v124, v140
	v_cmp_nlt_f32_e64 s12, 0x42b17218, v117
	v_rndne_f32_e32 v144, v130
	v_fma_f32 v149, 0x3fb8aa3b, v2, -v133
	v_fmac_f32_e32 v143, 0x32a5705f, v122
	v_rndne_f32_e32 v150, v133
	v_sub_f32_e32 v117, v129, v142
	v_fma_f32 v147, 0x3fb8aa3b, v116, -v132
	v_rndne_f32_e32 v148, v132
	v_dual_fmac_f32 v153, 0x32a5705f, v120 :: v_dual_add_f32 v118, v118, v139
	v_cmp_ngt_f32_e64 s3, 0xc2ce8ed0, v122
	v_cmp_ngt_f32_e64 s5, 0xc2ce8ed0, v116
	;; [unrolled: 1-line block ×3, first 2 shown]
	v_cmp_nlt_f32_e64 s13, 0x42b17218, v122
	v_cmp_nlt_f32_e64 s16, 0x42b17218, v116
	;; [unrolled: 1-line block ×3, first 2 shown]
	v_dual_sub_f32 v122, v130, v144 :: v_dual_fmac_f32 v149, 0x32a5705f, v2
	v_dual_fmac_f32 v147, 0x32a5705f, v116 :: v_dual_sub_f32 v2, v133, v150
	v_sub_f32_e32 v116, v132, v148
	v_exp_f32_e32 v118, v118
	v_cmp_ngt_f32_e64 s8, 0xc2ce8ed0, v120
	v_cmp_nlt_f32_e64 s19, 0x42b17218, v120
	v_sub_f32_e32 v120, v135, v154
	v_cvt_i32_f32_e32 v124, v140
	v_dual_add_f32 v117, v117, v141 :: v_dual_add_f32 v122, v122, v143
	v_dual_add_f32 v121, v121, v145 :: v_dual_add_f32 v116, v116, v147
	;; [unrolled: 1-line block ×3, first 2 shown]
	v_add_f32_e32 v120, v120, v153
	s_delay_alu instid0(VALU_DEP_4) | instskip(NEXT) | instid1(VALU_DEP_3)
	v_exp_f32_e32 v117, v117
	v_exp_f32_e32 v116, v116
	s_delay_alu instid0(VALU_DEP_2)
	v_exp_f32_e32 v2, v2
	v_ldexp_f32 v118, v118, v124
	v_add_f32_e32 v115, v115, v155
	v_exp_f32_e32 v122, v122
	v_exp_f32_e32 v121, v121
	;; [unrolled: 1-line block ×3, first 2 shown]
	v_cndmask_b32_e32 v118, 0, v118, vcc_lo
	v_exp_f32_e32 v120, v120
	v_cvt_i32_f32_e32 v129, v142
	v_cvt_i32_f32_e32 v132, v148
	;; [unrolled: 1-line block ×3, first 2 shown]
	v_exp_f32_e32 v115, v115
	v_cvt_i32_f32_e32 v130, v144
	v_cvt_i32_f32_e32 v134, v152
	;; [unrolled: 1-line block ×4, first 2 shown]
	v_ldexp_f32 v117, v117, v129
	v_ldexp_f32 v116, v116, v132
	;; [unrolled: 1-line block ×8, first 2 shown]
	v_cndmask_b32_e64 v119, 0, v119, s10
	v_cndmask_b32_e64 v117, 0, v117, s2
	;; [unrolled: 1-line block ×19, first 2 shown]
	v_add_f32_e32 v115, v117, v119
	v_cvt_f16_f32_e32 v119, v119
	v_cvt_f16_f32_e64 v130, v118
	v_add_f32_e32 v118, v118, v116
	v_cvt_f16_f32_e32 v117, v117
	v_cvt_f16_f32_e32 v116, v116
	;; [unrolled: 1-line block ×3, first 2 shown]
	v_cvt_f16_f32_e64 v129, v121
	v_cvt_f16_f32_e64 v131, v123
	v_cvt_f16_f32_e64 v132, v120
	v_dual_add_f32 v115, v122, v115 :: v_dual_add_f32 v118, v123, v118
	v_pack_b32_f16 v117, v117, v130
	v_pack_b32_f16 v119, v119, v116
	;; [unrolled: 1-line block ×4, first 2 shown]
	v_dual_add_f32 v115, v121, v115 :: v_dual_add_f32 v116, v120, v118
	ds_store_2addr_b32 v98, v117, v119 offset1:32
	ds_store_2addr_b32 v98, v122, v123 offset0:64 offset1:96
	s_waitcnt vmcnt(7)
	ds_store_b128 v88, v[4:7]
	s_waitcnt vmcnt(6)
	ds_store_b128 v90, v[8:11]
	;; [unrolled: 2-line block ×8, first 2 shown]
	s_waitcnt lgkmcnt(0)
	s_barrier
	buffer_gl0_inv
	ds_load_2addr_b32 v[160:161], v70 offset1:32
	ds_load_2addr_b32 v[162:163], v70 offset0:64 offset1:96
	ds_load_2addr_b32 v[164:165], v70 offset0:128 offset1:160
	ds_load_b128 v[4:7], v89
	ds_load_b128 v[8:11], v89 offset:16
	ds_load_2addr_b32 v[166:167], v70 offset0:192 offset1:224
	ds_load_2addr_b32 v[168:169], v99 offset1:32
	ds_load_2addr_b32 v[170:171], v99 offset0:64 offset1:96
	ds_load_2addr_b32 v[172:173], v99 offset0:128 offset1:160
	ds_load_b128 v[12:15], v89 offset:32
	ds_load_b128 v[16:19], v89 offset:48
	ds_load_2addr_b32 v[174:175], v99 offset0:192 offset1:224
	ds_load_2addr_b32 v[176:177], v100 offset1:32
	ds_load_2addr_b32 v[178:179], v100 offset0:64 offset1:96
	ds_load_2addr_b32 v[180:181], v100 offset0:128 offset1:160
	ds_load_b128 v[20:23], v89 offset:64
	;; [unrolled: 6-line block ×8, first 2 shown]
	v_cvt_f16_f32_e64 v157, v2
	v_cvt_f16_f32_e64 v158, v3
	s_waitcnt lgkmcnt(48)
	v_pk_mul_f16 v159, v160, v4 op_sel_hi:[1,0]
	v_pk_mul_f16 v4, v160, v4 op_sel:[0,1]
	ds_load_2addr_b32 v[230:231], v106 offset0:192 offset1:224
	v_dual_fmac_f32 v115, v0, v2 :: v_dual_fmac_f32 v116, v1, v3
	v_pk_fma_f16 v114, v157, v114, v159 op_sel_hi:[0,1,1]
	v_pk_fma_f16 v4, v87, v158, v4 op_sel_hi:[1,0,1]
	ds_load_b128 v[157:160], v89 offset:272
	v_pk_fma_f16 v87, v161, v5, v114 op_sel_hi:[1,0,1]
	v_pk_fma_f16 v4, v161, v5, v4 op_sel:[0,1,0]
	s_delay_alu instid0(VALU_DEP_2) | instskip(NEXT) | instid1(VALU_DEP_2)
	v_pk_fma_f16 v5, v162, v6, v87 op_sel_hi:[1,0,1]
	v_pk_fma_f16 v4, v162, v6, v4 op_sel:[0,1,0]
	ds_load_2addr_b32 v[161:162], v107 offset1:32
	ds_load_2addr_b32 v[232:233], v107 offset0:64 offset1:96
	ds_load_2addr_b32 v[234:235], v107 offset0:128 offset1:160
	v_pk_fma_f16 v5, v163, v7, v5 op_sel_hi:[1,0,1]
	v_pk_fma_f16 v4, v163, v7, v4 op_sel:[0,1,0]
	s_waitcnt lgkmcnt(52)
	s_delay_alu instid0(VALU_DEP_2) | instskip(NEXT) | instid1(VALU_DEP_2)
	v_pk_fma_f16 v5, v164, v8, v5 op_sel_hi:[1,0,1]
	v_pk_fma_f16 v4, v164, v8, v4 op_sel:[0,1,0]
	s_delay_alu instid0(VALU_DEP_2) | instskip(NEXT) | instid1(VALU_DEP_2)
	v_pk_fma_f16 v5, v165, v9, v5 op_sel_hi:[1,0,1]
	v_pk_fma_f16 v4, v165, v9, v4 op_sel:[0,1,0]
	s_waitcnt lgkmcnt(51)
	s_delay_alu instid0(VALU_DEP_2) | instskip(NEXT) | instid1(VALU_DEP_2)
	v_pk_fma_f16 v5, v166, v10, v5 op_sel_hi:[1,0,1]
	v_pk_fma_f16 v4, v166, v10, v4 op_sel:[0,1,0]
	s_delay_alu instid0(VALU_DEP_2) | instskip(NEXT) | instid1(VALU_DEP_2)
	v_pk_fma_f16 v87, v167, v11, v5 op_sel_hi:[1,0,1]
	v_pk_fma_f16 v114, v167, v11, v4 op_sel:[0,1,0]
	ds_load_b128 v[4:7], v89 offset:288
	ds_load_b128 v[8:11], v89 offset:304
	ds_load_2addr_b32 v[163:164], v107 offset0:192 offset1:224
	s_waitcnt lgkmcnt(50)
	v_pk_fma_f16 v87, v168, v12, v87 op_sel_hi:[1,0,1]
	v_pk_fma_f16 v12, v168, v12, v114 op_sel:[0,1,0]
	s_delay_alu instid0(VALU_DEP_2) | instskip(NEXT) | instid1(VALU_DEP_2)
	v_pk_fma_f16 v87, v169, v13, v87 op_sel_hi:[1,0,1]
	v_pk_fma_f16 v12, v169, v13, v12 op_sel:[0,1,0]
	s_delay_alu instid0(VALU_DEP_2) | instskip(NEXT) | instid1(VALU_DEP_2)
	v_pk_fma_f16 v13, v170, v14, v87 op_sel_hi:[1,0,1]
	v_pk_fma_f16 v12, v170, v14, v12 op_sel:[0,1,0]
	ds_load_2addr_b32 v[165:166], v108 offset1:32
	ds_load_2addr_b32 v[167:168], v108 offset0:64 offset1:96
	ds_load_2addr_b32 v[169:170], v108 offset0:128 offset1:160
	v_pk_fma_f16 v13, v171, v15, v13 op_sel_hi:[1,0,1]
	v_pk_fma_f16 v12, v171, v15, v12 op_sel:[0,1,0]
	s_waitcnt lgkmcnt(52)
	s_delay_alu instid0(VALU_DEP_2) | instskip(NEXT) | instid1(VALU_DEP_2)
	v_pk_fma_f16 v13, v172, v16, v13 op_sel_hi:[1,0,1]
	v_pk_fma_f16 v12, v172, v16, v12 op_sel:[0,1,0]
	s_delay_alu instid0(VALU_DEP_2) | instskip(NEXT) | instid1(VALU_DEP_2)
	v_pk_fma_f16 v13, v173, v17, v13 op_sel_hi:[1,0,1]
	v_pk_fma_f16 v12, v173, v17, v12 op_sel:[0,1,0]
	s_waitcnt lgkmcnt(51)
	s_delay_alu instid0(VALU_DEP_2) | instskip(NEXT) | instid1(VALU_DEP_2)
	v_pk_fma_f16 v13, v174, v18, v13 op_sel_hi:[1,0,1]
	v_pk_fma_f16 v12, v174, v18, v12 op_sel:[0,1,0]
	s_delay_alu instid0(VALU_DEP_2) | instskip(NEXT) | instid1(VALU_DEP_2)
	v_pk_fma_f16 v87, v175, v19, v13 op_sel_hi:[1,0,1]
	v_pk_fma_f16 v114, v175, v19, v12 op_sel:[0,1,0]
	ds_load_b128 v[12:15], v89 offset:320
	ds_load_b128 v[16:19], v89 offset:336
	ds_load_2addr_b32 v[171:172], v108 offset0:192 offset1:224
	s_waitcnt lgkmcnt(50)
	v_pk_fma_f16 v87, v176, v20, v87 op_sel_hi:[1,0,1]
	v_pk_fma_f16 v20, v176, v20, v114 op_sel:[0,1,0]
	s_delay_alu instid0(VALU_DEP_2) | instskip(NEXT) | instid1(VALU_DEP_2)
	;; [unrolled: 31-line block ×6, first 2 shown]
	v_pk_fma_f16 v87, v209, v138, v87 op_sel_hi:[1,0,1]
	v_pk_fma_f16 v114, v209, v138, v114 op_sel:[0,1,0]
	s_delay_alu instid0(VALU_DEP_2) | instskip(NEXT) | instid1(VALU_DEP_2)
	v_pk_fma_f16 v87, v210, v139, v87 op_sel_hi:[1,0,1]
	v_pk_fma_f16 v114, v210, v139, v114 op_sel:[0,1,0]
	ds_load_2addr_b32 v[205:206], v113 offset1:32
	ds_load_2addr_b32 v[207:208], v113 offset0:64 offset1:96
	ds_load_2addr_b32 v[209:210], v113 offset0:128 offset1:160
	v_pk_fma_f16 v87, v211, v140, v87 op_sel_hi:[1,0,1]
	v_pk_fma_f16 v114, v211, v140, v114 op_sel:[0,1,0]
	s_waitcnt lgkmcnt(52)
	s_delay_alu instid0(VALU_DEP_2) | instskip(NEXT) | instid1(VALU_DEP_2)
	v_pk_fma_f16 v87, v212, v141, v87 op_sel_hi:[1,0,1]
	v_pk_fma_f16 v114, v212, v141, v114 op_sel:[0,1,0]
	s_delay_alu instid0(VALU_DEP_2) | instskip(NEXT) | instid1(VALU_DEP_2)
	v_pk_fma_f16 v87, v213, v142, v87 op_sel_hi:[1,0,1]
	v_pk_fma_f16 v114, v213, v142, v114 op_sel:[0,1,0]
	s_waitcnt lgkmcnt(51)
	s_delay_alu instid0(VALU_DEP_2) | instskip(NEXT) | instid1(VALU_DEP_2)
	v_pk_fma_f16 v87, v214, v143, v87 op_sel_hi:[1,0,1]
	v_pk_fma_f16 v114, v214, v143, v114 op_sel:[0,1,0]
	s_delay_alu instid0(VALU_DEP_2) | instskip(NEXT) | instid1(VALU_DEP_2)
	v_pk_fma_f16 v87, v215, v144, v87 op_sel_hi:[1,0,1]
	v_pk_fma_f16 v114, v215, v144, v114 op_sel:[0,1,0]
	ds_load_b128 v[137:140], v89 offset:480
	ds_load_b128 v[141:144], v89 offset:496
	s_waitcnt lgkmcnt(49)
	v_pk_fma_f16 v87, v216, v145, v87 op_sel_hi:[1,0,1]
	v_pk_fma_f16 v114, v216, v145, v114 op_sel:[0,1,0]
	s_delay_alu instid0(VALU_DEP_2) | instskip(NEXT) | instid1(VALU_DEP_2)
	v_pk_fma_f16 v87, v217, v146, v87 op_sel_hi:[1,0,1]
	v_pk_fma_f16 v114, v217, v146, v114 op_sel:[0,1,0]
	ds_load_2addr_b32 v[145:146], v113 offset0:192 offset1:224
	s_waitcnt lgkmcnt(0)
	s_barrier
	v_pk_fma_f16 v87, v218, v147, v87 op_sel_hi:[1,0,1]
	v_pk_fma_f16 v114, v218, v147, v114 op_sel:[0,1,0]
	buffer_gl0_inv
	s_load_b32 s2, s[22:23], 0x4
	v_pk_fma_f16 v87, v219, v148, v87 op_sel_hi:[1,0,1]
	v_pk_fma_f16 v114, v219, v148, v114 op_sel:[0,1,0]
	s_delay_alu instid0(VALU_DEP_2) | instskip(NEXT) | instid1(VALU_DEP_2)
	v_pk_fma_f16 v87, v220, v149, v87 op_sel_hi:[1,0,1]
	v_pk_fma_f16 v114, v220, v149, v114 op_sel:[0,1,0]
	s_delay_alu instid0(VALU_DEP_2) | instskip(NEXT) | instid1(VALU_DEP_2)
	v_pk_fma_f16 v87, v221, v150, v87 op_sel_hi:[1,0,1]
	v_pk_fma_f16 v114, v221, v150, v114 op_sel:[0,1,0]
	s_delay_alu instid0(VALU_DEP_2) | instskip(NEXT) | instid1(VALU_DEP_2)
	v_pk_fma_f16 v87, v222, v151, v87 op_sel_hi:[1,0,1]
	v_pk_fma_f16 v114, v222, v151, v114 op_sel:[0,1,0]
	s_waitcnt lgkmcnt(0)
	s_lshl_b32 s2, s2, 7
	s_delay_alu instid0(VALU_DEP_2) | instskip(NEXT) | instid1(VALU_DEP_2)
	v_pk_fma_f16 v87, v223, v152, v87 op_sel_hi:[1,0,1]
	v_pk_fma_f16 v114, v223, v152, v114 op_sel:[0,1,0]
	s_add_i32 s26, s2, s26
	s_delay_alu instid0(SALU_CYCLE_1) | instskip(NEXT) | instid1(VALU_DEP_2)
	s_cmp_ge_i32 s26, s40
	v_pk_fma_f16 v87, v224, v153, v87 op_sel_hi:[1,0,1]
	s_delay_alu instid0(VALU_DEP_2) | instskip(NEXT) | instid1(VALU_DEP_2)
	v_pk_fma_f16 v114, v224, v153, v114 op_sel:[0,1,0]
	v_pk_fma_f16 v87, v225, v154, v87 op_sel_hi:[1,0,1]
	s_delay_alu instid0(VALU_DEP_2) | instskip(NEXT) | instid1(VALU_DEP_2)
	v_pk_fma_f16 v114, v225, v154, v114 op_sel:[0,1,0]
	;; [unrolled: 3-line block ×63, first 2 shown]
	v_pk_fma_f16 v114, v146, v144, v0 op_sel_hi:[1,0,1]
	s_delay_alu instid0(VALU_DEP_2)
	v_pk_fma_f16 v87, v146, v144, v1 op_sel:[0,1,0]
	s_cbranch_scc0 .LBB43_9
; %bb.10:
	v_mov_b32_e32 v0, v69
.LBB43_11:
	v_cmp_lt_i32_e32 vcc_lo, v78, v71
	v_lshlrev_b32_e32 v6, 1, v32
	s_cmp_lg_u64 s[24:25], 0
	s_cselect_b32 s2, -1, 0
	v_cndmask_b32_e32 v1, v0, v78, vcc_lo
	v_cmp_lt_i32_e32 vcc_lo, v76, v71
	s_cmp_eq_u32 s14, 0
	s_cselect_b32 s3, -1, 0
	s_delay_alu instid0(VALU_DEP_2)
	v_lshlrev_b32_e32 v1, 2, v1
	v_cndmask_b32_e32 v3, v0, v76, vcc_lo
	v_cmp_lt_i32_e32 vcc_lo, v75, v71
	s_and_b32 s2, s3, s2
	ds_bpermute_b32 v2, v1, v115
	v_cndmask_b32_e32 v5, v0, v75, vcc_lo
	v_cmp_lt_i32_e32 vcc_lo, v74, v71
	s_waitcnt lgkmcnt(0)
	s_delay_alu instid0(VALU_DEP_2)
	v_dual_add_f32 v2, v115, v2 :: v_dual_lshlrev_b32 v5, 2, v5
	v_lshlrev_b32_e32 v3, 2, v3
	ds_bpermute_b32 v1, v1, v116
	ds_bpermute_b32 v4, v3, v2
	s_waitcnt lgkmcnt(0)
	v_dual_add_f32 v2, v2, v4 :: v_dual_add_f32 v1, v116, v1
	ds_bpermute_b32 v3, v3, v1
	s_waitcnt lgkmcnt(0)
	v_add_f32_e32 v1, v1, v3
	ds_bpermute_b32 v3, v5, v2
	ds_bpermute_b32 v4, v5, v1
	s_waitcnt lgkmcnt(1)
	v_dual_add_f32 v2, v2, v3 :: v_dual_cndmask_b32 v5, v0, v74
	v_cmp_lt_i32_e32 vcc_lo, v72, v71
	s_waitcnt lgkmcnt(0)
	v_add_f32_e32 v1, v1, v4
	s_delay_alu instid0(VALU_DEP_3)
	v_dual_cndmask_b32 v0, v0, v72 :: v_dual_lshlrev_b32 v5, 2, v5
	s_and_b32 vcc_lo, exec_lo, s2
	ds_bpermute_b32 v3, v5, v2
	ds_bpermute_b32 v4, v5, v1
	v_lshlrev_b32_e32 v0, 2, v0
	s_waitcnt lgkmcnt(0)
	v_dual_add_f32 v2, v2, v3 :: v_dual_add_f32 v1, v1, v4
	ds_bpermute_b32 v3, v0, v2
	ds_bpermute_b32 v4, v0, v1
	s_waitcnt lgkmcnt(0)
	v_dual_add_f32 v0, v2, v3 :: v_dual_add_f32 v1, v1, v4
	s_cbranch_vccz .LBB43_14
; %bb.12:
	s_ashr_i32 s35, s34, 31
	v_dual_mov_b32 v2, 0 :: v_dual_max_f32 v7, v68, v68
	s_lshl_b64 s[2:3], s[34:35], 2
	s_delay_alu instid0(SALU_CYCLE_1)
	s_add_u32 s2, s24, s2
	s_addc_u32 s3, s25, s3
	global_load_b64 v[2:3], v2, s[2:3]
	s_waitcnt vmcnt(0)
	v_dual_max_f32 v4, v67, v67 :: v_dual_max_f32 v5, v2, v2
	v_max_f32_e32 v8, v3, v3
	s_delay_alu instid0(VALU_DEP_1) | instskip(NEXT) | instid1(VALU_DEP_1)
	v_dual_max_f32 v4, v4, v5 :: v_dual_max_f32 v5, v7, v8
	v_dual_sub_f32 v7, v67, v4 :: v_dual_sub_f32 v8, v68, v5
	v_dual_sub_f32 v2, v2, v4 :: v_dual_sub_f32 v3, v3, v5
	s_delay_alu instid0(VALU_DEP_2) | instskip(NEXT) | instid1(VALU_DEP_2)
	v_dual_mov_b32 v68, v5 :: v_dual_mul_f32 v9, 0x3fb8aa3b, v7
	v_dual_mul_f32 v11, 0x3fb8aa3b, v8 :: v_dual_mul_f32 v10, 0x3fb8aa3b, v2
	s_delay_alu instid0(VALU_DEP_3) | instskip(SKIP_1) | instid1(VALU_DEP_4)
	v_mul_f32_e32 v12, 0x3fb8aa3b, v3
	v_cmp_ngt_f32_e32 vcc_lo, 0xc2ce8ed0, v7
	v_fma_f32 v13, 0x3fb8aa3b, v7, -v9
	v_rndne_f32_e32 v14, v9
	v_fma_f32 v15, 0x3fb8aa3b, v2, -v10
	v_rndne_f32_e32 v16, v10
	v_fma_f32 v17, 0x3fb8aa3b, v8, -v11
	v_fmac_f32_e32 v13, 0x32a5705f, v7
	v_sub_f32_e32 v9, v9, v14
	v_rndne_f32_e32 v20, v12
	v_dual_sub_f32 v10, v10, v16 :: v_dual_fmac_f32 v15, 0x32a5705f, v2
	v_fma_f32 v19, 0x3fb8aa3b, v3, -v12
	s_delay_alu instid0(VALU_DEP_3) | instskip(NEXT) | instid1(VALU_DEP_3)
	v_dual_add_f32 v9, v9, v13 :: v_dual_sub_f32 v12, v12, v20
	v_dual_fmac_f32 v17, 0x32a5705f, v8 :: v_dual_add_f32 v10, v10, v15
	v_cvt_i32_f32_e32 v13, v14
	s_delay_alu instid0(VALU_DEP_3)
	v_exp_f32_e32 v9, v9
	v_cvt_i32_f32_e32 v14, v16
	v_rndne_f32_e32 v18, v11
	v_exp_f32_e32 v10, v10
	v_cvt_i32_f32_e32 v16, v20
	v_mov_b32_e32 v67, v4
	s_delay_alu instid0(VALU_DEP_3) | instskip(NEXT) | instid1(TRANS32_DEP_2)
	v_cvt_i32_f32_e32 v15, v18
	v_ldexp_f32 v9, v9, v13
	s_waitcnt_depctr 0xfff
	v_ldexp_f32 v10, v10, v14
	v_cndmask_b32_e32 v9, 0, v9, vcc_lo
	v_cmp_ngt_f32_e32 vcc_lo, 0xc2ce8ed0, v2
	s_delay_alu instid0(VALU_DEP_3) | instskip(NEXT) | instid1(VALU_DEP_1)
	v_dual_fmac_f32 v19, 0x32a5705f, v3 :: v_dual_cndmask_b32 v10, 0, v10
	v_dual_sub_f32 v11, v11, v18 :: v_dual_add_f32 v12, v12, v19
	v_cmp_ngt_f32_e32 vcc_lo, 0xc2ce8ed0, v8
	s_delay_alu instid0(VALU_DEP_2) | instskip(NEXT) | instid1(VALU_DEP_3)
	v_add_f32_e32 v11, v11, v17
	v_exp_f32_e32 v12, v12
	s_delay_alu instid0(VALU_DEP_1) | instskip(SKIP_3) | instid1(VALU_DEP_1)
	v_exp_f32_e32 v11, v11
	s_waitcnt_depctr 0xfff
	v_ldexp_f32 v12, v12, v16
	v_ldexp_f32 v11, v11, v15
	v_cndmask_b32_e32 v11, 0, v11, vcc_lo
	v_cmp_ngt_f32_e32 vcc_lo, 0xc2ce8ed0, v3
	s_delay_alu instid0(VALU_DEP_4)
	v_cndmask_b32_e32 v12, 0, v12, vcc_lo
	v_cmp_nlt_f32_e32 vcc_lo, 0x42b17218, v7
	v_cndmask_b32_e32 v7, 0x7f800000, v9, vcc_lo
	v_cmp_nlt_f32_e32 vcc_lo, 0x42b17218, v2
	;; [unrolled: 2-line block ×3, first 2 shown]
	s_delay_alu instid0(VALU_DEP_2) | instskip(SKIP_2) | instid1(VALU_DEP_3)
	v_fmac_f32_e32 v2, v0, v7
	v_cndmask_b32_e32 v8, 0x7f800000, v11, vcc_lo
	v_cmp_nlt_f32_e32 vcc_lo, 0x42b17218, v3
	v_mov_b32_e32 v0, v2
	v_cvt_f16_f32_e32 v9, v7
	v_cndmask_b32_e32 v3, 0x7f800000, v12, vcc_lo
	v_cvt_f16_f32_e32 v10, v8
	s_delay_alu instid0(VALU_DEP_3) | instskip(NEXT) | instid1(VALU_DEP_3)
	v_pk_mul_f16 v114, v114, v9 op_sel_hi:[1,0]
	v_fmac_f32_e32 v3, v1, v8
	s_delay_alu instid0(VALU_DEP_3) | instskip(NEXT) | instid1(VALU_DEP_2)
	v_pk_mul_f16 v87, v87, v10 op_sel_hi:[1,0]
	v_mov_b32_e32 v1, v3
	s_mov_b32 s2, exec_lo
	v_cmpx_gt_i32_e64 s38, v33
	s_cbranch_execnz .LBB43_15
.LBB43_13:
	s_nop 0
	s_sendmsg sendmsg(MSG_DEALLOC_VGPRS)
	s_endpgm
.LBB43_14:
	s_delay_alu instid0(VALU_DEP_1)
	v_dual_mov_b32 v3, v1 :: v_dual_mov_b32 v2, v0
	s_mov_b32 s2, exec_lo
	v_cmpx_gt_i32_e64 s38, v33
	s_cbranch_execz .LBB43_13
.LBB43_15:
	s_load_b32 s1, s[0:1], 0xd4
	v_mov_b32_e32 v7, 1.0
	s_waitcnt lgkmcnt(0)
	s_cmp_lg_u32 s1, 1
	s_cselect_b32 s3, -1, 0
	s_cmp_eq_u32 s1, 1
	s_cselect_b32 s2, -1, 0
	s_and_b32 vcc_lo, exec_lo, s3
	s_cbranch_vccnz .LBB43_17
; %bb.16:
	v_div_scale_f32 v4, null, v0, v0, 1.0
	s_delay_alu instid0(VALU_DEP_1) | instskip(SKIP_2) | instid1(VALU_DEP_1)
	v_rcp_f32_e32 v5, v4
	s_waitcnt_depctr 0xfff
	v_fma_f32 v7, -v4, v5, 1.0
	v_fmac_f32_e32 v5, v7, v5
	v_div_scale_f32 v7, vcc_lo, 1.0, v0, 1.0
	s_delay_alu instid0(VALU_DEP_1) | instskip(NEXT) | instid1(VALU_DEP_1)
	v_mul_f32_e32 v8, v7, v5
	v_fma_f32 v9, -v4, v8, v7
	s_delay_alu instid0(VALU_DEP_1) | instskip(NEXT) | instid1(VALU_DEP_1)
	v_fmac_f32_e32 v8, v9, v5
	v_fma_f32 v4, -v4, v8, v7
	s_delay_alu instid0(VALU_DEP_1) | instskip(NEXT) | instid1(VALU_DEP_1)
	v_div_fmas_f32 v4, v4, v5, v8
	v_div_fixup_f32 v7, v4, v0, 1.0
.LBB43_17:
	v_mad_u64_u32 v[4:5], null, s33, s38, v[33:34]
	v_lshrrev_b32_e32 v0, 16, v114
	v_cmp_eq_u32_e32 vcc_lo, 0, v32
	s_delay_alu instid0(VALU_DEP_2) | instskip(NEXT) | instid1(VALU_DEP_4)
	v_cvt_f32_f16_e32 v0, v0
	v_mad_u64_u32 v[8:9], null, v4, s39, s[34:35]
	s_delay_alu instid0(VALU_DEP_2) | instskip(NEXT) | instid1(VALU_DEP_2)
	v_mul_f32_e32 v11, v7, v0
	v_mad_u64_u32 v[4:5], null, s1, v8, s[14:15]
	v_cvt_f32_f16_e32 v5, v114
	s_delay_alu instid0(VALU_DEP_1) | instskip(NEXT) | instid1(VALU_DEP_3)
	v_dual_mov_b32 v9, 0 :: v_dual_mul_f32 v10, v7, v5
	v_lshl_add_u32 v8, v4, 6, v6
	s_delay_alu instid0(VALU_DEP_1) | instskip(NEXT) | instid1(VALU_DEP_1)
	v_lshlrev_b64 v[8:9], 2, v[8:9]
	v_add_co_u32 v7, s0, s28, v8
	s_delay_alu instid0(VALU_DEP_1)
	v_add_co_ci_u32_e64 v8, s0, s29, v9, s0
	s_and_b32 s0, vcc_lo, s3
	global_store_b64 v[7:8], v[10:11], off
	s_and_saveexec_b32 s3, s0
	s_cbranch_execz .LBB43_19
; %bb.18:
	v_ashrrev_i32_e32 v5, 31, v4
	v_dual_mov_b32 v9, v67 :: v_dual_mov_b32 v10, v2
	s_delay_alu instid0(VALU_DEP_2) | instskip(NEXT) | instid1(VALU_DEP_1)
	v_lshlrev_b64 v[7:8], 3, v[4:5]
	v_add_co_u32 v7, vcc_lo, s30, v7
	s_delay_alu instid0(VALU_DEP_2)
	v_add_co_ci_u32_e32 v8, vcc_lo, s31, v8, vcc_lo
	global_store_b64 v[7:8], v[9:10], off
.LBB43_19:
	s_or_b32 exec_lo, exec_lo, s3
	v_mov_b32_e32 v2, 1.0
	s_and_not1_b32 vcc_lo, exec_lo, s2
	s_cbranch_vccnz .LBB43_21
; %bb.20:
	v_div_scale_f32 v0, null, v1, v1, 1.0
	s_delay_alu instid0(VALU_DEP_1) | instskip(SKIP_2) | instid1(VALU_DEP_1)
	v_rcp_f32_e32 v2, v0
	s_waitcnt_depctr 0xfff
	v_fma_f32 v5, -v0, v2, 1.0
	v_fmac_f32_e32 v2, v5, v2
	v_div_scale_f32 v5, vcc_lo, 1.0, v1, 1.0
	s_delay_alu instid0(VALU_DEP_1) | instskip(NEXT) | instid1(VALU_DEP_1)
	v_mul_f32_e32 v7, v5, v2
	v_fma_f32 v8, -v0, v7, v5
	s_delay_alu instid0(VALU_DEP_1) | instskip(NEXT) | instid1(VALU_DEP_1)
	v_fmac_f32_e32 v7, v8, v2
	v_fma_f32 v0, -v0, v7, v5
	s_delay_alu instid0(VALU_DEP_1) | instskip(NEXT) | instid1(VALU_DEP_1)
	v_div_fmas_f32 v0, v0, v2, v7
	v_div_fixup_f32 v2, v0, v1, 1.0
.LBB43_21:
	v_dual_mov_b32 v5, 0 :: v_dual_add_nc_u32 v0, s1, v4
	v_lshrrev_b32_e32 v1, 16, v87
	s_delay_alu instid0(VALU_DEP_2) | instskip(SKIP_1) | instid1(VALU_DEP_3)
	v_lshl_add_u32 v4, v0, 6, v6
	v_cvt_f32_f16_e32 v6, v87
	v_cvt_f32_f16_e32 v7, v1
	s_delay_alu instid0(VALU_DEP_3) | instskip(NEXT) | instid1(VALU_DEP_3)
	v_lshlrev_b64 v[4:5], 2, v[4:5]
	v_mul_f32_e32 v1, v2, v6
	s_delay_alu instid0(VALU_DEP_3) | instskip(NEXT) | instid1(VALU_DEP_3)
	v_mul_f32_e32 v2, v2, v7
	v_add_co_u32 v4, vcc_lo, s28, v4
	s_delay_alu instid0(VALU_DEP_4)
	v_add_co_ci_u32_e32 v5, vcc_lo, s29, v5, vcc_lo
	global_store_b64 v[4:5], v[1:2], off
	s_and_b32 exec_lo, exec_lo, s0
	s_cbranch_execz .LBB43_13
; %bb.22:
	v_ashrrev_i32_e32 v1, 31, v0
	v_mov_b32_e32 v2, v68
	s_delay_alu instid0(VALU_DEP_2) | instskip(NEXT) | instid1(VALU_DEP_1)
	v_lshlrev_b64 v[0:1], 3, v[0:1]
	v_add_co_u32 v0, vcc_lo, s30, v0
	s_delay_alu instid0(VALU_DEP_2)
	v_add_co_ci_u32_e32 v1, vcc_lo, s31, v1, vcc_lo
	global_store_b64 v[0:1], v[2:3], off
	s_nop 0
	s_sendmsg sendmsg(MSG_DEALLOC_VGPRS)
	s_endpgm
	.section	.rodata,"a",@progbits
	.p2align	6, 0x0
	.amdhsa_kernel _ZL15flash_attn_tileILi64ELi64ELi4ELi2ELb0EEvPKcS1_S1_S1_S1_PKiPfP15HIP_vector_typeIfLj2EEffffjfiS5_IjLj3EEiiiiiiiiiiiliiliiiiil
		.amdhsa_group_segment_fixed_size 21504
		.amdhsa_private_segment_fixed_size 0
		.amdhsa_kernarg_size 464
		.amdhsa_user_sgpr_count 13
		.amdhsa_user_sgpr_dispatch_ptr 0
		.amdhsa_user_sgpr_queue_ptr 0
		.amdhsa_user_sgpr_kernarg_segment_ptr 1
		.amdhsa_user_sgpr_dispatch_id 0
		.amdhsa_user_sgpr_private_segment_size 0
		.amdhsa_wavefront_size32 1
		.amdhsa_uses_dynamic_stack 0
		.amdhsa_enable_private_segment 0
		.amdhsa_system_sgpr_workgroup_id_x 1
		.amdhsa_system_sgpr_workgroup_id_y 1
		.amdhsa_system_sgpr_workgroup_id_z 1
		.amdhsa_system_sgpr_workgroup_info 0
		.amdhsa_system_vgpr_workitem_id 1
		.amdhsa_next_free_vgpr 236
		.amdhsa_next_free_sgpr 45
		.amdhsa_reserve_vcc 1
		.amdhsa_float_round_mode_32 0
		.amdhsa_float_round_mode_16_64 0
		.amdhsa_float_denorm_mode_32 3
		.amdhsa_float_denorm_mode_16_64 3
		.amdhsa_dx10_clamp 1
		.amdhsa_ieee_mode 1
		.amdhsa_fp16_overflow 0
		.amdhsa_workgroup_processor_mode 1
		.amdhsa_memory_ordered 1
		.amdhsa_forward_progress 0
		.amdhsa_shared_vgpr_count 0
		.amdhsa_exception_fp_ieee_invalid_op 0
		.amdhsa_exception_fp_denorm_src 0
		.amdhsa_exception_fp_ieee_div_zero 0
		.amdhsa_exception_fp_ieee_overflow 0
		.amdhsa_exception_fp_ieee_underflow 0
		.amdhsa_exception_fp_ieee_inexact 0
		.amdhsa_exception_int_div_zero 0
	.end_amdhsa_kernel
	.section	.text._ZL15flash_attn_tileILi64ELi64ELi4ELi2ELb0EEvPKcS1_S1_S1_S1_PKiPfP15HIP_vector_typeIfLj2EEffffjfiS5_IjLj3EEiiiiiiiiiiiliiliiiiil,"axG",@progbits,_ZL15flash_attn_tileILi64ELi64ELi4ELi2ELb0EEvPKcS1_S1_S1_S1_PKiPfP15HIP_vector_typeIfLj2EEffffjfiS5_IjLj3EEiiiiiiiiiiiliiliiiiil,comdat
.Lfunc_end43:
	.size	_ZL15flash_attn_tileILi64ELi64ELi4ELi2ELb0EEvPKcS1_S1_S1_S1_PKiPfP15HIP_vector_typeIfLj2EEffffjfiS5_IjLj3EEiiiiiiiiiiiliiliiiiil, .Lfunc_end43-_ZL15flash_attn_tileILi64ELi64ELi4ELi2ELb0EEvPKcS1_S1_S1_S1_PKiPfP15HIP_vector_typeIfLj2EEffffjfiS5_IjLj3EEiiiiiiiiiiiliiliiiiil
                                        ; -- End function
	.section	.AMDGPU.csdata,"",@progbits
; Kernel info:
; codeLenInByte = 15148
; NumSgprs: 47
; NumVgprs: 236
; ScratchSize: 0
; MemoryBound: 0
; FloatMode: 240
; IeeeMode: 1
; LDSByteSize: 21504 bytes/workgroup (compile time only)
; SGPRBlocks: 5
; VGPRBlocks: 29
; NumSGPRsForWavesPerEU: 47
; NumVGPRsForWavesPerEU: 236
; Occupancy: 6
; WaveLimiterHint : 1
; COMPUTE_PGM_RSRC2:SCRATCH_EN: 0
; COMPUTE_PGM_RSRC2:USER_SGPR: 13
; COMPUTE_PGM_RSRC2:TRAP_HANDLER: 0
; COMPUTE_PGM_RSRC2:TGID_X_EN: 1
; COMPUTE_PGM_RSRC2:TGID_Y_EN: 1
; COMPUTE_PGM_RSRC2:TGID_Z_EN: 1
; COMPUTE_PGM_RSRC2:TIDIG_COMP_CNT: 1
	.section	.text._ZL33flash_attn_stream_k_fixup_uniformILi64ELi4ELi2EEvPfPK15HIP_vector_typeIfLj2EEiiiiiiS1_IjLj3EES5_S5_,"axG",@progbits,_ZL33flash_attn_stream_k_fixup_uniformILi64ELi4ELi2EEvPfPK15HIP_vector_typeIfLj2EEiiiiiiS1_IjLj3EES5_S5_,comdat
	.globl	_ZL33flash_attn_stream_k_fixup_uniformILi64ELi4ELi2EEvPfPK15HIP_vector_typeIfLj2EEiiiiiiS1_IjLj3EES5_S5_ ; -- Begin function _ZL33flash_attn_stream_k_fixup_uniformILi64ELi4ELi2EEvPfPK15HIP_vector_typeIfLj2EEiiiiiiS1_IjLj3EES5_S5_
	.p2align	8
	.type	_ZL33flash_attn_stream_k_fixup_uniformILi64ELi4ELi2EEvPfPK15HIP_vector_typeIfLj2EEiiiiiiS1_IjLj3EES5_S5_,@function
_ZL33flash_attn_stream_k_fixup_uniformILi64ELi4ELi2EEvPfPK15HIP_vector_typeIfLj2EEiiiiiiS1_IjLj3EES5_S5_: ; @_ZL33flash_attn_stream_k_fixup_uniformILi64ELi4ELi2EEvPfPK15HIP_vector_typeIfLj2EEiiiiiiS1_IjLj3EES5_S5_
; %bb.0:
	s_clause 0x1
	s_load_b256 s[4:11], s[0:1], 0x1c
	s_load_b128 s[16:19], s[0:1], 0x3c
	s_waitcnt lgkmcnt(0)
	s_mul_hi_u32 s2, s7, s13
	s_delay_alu instid0(SALU_CYCLE_1) | instskip(NEXT) | instid1(SALU_CYCLE_1)
	s_add_i32 s2, s13, s2
	s_lshr_b32 s2, s2, s8
	s_delay_alu instid0(SALU_CYCLE_1) | instskip(SKIP_2) | instid1(SALU_CYCLE_1)
	s_mul_i32 s3, s2, s9
	s_load_b64 s[8:9], s[0:1], 0x10
	s_sub_i32 s7, s13, s3
	s_mul_hi_u32 s3, s7, s10
	s_delay_alu instid0(SALU_CYCLE_1) | instskip(NEXT) | instid1(SALU_CYCLE_1)
	s_add_i32 s3, s7, s3
	s_lshr_b32 s3, s3, s11
	s_delay_alu instid0(SALU_CYCLE_1) | instskip(NEXT) | instid1(SALU_CYCLE_1)
	s_mul_i32 s10, s3, s16
	s_sub_i32 s7, s7, s10
	s_delay_alu instid0(SALU_CYCLE_1) | instskip(NEXT) | instid1(SALU_CYCLE_1)
	s_mul_hi_u32 s10, s7, s17
	s_add_i32 s10, s7, s10
	s_delay_alu instid0(SALU_CYCLE_1) | instskip(NEXT) | instid1(SALU_CYCLE_1)
	s_lshr_b32 s10, s10, s18
	s_mul_i32 s11, s10, s19
	s_lshl_b32 s10, s10, 1
	s_sub_i32 s7, s7, s11
	s_delay_alu instid0(SALU_CYCLE_1) | instskip(NEXT) | instid1(SALU_CYCLE_1)
	s_lshl_b32 s11, s7, 2
	s_add_i32 s11, s11, s14
	s_waitcnt lgkmcnt(0)
	s_cmp_lt_i32 s11, s8
	s_cselect_b32 s11, -1, 0
	s_add_i32 s12, s10, s15
	s_delay_alu instid0(SALU_CYCLE_1) | instskip(SKIP_1) | instid1(SALU_CYCLE_1)
	s_cmp_lt_i32 s12, s5
	s_cselect_b32 s12, -1, 0
	s_and_b32 s11, s11, s12
	s_delay_alu instid0(SALU_CYCLE_1)
	s_and_not1_b32 vcc_lo, exec_lo, s11
	s_cbranch_vccnz .LBB44_6
; %bb.1:
	s_mul_i32 s2, s2, s8
	s_mul_i32 s5, s3, s5
	s_add_i32 s2, s2, s14
	s_mul_i32 s7, s9, s7
	s_mul_i32 s2, s2, s9
	s_lshl_b32 s7, s7, 8
	s_add_i32 s8, s2, s15
	s_load_b128 s[0:3], s[0:1], 0x0
	s_add_i32 s5, s8, s5
	s_lshl_b32 s9, s14, 1
	s_add_i32 s5, s5, s10
	s_delay_alu instid0(SALU_CYCLE_1) | instskip(NEXT) | instid1(SALU_CYCLE_1)
	s_lshl_b32 s5, s5, 6
	s_add_i32 s7, s7, s5
	s_mul_i32 s5, s13, s6
	v_or_b32_e32 v1, s7, v0
	s_add_i32 s10, s5, s6
	s_delay_alu instid0(VALU_DEP_1) | instskip(NEXT) | instid1(VALU_DEP_1)
	v_ashrrev_i32_e32 v2, 31, v1
	v_lshlrev_b64 v[1:2], 2, v[1:2]
	s_waitcnt lgkmcnt(0)
	s_delay_alu instid0(VALU_DEP_1) | instskip(NEXT) | instid1(VALU_DEP_2)
	v_add_co_u32 v1, vcc_lo, s0, v1
	v_add_co_ci_u32_e32 v2, vcc_lo, s1, v2, vcc_lo
	s_add_i32 s0, s9, s15
	s_lshl_b32 s1, s10, 3
	s_delay_alu instid0(SALU_CYCLE_1) | instskip(SKIP_2) | instid1(SALU_CYCLE_1)
	s_add_i32 s0, s0, s1
	global_load_b32 v5, v[1:2], off
	s_add_i32 s0, s0, -8
	s_ashr_i32 s1, s0, 31
	s_delay_alu instid0(SALU_CYCLE_1) | instskip(NEXT) | instid1(SALU_CYCLE_1)
	s_lshl_b64 s[0:1], s[0:1], 3
	s_add_u32 s0, s2, s0
	s_addc_u32 s1, s3, s1
	s_add_i32 s7, s10, -2
	s_load_b32 s11, s[0:1], 0x4
	s_cmp_lt_i32 s7, s5
	s_cbranch_scc1 .LBB44_4
; %bb.2:
	s_lshl_b32 s16, s4, 5
	s_load_b32 s12, s[0:1], 0x0
	s_ashr_i32 s17, s16, 31
	s_delay_alu instid0(SALU_CYCLE_1) | instskip(NEXT) | instid1(SALU_CYCLE_1)
	s_lshl_b64 s[0:1], s[16:17], 2
	s_add_u32 s7, s2, s0
	s_addc_u32 s8, s3, s1
	s_add_i32 s13, s13, 1
	s_lshl_b32 s0, s14, 7
	s_lshl_b32 s1, s15, 6
	s_mul_i32 s6, s6, s13
	s_add_i32 s0, s1, s0
	s_lshl_b32 s1, s6, 9
	s_delay_alu instid0(SALU_CYCLE_1)
	s_add_i32 s0, s0, s1
	s_lshl_b32 s1, s6, 3
	v_or_b32_e32 v0, s0, v0
	s_lshl_b32 s0, s4, 3
	s_add_i32 s1, s15, s1
	s_waitcnt lgkmcnt(0)
	v_mov_b32_e32 v6, s11
	s_add_i32 s0, s1, s0
	v_dual_mov_b32 v0, s12 :: v_dual_add_nc_u32 v3, 0xfffffc00, v0
	s_add_i32 s0, s0, s9
	s_add_i32 s4, s10, -1
	s_add_i32 s0, s0, -16
.LBB44_3:                               ; =>This Inner Loop Header: Depth=1
	s_delay_alu instid0(VALU_DEP_1) | instskip(SKIP_1) | instid1(SALU_CYCLE_1)
	v_ashrrev_i32_e32 v4, 31, v3
	s_ashr_i32 s1, s0, 31
	s_lshl_b64 s[10:11], s[0:1], 3
	s_delay_alu instid0(SALU_CYCLE_1) | instskip(NEXT) | instid1(VALU_DEP_1)
	s_add_u32 s10, s2, s10
	v_lshlrev_b64 v[7:8], 2, v[3:4]
	s_addc_u32 s11, s3, s11
	s_add_i32 s4, s4, -1
	s_add_i32 s0, s0, -8
	s_cmp_le_i32 s4, s5
	s_load_b64 s[10:11], s[10:11], 0x0
	v_add_co_u32 v7, vcc_lo, s7, v7
	v_add_co_ci_u32_e32 v8, vcc_lo, s8, v8, vcc_lo
	global_load_b32 v4, v[7:8], off
	v_max_f32_e32 v7, v0, v0
	s_waitcnt lgkmcnt(0)
	v_max_f32_e64 v8, s10, s10
	s_delay_alu instid0(VALU_DEP_1) | instskip(NEXT) | instid1(VALU_DEP_1)
	v_max_f32_e32 v7, v7, v8
	v_sub_f32_e32 v8, s10, v7
	s_delay_alu instid0(VALU_DEP_1) | instskip(NEXT) | instid1(VALU_DEP_1)
	v_dual_sub_f32 v0, v0, v7 :: v_dual_mul_f32 v9, 0x3fb8aa3b, v8
	v_fma_f32 v10, 0x3fb8aa3b, v8, -v9
	v_rndne_f32_e32 v11, v9
	s_delay_alu instid0(VALU_DEP_3) | instskip(NEXT) | instid1(VALU_DEP_2)
	v_mul_f32_e32 v12, 0x3fb8aa3b, v0
	v_dual_fmac_f32 v10, 0x32a5705f, v8 :: v_dual_sub_f32 v9, v9, v11
	v_cvt_i32_f32_e32 v11, v11
	s_delay_alu instid0(VALU_DEP_3) | instskip(SKIP_1) | instid1(VALU_DEP_4)
	v_fma_f32 v13, 0x3fb8aa3b, v0, -v12
	v_rndne_f32_e32 v14, v12
	v_add_f32_e32 v9, v9, v10
	v_cmp_ngt_f32_e32 vcc_lo, 0xc2ce8ed0, v8
	s_delay_alu instid0(VALU_DEP_3) | instskip(NEXT) | instid1(VALU_DEP_3)
	v_sub_f32_e32 v10, v12, v14
	v_exp_f32_e32 v9, v9
	s_waitcnt_depctr 0xfff
	v_ldexp_f32 v9, v9, v11
	v_cvt_i32_f32_e32 v11, v14
	s_delay_alu instid0(VALU_DEP_2) | instskip(SKIP_1) | instid1(VALU_DEP_2)
	v_cndmask_b32_e32 v9, 0, v9, vcc_lo
	v_cmp_nlt_f32_e32 vcc_lo, 0x42b17218, v8
	v_cndmask_b32_e32 v9, 0x7f800000, v9, vcc_lo
	v_cmp_ngt_f32_e32 vcc_lo, 0xc2ce8ed0, v0
	v_fmac_f32_e32 v13, 0x32a5705f, v0
	s_delay_alu instid0(VALU_DEP_1) | instskip(NEXT) | instid1(VALU_DEP_1)
	v_add_f32_e32 v10, v10, v13
	v_exp_f32_e32 v10, v10
	s_waitcnt_depctr 0xfff
	v_ldexp_f32 v10, v10, v11
	s_delay_alu instid0(VALU_DEP_1)
	v_dual_mov_b32 v11, v6 :: v_dual_cndmask_b32 v10, 0, v10
	v_cmp_le_f32_e32 vcc_lo, 0xc1a00000, v8
	s_waitcnt vmcnt(1)
	v_dual_cndmask_b32 v8, 0, v9 :: v_dual_mov_b32 v9, v5
	v_cmp_nlt_f32_e32 vcc_lo, 0x42b17218, v0
	v_cndmask_b32_e32 v5, 0x7f800000, v10, vcc_lo
	s_delay_alu instid0(VALU_DEP_3) | instskip(SKIP_2) | instid1(VALU_DEP_3)
	v_mul_f32_e32 v10, s11, v8
	v_cmp_le_f32_e32 vcc_lo, 0xc1a00000, v0
	v_mov_b32_e32 v0, v7
	v_mov_b32_e32 v6, v10
	s_waitcnt vmcnt(0)
	v_dual_cndmask_b32 v12, 0, v5 :: v_dual_mul_f32 v5, v4, v8
	s_delay_alu instid0(VALU_DEP_1) | instskip(NEXT) | instid1(VALU_DEP_2)
	v_dual_fmac_f32 v6, v11, v12 :: v_dual_add_nc_u32 v3, 0xfffffe00, v3
	v_fmac_f32_e32 v5, v9, v12
	s_cbranch_scc0 .LBB44_3
	s_branch .LBB44_5
.LBB44_4:
	s_waitcnt lgkmcnt(0)
	v_mov_b32_e32 v6, s11
.LBB44_5:
	s_waitcnt vmcnt(0)
	s_delay_alu instid0(VALU_DEP_1) | instskip(NEXT) | instid1(VALU_DEP_1)
	v_div_scale_f32 v0, null, v6, v6, v5
	v_rcp_f32_e32 v3, v0
	s_waitcnt_depctr 0xfff
	v_fma_f32 v4, -v0, v3, 1.0
	s_delay_alu instid0(VALU_DEP_1) | instskip(SKIP_1) | instid1(VALU_DEP_1)
	v_fmac_f32_e32 v3, v4, v3
	v_div_scale_f32 v4, vcc_lo, v5, v6, v5
	v_mul_f32_e32 v7, v4, v3
	s_delay_alu instid0(VALU_DEP_1) | instskip(NEXT) | instid1(VALU_DEP_1)
	v_fma_f32 v8, -v0, v7, v4
	v_fmac_f32_e32 v7, v8, v3
	s_delay_alu instid0(VALU_DEP_1) | instskip(NEXT) | instid1(VALU_DEP_1)
	v_fma_f32 v0, -v0, v7, v4
	v_div_fmas_f32 v0, v0, v3, v7
	s_delay_alu instid0(VALU_DEP_1)
	v_div_fixup_f32 v0, v0, v6, v5
	global_store_b32 v[1:2], v0, off
.LBB44_6:
	s_nop 0
	s_sendmsg sendmsg(MSG_DEALLOC_VGPRS)
	s_endpgm
	.section	.rodata,"a",@progbits
	.p2align	6, 0x0
	.amdhsa_kernel _ZL33flash_attn_stream_k_fixup_uniformILi64ELi4ELi2EEvPfPK15HIP_vector_typeIfLj2EEiiiiiiS1_IjLj3EES5_S5_
		.amdhsa_group_segment_fixed_size 0
		.amdhsa_private_segment_fixed_size 0
		.amdhsa_kernarg_size 76
		.amdhsa_user_sgpr_count 13
		.amdhsa_user_sgpr_dispatch_ptr 0
		.amdhsa_user_sgpr_queue_ptr 0
		.amdhsa_user_sgpr_kernarg_segment_ptr 1
		.amdhsa_user_sgpr_dispatch_id 0
		.amdhsa_user_sgpr_private_segment_size 0
		.amdhsa_wavefront_size32 1
		.amdhsa_uses_dynamic_stack 0
		.amdhsa_enable_private_segment 0
		.amdhsa_system_sgpr_workgroup_id_x 1
		.amdhsa_system_sgpr_workgroup_id_y 1
		.amdhsa_system_sgpr_workgroup_id_z 1
		.amdhsa_system_sgpr_workgroup_info 0
		.amdhsa_system_vgpr_workitem_id 0
		.amdhsa_next_free_vgpr 15
		.amdhsa_next_free_sgpr 20
		.amdhsa_reserve_vcc 1
		.amdhsa_float_round_mode_32 0
		.amdhsa_float_round_mode_16_64 0
		.amdhsa_float_denorm_mode_32 3
		.amdhsa_float_denorm_mode_16_64 3
		.amdhsa_dx10_clamp 1
		.amdhsa_ieee_mode 1
		.amdhsa_fp16_overflow 0
		.amdhsa_workgroup_processor_mode 1
		.amdhsa_memory_ordered 1
		.amdhsa_forward_progress 0
		.amdhsa_shared_vgpr_count 0
		.amdhsa_exception_fp_ieee_invalid_op 0
		.amdhsa_exception_fp_denorm_src 0
		.amdhsa_exception_fp_ieee_div_zero 0
		.amdhsa_exception_fp_ieee_overflow 0
		.amdhsa_exception_fp_ieee_underflow 0
		.amdhsa_exception_fp_ieee_inexact 0
		.amdhsa_exception_int_div_zero 0
	.end_amdhsa_kernel
	.section	.text._ZL33flash_attn_stream_k_fixup_uniformILi64ELi4ELi2EEvPfPK15HIP_vector_typeIfLj2EEiiiiiiS1_IjLj3EES5_S5_,"axG",@progbits,_ZL33flash_attn_stream_k_fixup_uniformILi64ELi4ELi2EEvPfPK15HIP_vector_typeIfLj2EEiiiiiiS1_IjLj3EES5_S5_,comdat
.Lfunc_end44:
	.size	_ZL33flash_attn_stream_k_fixup_uniformILi64ELi4ELi2EEvPfPK15HIP_vector_typeIfLj2EEiiiiiiS1_IjLj3EES5_S5_, .Lfunc_end44-_ZL33flash_attn_stream_k_fixup_uniformILi64ELi4ELi2EEvPfPK15HIP_vector_typeIfLj2EEiiiiiiS1_IjLj3EES5_S5_
                                        ; -- End function
	.section	.AMDGPU.csdata,"",@progbits
; Kernel info:
; codeLenInByte = 996
; NumSgprs: 22
; NumVgprs: 15
; ScratchSize: 0
; MemoryBound: 0
; FloatMode: 240
; IeeeMode: 1
; LDSByteSize: 0 bytes/workgroup (compile time only)
; SGPRBlocks: 2
; VGPRBlocks: 1
; NumSGPRsForWavesPerEU: 22
; NumVGPRsForWavesPerEU: 15
; Occupancy: 16
; WaveLimiterHint : 0
; COMPUTE_PGM_RSRC2:SCRATCH_EN: 0
; COMPUTE_PGM_RSRC2:USER_SGPR: 13
; COMPUTE_PGM_RSRC2:TRAP_HANDLER: 0
; COMPUTE_PGM_RSRC2:TGID_X_EN: 1
; COMPUTE_PGM_RSRC2:TGID_Y_EN: 1
; COMPUTE_PGM_RSRC2:TGID_Z_EN: 1
; COMPUTE_PGM_RSRC2:TIDIG_COMP_CNT: 0
	.section	.text._ZL33flash_attn_stream_k_fixup_generalILi64ELi4ELi2EEvPfPK15HIP_vector_typeIfLj2EEiiiiS1_IjLj3EES5_S5_S5_,"axG",@progbits,_ZL33flash_attn_stream_k_fixup_generalILi64ELi4ELi2EEvPfPK15HIP_vector_typeIfLj2EEiiiiS1_IjLj3EES5_S5_S5_,comdat
	.globl	_ZL33flash_attn_stream_k_fixup_generalILi64ELi4ELi2EEvPfPK15HIP_vector_typeIfLj2EEiiiiS1_IjLj3EES5_S5_S5_ ; -- Begin function _ZL33flash_attn_stream_k_fixup_generalILi64ELi4ELi2EEvPfPK15HIP_vector_typeIfLj2EEiiiiS1_IjLj3EES5_S5_S5_
	.p2align	8
	.type	_ZL33flash_attn_stream_k_fixup_generalILi64ELi4ELi2EEvPfPK15HIP_vector_typeIfLj2EEiiiiS1_IjLj3EES5_S5_S5_,@function
_ZL33flash_attn_stream_k_fixup_generalILi64ELi4ELi2EEvPfPK15HIP_vector_typeIfLj2EEiiiiS1_IjLj3EES5_S5_S5_: ; @_ZL33flash_attn_stream_k_fixup_generalILi64ELi4ELi2EEvPfPK15HIP_vector_typeIfLj2EEiiiiS1_IjLj3EES5_S5_S5_
; %bb.0:
	s_clause 0x1
	s_load_b128 s[4:7], s[0:1], 0x10
	s_load_b32 s20, s[0:1], 0x50
	s_mov_b32 s2, 0
	s_waitcnt lgkmcnt(0)
	s_mul_hi_i32 s3, s7, s13
	s_mul_i32 s12, s7, s13
	s_cmp_lg_u64 s[2:3], 0
	s_cbranch_scc0 .LBB45_21
; %bb.1:
	v_cvt_f32_ubyte0_e32 v1, 0
	v_cvt_f32_u32_e32 v2, s20
	s_sub_u32 s10, 0, s20
	s_subb_u32 s11, 0, 0
	s_delay_alu instid0(VALU_DEP_1) | instskip(NEXT) | instid1(VALU_DEP_1)
	v_fmamk_f32 v1, v1, 0x4f800000, v2
	v_rcp_f32_e32 v1, v1
	s_waitcnt_depctr 0xfff
	v_mul_f32_e32 v1, 0x5f7ffffc, v1
	s_delay_alu instid0(VALU_DEP_1) | instskip(NEXT) | instid1(VALU_DEP_1)
	v_mul_f32_e32 v2, 0x2f800000, v1
	v_trunc_f32_e32 v2, v2
	s_delay_alu instid0(VALU_DEP_1) | instskip(SKIP_1) | instid1(VALU_DEP_2)
	v_fmamk_f32 v1, v2, 0xcf800000, v1
	v_cvt_u32_f32_e32 v2, v2
	v_cvt_u32_f32_e32 v1, v1
	s_delay_alu instid0(VALU_DEP_2) | instskip(NEXT) | instid1(VALU_DEP_2)
	v_readfirstlane_b32 s8, v2
	v_readfirstlane_b32 s9, v1
	s_delay_alu instid0(VALU_DEP_2) | instskip(NEXT) | instid1(VALU_DEP_1)
	s_mul_i32 s16, s10, s8
	s_mul_hi_u32 s18, s10, s9
	s_mul_i32 s17, s11, s9
	s_add_i32 s16, s18, s16
	s_mul_i32 s19, s10, s9
	s_add_i32 s16, s16, s17
	s_mul_hi_u32 s18, s9, s19
	s_mul_hi_u32 s21, s8, s19
	s_mul_i32 s17, s8, s19
	s_mul_hi_u32 s19, s9, s16
	s_mul_i32 s9, s9, s16
	s_mul_hi_u32 s22, s8, s16
	s_add_u32 s9, s18, s9
	s_addc_u32 s18, 0, s19
	s_add_u32 s9, s9, s17
	s_mul_i32 s16, s8, s16
	s_addc_u32 s9, s18, s21
	s_addc_u32 s17, s22, 0
	s_add_u32 s9, s9, s16
	s_addc_u32 s16, 0, s17
	v_add_co_u32 v1, s9, v1, s9
	s_delay_alu instid0(VALU_DEP_1) | instskip(SKIP_1) | instid1(VALU_DEP_1)
	s_cmp_lg_u32 s9, 0
	s_addc_u32 s8, s8, s16
	v_readfirstlane_b32 s9, v1
	s_mul_i32 s16, s10, s8
	s_delay_alu instid0(VALU_DEP_1)
	s_mul_hi_u32 s17, s10, s9
	s_mul_i32 s11, s11, s9
	s_add_i32 s16, s17, s16
	s_mul_i32 s10, s10, s9
	s_add_i32 s16, s16, s11
	s_mul_hi_u32 s17, s8, s10
	s_mul_i32 s18, s8, s10
	s_mul_hi_u32 s10, s9, s10
	s_mul_hi_u32 s19, s9, s16
	s_mul_i32 s9, s9, s16
	s_mul_hi_u32 s11, s8, s16
	s_add_u32 s9, s10, s9
	s_addc_u32 s10, 0, s19
	s_add_u32 s9, s9, s18
	s_mul_i32 s16, s8, s16
	s_addc_u32 s9, s10, s17
	s_addc_u32 s10, s11, 0
	s_add_u32 s9, s9, s16
	s_addc_u32 s10, 0, s10
	v_add_co_u32 v1, s9, v1, s9
	s_delay_alu instid0(VALU_DEP_1) | instskip(SKIP_2) | instid1(SALU_CYCLE_1)
	s_cmp_lg_u32 s9, 0
	s_addc_u32 s16, s8, s10
	s_ashr_i32 s8, s3, 31
	s_add_u32 s10, s12, s8
	s_addc_u32 s11, s3, s8
	v_readfirstlane_b32 s3, v1
	s_mov_b32 s9, s8
	s_delay_alu instid0(SALU_CYCLE_1) | instskip(NEXT) | instid1(SALU_CYCLE_1)
	s_xor_b64 s[10:11], s[10:11], s[8:9]
	s_mul_i32 s18, s10, s16
	s_delay_alu instid0(VALU_DEP_1)
	s_mul_hi_u32 s19, s10, s3
	s_mul_hi_u32 s17, s10, s16
	s_mul_hi_u32 s22, s11, s3
	s_mul_i32 s3, s11, s3
	s_add_u32 s18, s19, s18
	s_addc_u32 s17, 0, s17
	s_mul_hi_u32 s21, s11, s16
	s_add_u32 s3, s18, s3
	s_mul_i32 s16, s11, s16
	s_addc_u32 s3, s17, s22
	s_addc_u32 s17, s21, 0
	s_add_u32 s3, s3, s16
	s_addc_u32 s16, 0, s17
	s_mul_i32 s18, s20, s3
	s_add_u32 s17, s3, 1
	v_sub_co_u32 v1, s10, s10, s18
	s_mul_hi_u32 s18, s20, s3
	s_addc_u32 s19, s16, 0
	s_mul_i32 s21, s20, s16
	s_delay_alu instid0(VALU_DEP_1)
	v_sub_co_u32 v2, s22, v1, s20
	s_add_u32 s23, s3, 2
	s_addc_u32 s24, s16, 0
	s_add_i32 s18, s18, s21
	s_cmp_lg_u32 s10, 0
	v_readfirstlane_b32 s10, v2
	s_subb_u32 s11, s11, s18
	s_cmp_lg_u32 s22, 0
	s_subb_u32 s18, s11, 0
	s_delay_alu instid0(VALU_DEP_1) | instskip(SKIP_4) | instid1(SALU_CYCLE_1)
	s_cmp_ge_u32 s10, s20
	s_cselect_b32 s10, -1, 0
	s_cmp_eq_u32 s18, 0
	v_readfirstlane_b32 s18, v1
	s_cselect_b32 s10, s10, -1
	s_cmp_lg_u32 s10, 0
	s_cselect_b32 s10, s23, s17
	s_cselect_b32 s17, s24, s19
	s_cmp_ge_u32 s18, s20
	s_cselect_b32 s18, -1, 0
	s_cmp_eq_u32 s11, 0
	s_cselect_b32 s11, s18, -1
	s_delay_alu instid0(SALU_CYCLE_1) | instskip(SKIP_2) | instid1(SALU_CYCLE_1)
	s_cmp_lg_u32 s11, 0
	s_cselect_b32 s11, s17, s16
	s_cselect_b32 s10, s10, s3
	s_xor_b64 s[10:11], s[10:11], s[8:9]
	s_delay_alu instid0(SALU_CYCLE_1)
	s_sub_u32 s16, s10, s8
	s_load_b128 s[8:11], s[0:1], 0x44
	s_and_not1_b32 vcc_lo, exec_lo, s2
	s_cbranch_vccnz .LBB45_3
.LBB45_2:
	v_cvt_f32_u32_e32 v1, s20
	s_sub_i32 s3, 0, s20
	s_delay_alu instid0(VALU_DEP_1) | instskip(SKIP_2) | instid1(VALU_DEP_1)
	v_rcp_iflag_f32_e32 v1, v1
	s_waitcnt_depctr 0xfff
	v_mul_f32_e32 v1, 0x4f7ffffe, v1
	v_cvt_u32_f32_e32 v1, v1
	s_delay_alu instid0(VALU_DEP_1) | instskip(NEXT) | instid1(VALU_DEP_1)
	v_readfirstlane_b32 s2, v1
	s_mul_i32 s3, s3, s2
	s_delay_alu instid0(SALU_CYCLE_1) | instskip(NEXT) | instid1(SALU_CYCLE_1)
	s_mul_hi_u32 s3, s2, s3
	s_add_i32 s2, s2, s3
	s_delay_alu instid0(SALU_CYCLE_1) | instskip(NEXT) | instid1(SALU_CYCLE_1)
	s_mul_hi_u32 s2, s12, s2
	s_mul_i32 s3, s2, s20
	s_waitcnt lgkmcnt(0)
	s_add_i32 s11, s2, 1
	s_sub_i32 s3, s12, s3
	s_delay_alu instid0(SALU_CYCLE_1)
	s_sub_i32 s12, s3, s20
	s_cmp_ge_u32 s3, s20
	s_cselect_b32 s2, s11, s2
	s_cselect_b32 s3, s12, s3
	s_add_i32 s11, s2, 1
	s_cmp_ge_u32 s3, s20
	s_cselect_b32 s16, s11, s2
.LBB45_3:
	s_waitcnt lgkmcnt(0)
	s_add_i32 s11, s13, 1
	s_mov_b32 s2, 0
	s_mul_hi_i32 s3, s7, s11
	s_mul_i32 s11, s7, s11
	s_cmp_lg_u64 s[2:3], 0
	s_cbranch_scc0 .LBB45_22
; %bb.4:
	v_cvt_f32_ubyte0_e32 v1, 0
	v_cvt_f32_u32_e32 v2, s20
	s_sub_u32 s18, 0, s20
	s_subb_u32 s19, 0, 0
	s_delay_alu instid0(VALU_DEP_1) | instskip(NEXT) | instid1(VALU_DEP_1)
	v_fmamk_f32 v1, v1, 0x4f800000, v2
	v_rcp_f32_e32 v1, v1
	s_waitcnt_depctr 0xfff
	v_mul_f32_e32 v1, 0x5f7ffffc, v1
	s_delay_alu instid0(VALU_DEP_1) | instskip(NEXT) | instid1(VALU_DEP_1)
	v_mul_f32_e32 v2, 0x2f800000, v1
	v_trunc_f32_e32 v2, v2
	s_delay_alu instid0(VALU_DEP_1) | instskip(SKIP_1) | instid1(VALU_DEP_2)
	v_fmamk_f32 v1, v2, 0xcf800000, v1
	v_cvt_u32_f32_e32 v2, v2
	v_cvt_u32_f32_e32 v1, v1
	s_delay_alu instid0(VALU_DEP_2) | instskip(NEXT) | instid1(VALU_DEP_2)
	v_readfirstlane_b32 s12, v2
	v_readfirstlane_b32 s17, v1
	s_delay_alu instid0(VALU_DEP_2) | instskip(NEXT) | instid1(VALU_DEP_1)
	s_mul_i32 s21, s18, s12
	s_mul_hi_u32 s23, s18, s17
	s_mul_i32 s22, s19, s17
	s_add_i32 s21, s23, s21
	s_mul_i32 s24, s18, s17
	s_add_i32 s21, s21, s22
	s_mul_hi_u32 s23, s17, s24
	s_mul_hi_u32 s25, s12, s24
	s_mul_i32 s22, s12, s24
	s_mul_hi_u32 s24, s17, s21
	s_mul_i32 s17, s17, s21
	s_mul_hi_u32 s26, s12, s21
	s_add_u32 s17, s23, s17
	s_addc_u32 s23, 0, s24
	s_add_u32 s17, s17, s22
	s_mul_i32 s21, s12, s21
	s_addc_u32 s17, s23, s25
	s_addc_u32 s22, s26, 0
	s_add_u32 s17, s17, s21
	s_addc_u32 s21, 0, s22
	v_add_co_u32 v1, s17, v1, s17
	s_delay_alu instid0(VALU_DEP_1) | instskip(SKIP_1) | instid1(VALU_DEP_1)
	s_cmp_lg_u32 s17, 0
	s_addc_u32 s12, s12, s21
	v_readfirstlane_b32 s17, v1
	s_mul_i32 s21, s18, s12
	s_delay_alu instid0(VALU_DEP_1)
	s_mul_hi_u32 s22, s18, s17
	s_mul_i32 s19, s19, s17
	s_add_i32 s21, s22, s21
	s_mul_i32 s18, s18, s17
	s_add_i32 s21, s21, s19
	s_mul_hi_u32 s22, s12, s18
	s_mul_i32 s23, s12, s18
	s_mul_hi_u32 s18, s17, s18
	s_mul_hi_u32 s24, s17, s21
	s_mul_i32 s17, s17, s21
	s_mul_hi_u32 s19, s12, s21
	s_add_u32 s17, s18, s17
	s_addc_u32 s18, 0, s24
	s_add_u32 s17, s17, s23
	s_mul_i32 s21, s12, s21
	s_addc_u32 s17, s18, s22
	s_addc_u32 s18, s19, 0
	s_add_u32 s17, s17, s21
	s_addc_u32 s18, 0, s18
	v_add_co_u32 v1, s17, v1, s17
	s_delay_alu instid0(VALU_DEP_1) | instskip(SKIP_2) | instid1(SALU_CYCLE_1)
	s_cmp_lg_u32 s17, 0
	s_addc_u32 s12, s12, s18
	s_ashr_i32 s18, s3, 31
	s_add_u32 s22, s11, s18
	s_addc_u32 s23, s3, s18
	v_readfirstlane_b32 s3, v1
	s_mov_b32 s19, s18
	s_delay_alu instid0(SALU_CYCLE_1) | instskip(NEXT) | instid1(SALU_CYCLE_1)
	s_xor_b64 s[22:23], s[22:23], s[18:19]
	s_mul_i32 s21, s22, s12
	s_delay_alu instid0(VALU_DEP_1)
	s_mul_hi_u32 s24, s22, s3
	s_mul_hi_u32 s17, s22, s12
	;; [unrolled: 1-line block ×3, first 2 shown]
	s_mul_i32 s3, s23, s3
	s_add_u32 s21, s24, s21
	s_addc_u32 s17, 0, s17
	s_mul_hi_u32 s25, s23, s12
	s_add_u32 s3, s21, s3
	s_mul_i32 s12, s23, s12
	s_addc_u32 s3, s17, s26
	s_addc_u32 s17, s25, 0
	s_add_u32 s3, s3, s12
	s_addc_u32 s12, 0, s17
	s_mul_i32 s21, s20, s3
	s_add_u32 s17, s3, 1
	v_sub_co_u32 v1, s21, s22, s21
	s_mul_hi_u32 s22, s20, s3
	s_addc_u32 s24, s12, 0
	s_mul_i32 s25, s20, s12
	s_delay_alu instid0(VALU_DEP_1)
	v_sub_co_u32 v2, s26, v1, s20
	s_add_u32 s27, s3, 2
	s_addc_u32 s28, s12, 0
	s_add_i32 s22, s22, s25
	s_cmp_lg_u32 s21, 0
	v_readfirstlane_b32 s21, v2
	s_subb_u32 s22, s23, s22
	s_cmp_lg_u32 s26, 0
	s_subb_u32 s23, s22, 0
	s_delay_alu instid0(VALU_DEP_1) | instskip(SKIP_4) | instid1(SALU_CYCLE_1)
	s_cmp_ge_u32 s21, s20
	s_cselect_b32 s21, -1, 0
	s_cmp_eq_u32 s23, 0
	v_readfirstlane_b32 s23, v1
	s_cselect_b32 s21, s21, -1
	s_cmp_lg_u32 s21, 0
	s_cselect_b32 s17, s27, s17
	s_cselect_b32 s21, s28, s24
	s_cmp_ge_u32 s23, s20
	s_cselect_b32 s23, -1, 0
	s_cmp_eq_u32 s22, 0
	s_cselect_b32 s22, s23, -1
	s_delay_alu instid0(SALU_CYCLE_1) | instskip(SKIP_2) | instid1(SALU_CYCLE_1)
	s_cmp_lg_u32 s22, 0
	s_cselect_b32 s23, s21, s12
	s_cselect_b32 s22, s17, s3
	s_xor_b64 s[22:23], s[22:23], s[18:19]
	s_delay_alu instid0(SALU_CYCLE_1)
	s_sub_u32 s18, s22, s18
	s_and_not1_b32 vcc_lo, exec_lo, s2
	s_cbranch_vccnz .LBB45_6
.LBB45_5:
	v_cvt_f32_u32_e32 v1, s20
	s_sub_i32 s3, 0, s20
	s_delay_alu instid0(VALU_DEP_1) | instskip(SKIP_2) | instid1(VALU_DEP_1)
	v_rcp_iflag_f32_e32 v1, v1
	s_waitcnt_depctr 0xfff
	v_mul_f32_e32 v1, 0x4f7ffffe, v1
	v_cvt_u32_f32_e32 v1, v1
	s_delay_alu instid0(VALU_DEP_1) | instskip(NEXT) | instid1(VALU_DEP_1)
	v_readfirstlane_b32 s2, v1
	s_mul_i32 s3, s3, s2
	s_delay_alu instid0(SALU_CYCLE_1) | instskip(NEXT) | instid1(SALU_CYCLE_1)
	s_mul_hi_u32 s3, s2, s3
	s_add_i32 s2, s2, s3
	s_delay_alu instid0(SALU_CYCLE_1) | instskip(NEXT) | instid1(SALU_CYCLE_1)
	s_mul_hi_u32 s2, s11, s2
	s_mul_i32 s3, s2, s20
	s_delay_alu instid0(SALU_CYCLE_1)
	s_sub_i32 s3, s11, s3
	s_add_i32 s11, s2, 1
	s_sub_i32 s12, s3, s20
	s_cmp_ge_u32 s3, s20
	s_cselect_b32 s2, s11, s2
	s_cselect_b32 s3, s12, s3
	s_add_i32 s11, s2, 1
	s_cmp_ge_u32 s3, s20
	s_cselect_b32 s18, s11, s2
.LBB45_6:
	s_delay_alu instid0(SALU_CYCLE_1) | instskip(SKIP_3) | instid1(SALU_CYCLE_1)
	s_cmp_eq_u32 s16, s18
	s_mul_hi_u32 s2, s16, s8
	s_cselect_b32 s3, -1, 0
	s_add_i32 s2, s2, s16
	s_lshr_b32 s11, s2, s9
	s_delay_alu instid0(SALU_CYCLE_1) | instskip(NEXT) | instid1(SALU_CYCLE_1)
	s_mul_i32 s2, s11, s10
	s_cmp_eq_u32 s2, s16
	s_mul_hi_u32 s2, s18, s8
	s_cselect_b32 s12, -1, 0
	s_add_i32 s2, s2, s18
	s_delay_alu instid0(SALU_CYCLE_1) | instskip(NEXT) | instid1(SALU_CYCLE_1)
	s_lshr_b32 s2, s2, s9
	s_cmp_eq_u32 s11, s2
	s_mul_i32 s2, s2, s10
	s_cselect_b32 s17, -1, 0
	s_cmp_lg_u32 s2, s18
	s_cselect_b32 s2, -1, 0
	s_or_b32 s3, s3, s12
	s_and_b32 s2, s17, s2
	s_delay_alu instid0(SALU_CYCLE_1) | instskip(NEXT) | instid1(SALU_CYCLE_1)
	s_or_b32 s2, s3, s2
	s_and_b32 vcc_lo, exec_lo, s2
	s_cbranch_vccnz .LBB45_24
; %bb.7:
	s_load_b256 s[24:31], s[0:1], 0x20
	s_waitcnt lgkmcnt(0)
	s_mul_hi_u32 s2, s16, s24
	s_delay_alu instid0(SALU_CYCLE_1) | instskip(NEXT) | instid1(SALU_CYCLE_1)
	s_add_i32 s2, s2, s16
	s_lshr_b32 s17, s2, s25
	s_load_b32 s2, s[0:1], 0x40
	s_mul_i32 s3, s17, s26
	s_delay_alu instid0(SALU_CYCLE_1) | instskip(NEXT) | instid1(SALU_CYCLE_1)
	s_sub_i32 s3, s16, s3
	s_mul_hi_u32 s12, s3, s27
	s_delay_alu instid0(SALU_CYCLE_1) | instskip(NEXT) | instid1(SALU_CYCLE_1)
	s_add_i32 s12, s3, s12
	s_lshr_b32 s21, s12, s28
	s_delay_alu instid0(SALU_CYCLE_1) | instskip(NEXT) | instid1(SALU_CYCLE_1)
	s_mul_i32 s12, s21, s29
	s_sub_i32 s3, s3, s12
	s_delay_alu instid0(SALU_CYCLE_1) | instskip(NEXT) | instid1(SALU_CYCLE_1)
	s_mul_hi_u32 s12, s3, s30
	s_add_i32 s12, s3, s12
	s_delay_alu instid0(SALU_CYCLE_1)
	s_lshr_b32 s12, s12, s31
	s_waitcnt lgkmcnt(0)
	s_mul_i32 s2, s12, s2
	s_lshl_b32 s23, s12, 1
	s_sub_i32 s2, s3, s2
	s_mov_b32 s12, 0
	s_mul_hi_u32 s3, s2, s8
	s_delay_alu instid0(SALU_CYCLE_1) | instskip(NEXT) | instid1(SALU_CYCLE_1)
	s_add_i32 s2, s2, s3
	s_lshr_b32 s22, s2, s9
	s_delay_alu instid0(SALU_CYCLE_1) | instskip(NEXT) | instid1(SALU_CYCLE_1)
	s_lshl_b32 s2, s22, 2
	s_add_i32 s2, s2, s14
	s_delay_alu instid0(SALU_CYCLE_1) | instskip(SKIP_2) | instid1(SALU_CYCLE_1)
	s_cmp_lt_i32 s2, s4
	s_cselect_b32 s2, -1, 0
	s_add_i32 s3, s23, s15
	s_cmp_lt_i32 s3, s6
	s_cselect_b32 s3, -1, 0
	s_delay_alu instid0(SALU_CYCLE_1) | instskip(NEXT) | instid1(SALU_CYCLE_1)
	s_and_b32 s2, s2, s3
	s_and_not1_b32 vcc_lo, exec_lo, s2
	s_cbranch_vccnz .LBB45_24
; %bb.8:
	s_load_b128 s[0:3], s[0:1], 0x0
	s_lshl_b32 s18, s20, 5
	s_mov_b32 s19, s12
	s_lshl_b32 s24, s14, 1
	s_lshl_b64 s[18:19], s[18:19], 2
	s_mul_i32 s4, s17, s4
	s_add_i32 s17, s24, s15
	s_mul_i32 s21, s21, s6
	v_cvt_f32_ubyte0_e32 v4, 0
	v_cvt_f32_u32_e32 v5, s20
	s_waitcnt lgkmcnt(0)
	s_add_u32 s18, s2, s18
	s_addc_u32 s19, s3, s19
	s_add_i32 s4, s4, s14
	s_delay_alu instid0(SALU_CYCLE_1) | instskip(SKIP_4) | instid1(SALU_CYCLE_1)
	s_mul_i32 s4, s4, s5
	s_mul_i32 s5, s5, s22
	s_add_i32 s4, s4, s15
	s_lshl_b32 s5, s5, 8
	s_add_i32 s4, s4, s21
	s_add_i32 s4, s4, s23
	s_delay_alu instid0(SALU_CYCLE_1) | instskip(NEXT) | instid1(SALU_CYCLE_1)
	s_lshl_b32 s4, s4, 6
	s_add_i32 s5, s5, s4
	s_delay_alu instid0(SALU_CYCLE_1) | instskip(SKIP_1) | instid1(VALU_DEP_2)
	v_or_b32_e32 v1, s5, v0
	v_lshl_or_b32 v0, s17, 6, v0
	v_ashrrev_i32_e32 v2, 31, v1
	s_delay_alu instid0(VALU_DEP_1) | instskip(NEXT) | instid1(VALU_DEP_1)
	v_lshlrev_b64 v[1:2], 2, v[1:2]
	v_add_co_u32 v1, vcc_lo, s0, v1
	s_delay_alu instid0(VALU_DEP_2) | instskip(SKIP_1) | instid1(SALU_CYCLE_1)
	v_add_co_ci_u32_e32 v2, vcc_lo, s1, v2, vcc_lo
	s_lshl_b32 s0, s13, 3
	s_add_i32 s0, s17, s0
	global_load_b32 v3, v[1:2], off
	s_ashr_i32 s1, s0, 31
	s_delay_alu instid0(SALU_CYCLE_1) | instskip(NEXT) | instid1(SALU_CYCLE_1)
	s_lshl_b64 s[0:1], s[0:1], 3
	s_add_u32 s0, s2, s0
	s_addc_u32 s1, s3, s1
	s_add_i32 s14, s13, -1
	s_load_b64 s[0:1], s[0:1], 0x0
	v_fmac_f32_e32 v5, 0x4f800000, v4
	s_sub_i32 s6, 0, s20
	s_waitcnt lgkmcnt(0)
	v_mov_b32_e32 v8, s0
	s_delay_alu instid0(VALU_DEP_2) | instskip(SKIP_2) | instid1(VALU_DEP_2)
	v_rcp_f32_e32 v4, v5
	v_cvt_f32_u32_e32 v5, s20
	v_mov_b32_e32 v7, s1
	v_rcp_iflag_f32_e32 v5, v5
	s_waitcnt_depctr 0xfff
	v_mul_f32_e32 v4, 0x5f7ffffc, v4
	s_delay_alu instid0(VALU_DEP_1) | instskip(SKIP_1) | instid1(VALU_DEP_2)
	v_mul_f32_e32 v6, 0x2f800000, v4
	v_mul_f32_e32 v9, 0x4f7ffffe, v5
	v_trunc_f32_e32 v6, v6
	s_delay_alu instid0(VALU_DEP_1) | instskip(SKIP_1) | instid1(VALU_DEP_4)
	v_fmac_f32_e32 v4, 0xcf800000, v6
	v_cvt_u32_f32_e32 v5, v6
	v_cvt_u32_f32_e32 v6, v9
	s_delay_alu instid0(VALU_DEP_3)
	v_cvt_u32_f32_e32 v4, v4
.LBB45_9:                               ; =>This Inner Loop Header: Depth=1
	s_mul_hi_i32 s13, s14, s7
	s_mul_i32 s4, s14, s7
	s_cmp_lg_u64 s[12:13], 0
	s_mov_b32 s5, -1
                                        ; implicit-def: $sgpr0_sgpr1
	s_cbranch_scc0 .LBB45_11
; %bb.10:                               ;   in Loop: Header=BB45_9 Depth=1
	v_readfirstlane_b32 s0, v4
	v_readfirstlane_b32 s1, v5
	s_sub_u32 s5, 0, s20
	s_subb_u32 s15, 0, 0
	s_delay_alu instid0(VALU_DEP_2) | instskip(NEXT) | instid1(VALU_DEP_1)
	s_mul_hi_u32 s21, s5, s0
	s_mul_i32 s22, s5, s1
	s_mul_i32 s23, s15, s0
	s_add_i32 s21, s21, s22
	s_mul_i32 s22, s5, s0
	s_add_i32 s21, s21, s23
	s_mul_hi_u32 s23, s0, s22
	s_mul_i32 s24, s0, s21
	s_mul_hi_u32 s0, s0, s21
	s_add_u32 s23, s23, s24
	s_mul_i32 s25, s1, s22
	s_addc_u32 s0, 0, s0
	s_mul_hi_u32 s22, s1, s22
	s_mul_hi_u32 s24, s1, s21
	s_add_u32 s23, s23, s25
	s_addc_u32 s0, s0, s22
	s_mul_i32 s21, s1, s21
	s_addc_u32 s22, s24, 0
	s_add_u32 s0, s0, s21
	s_addc_u32 s21, 0, s22
	v_add_co_u32 v9, s0, v4, s0
	s_delay_alu instid0(VALU_DEP_1) | instskip(SKIP_1) | instid1(VALU_DEP_1)
	s_cmp_lg_u32 s0, 0
	s_addc_u32 s1, s1, s21
	v_readfirstlane_b32 s0, v9
	s_mul_i32 s21, s5, s1
	s_delay_alu instid0(VALU_DEP_1)
	s_mul_hi_u32 s22, s5, s0
	s_mul_i32 s15, s15, s0
	s_add_i32 s21, s22, s21
	s_mul_i32 s5, s5, s0
	s_add_i32 s21, s21, s15
	s_mul_hi_u32 s15, s1, s5
	s_mul_i32 s23, s1, s5
	s_mul_i32 s24, s0, s21
	s_mul_hi_u32 s5, s0, s5
	s_mul_hi_u32 s0, s0, s21
	s_add_u32 s5, s5, s24
	s_addc_u32 s0, 0, s0
	s_mul_hi_u32 s22, s1, s21
	s_add_u32 s5, s5, s23
	s_addc_u32 s0, s0, s15
	s_mul_i32 s5, s1, s21
	s_addc_u32 s15, s22, 0
	s_add_u32 s0, s0, s5
	s_addc_u32 s5, 0, s15
	v_add_co_u32 v9, s0, v9, s0
	s_delay_alu instid0(VALU_DEP_1) | instskip(SKIP_2) | instid1(SALU_CYCLE_1)
	s_cmp_lg_u32 s0, 0
	s_addc_u32 s5, s1, s5
	s_ashr_i32 s0, s13, 31
	s_add_u32 s22, s4, s0
	s_addc_u32 s23, s13, s0
	v_readfirstlane_b32 s13, v9
	s_mov_b32 s1, s0
	s_delay_alu instid0(SALU_CYCLE_1) | instskip(NEXT) | instid1(SALU_CYCLE_1)
	s_xor_b64 s[22:23], s[22:23], s[0:1]
	s_mul_i32 s15, s22, s5
	s_delay_alu instid0(VALU_DEP_1)
	s_mul_hi_u32 s21, s22, s13
	s_mul_hi_u32 s24, s22, s5
	s_add_u32 s15, s21, s15
	s_mul_i32 s25, s23, s13
	s_addc_u32 s21, 0, s24
	s_mul_hi_u32 s13, s23, s13
	s_mul_hi_u32 s24, s23, s5
	s_add_u32 s15, s15, s25
	s_addc_u32 s13, s21, s13
	s_mul_i32 s5, s23, s5
	s_addc_u32 s15, s24, 0
	s_add_u32 s5, s13, s5
	s_addc_u32 s13, 0, s15
	s_mul_i32 s21, s20, s5
	s_add_u32 s15, s5, 1
	v_sub_co_u32 v9, s21, s22, s21
	s_addc_u32 s22, s13, 0
	s_mul_i32 s25, s20, s13
	s_mul_hi_u32 s27, s20, s5
	s_delay_alu instid0(VALU_DEP_1)
	v_sub_co_u32 v10, s26, v9, s20
	s_add_u32 s24, s5, 2
	s_addc_u32 s28, s13, 0
	s_add_i32 s27, s27, s25
	s_cmp_lg_u32 s21, 0
	v_readfirstlane_b32 s21, v10
	s_subb_u32 s23, s23, s27
	s_cmp_lg_u32 s26, 0
	s_subb_u32 s25, s23, 0
	s_delay_alu instid0(VALU_DEP_1) | instskip(SKIP_4) | instid1(SALU_CYCLE_1)
	s_cmp_ge_u32 s21, s20
	s_cselect_b32 s21, -1, 0
	s_cmp_eq_u32 s25, 0
	v_readfirstlane_b32 s25, v9
	s_cselect_b32 s21, s21, -1
	s_cmp_lg_u32 s21, 0
	s_cselect_b32 s15, s24, s15
	s_cselect_b32 s21, s28, s22
	s_cmp_ge_u32 s25, s20
	s_cselect_b32 s22, -1, 0
	s_cmp_eq_u32 s23, 0
	s_cselect_b32 s22, s22, -1
	s_delay_alu instid0(SALU_CYCLE_1) | instskip(SKIP_4) | instid1(SALU_CYCLE_1)
	s_cmp_lg_u32 s22, 0
	s_cselect_b32 s23, s21, s13
	s_cselect_b32 s22, s15, s5
	s_mov_b32 s5, 0
	s_xor_b64 s[22:23], s[22:23], s[0:1]
	s_sub_u32 s0, s22, s0
.LBB45_11:                              ;   in Loop: Header=BB45_9 Depth=1
	s_and_not1_b32 vcc_lo, exec_lo, s5
	s_cbranch_vccnz .LBB45_13
; %bb.12:                               ;   in Loop: Header=BB45_9 Depth=1
	v_readfirstlane_b32 s0, v6
	s_delay_alu instid0(VALU_DEP_1) | instskip(NEXT) | instid1(SALU_CYCLE_1)
	s_mul_i32 s1, s6, s0
	s_mul_hi_u32 s1, s0, s1
	s_delay_alu instid0(SALU_CYCLE_1) | instskip(NEXT) | instid1(SALU_CYCLE_1)
	s_add_i32 s0, s0, s1
	s_mul_hi_u32 s0, s4, s0
	s_delay_alu instid0(SALU_CYCLE_1) | instskip(NEXT) | instid1(SALU_CYCLE_1)
	s_mul_i32 s1, s0, s20
	s_sub_i32 s1, s4, s1
	s_add_i32 s4, s0, 1
	s_sub_i32 s5, s1, s20
	s_cmp_ge_u32 s1, s20
	s_cselect_b32 s0, s4, s0
	s_cselect_b32 s1, s5, s1
	s_add_i32 s4, s0, 1
	s_cmp_ge_u32 s1, s20
	s_cselect_b32 s0, s4, s0
.LBB45_13:                              ;   in Loop: Header=BB45_9 Depth=1
	s_delay_alu instid0(SALU_CYCLE_1)
	s_cmp_lg_u32 s16, s0
	s_cbranch_scc0 .LBB45_17
; %bb.14:                               ;   in Loop: Header=BB45_9 Depth=1
	s_add_i32 s1, s14, s20
	s_mov_b32 s5, s12
	s_lshl_b32 s1, s1, 3
	s_mov_b32 s15, s16
	s_add_i32 s4, s1, s17
	s_mul_hi_u32 s1, s0, s8
	s_lshl_b64 s[4:5], s[4:5], 3
	s_delay_alu instid0(SALU_CYCLE_1) | instskip(SKIP_2) | instid1(SALU_CYCLE_1)
	s_add_u32 s4, s2, s4
	s_addc_u32 s5, s3, s5
	s_add_i32 s1, s1, s0
	s_lshr_b32 s1, s1, s9
	s_delay_alu instid0(SALU_CYCLE_1) | instskip(NEXT) | instid1(SALU_CYCLE_1)
	s_mul_i32 s13, s1, s10
	s_cmp_eq_u32 s13, s0
	s_cselect_b32 s13, -1, 0
	s_cmp_lt_u32 s1, s11
	s_cselect_b32 s1, -1, 0
	s_delay_alu instid0(SALU_CYCLE_1)
	s_or_b32 s1, s1, s13
	s_mov_b32 s13, -1
	s_and_b32 vcc_lo, exec_lo, s1
	s_mov_b32 s1, s14
	s_cbranch_vccnz .LBB45_16
; %bb.15:                               ;   in Loop: Header=BB45_9 Depth=1
	s_add_i32 s1, s14, -1
	s_mov_b32 s13, 0
	s_mov_b32 s15, s0
.LBB45_16:                              ;   in Loop: Header=BB45_9 Depth=1
	v_lshl_add_u32 v9, s14, 9, v0
	s_load_b64 s[4:5], s[4:5], 0x0
	s_delay_alu instid0(VALU_DEP_1) | instskip(NEXT) | instid1(VALU_DEP_1)
	v_ashrrev_i32_e32 v10, 31, v9
	v_lshlrev_b64 v[9:10], 2, v[9:10]
	s_delay_alu instid0(VALU_DEP_1) | instskip(NEXT) | instid1(VALU_DEP_2)
	v_add_co_u32 v9, vcc_lo, s18, v9
	v_add_co_ci_u32_e32 v10, vcc_lo, s19, v10, vcc_lo
	s_waitcnt lgkmcnt(0)
	v_max_f32_e64 v11, s4, s4
	global_load_b32 v10, v[9:10], off
	v_max_f32_e32 v9, v8, v8
	s_delay_alu instid0(VALU_DEP_1) | instskip(NEXT) | instid1(VALU_DEP_1)
	v_max_f32_e32 v9, v9, v11
	v_sub_f32_e32 v12, v8, v9
	s_delay_alu instid0(VALU_DEP_1) | instskip(NEXT) | instid1(VALU_DEP_1)
	v_dual_mul_f32 v14, 0x3fb8aa3b, v12 :: v_dual_sub_f32 v11, s4, v9
	v_rndne_f32_e32 v18, v14
	s_delay_alu instid0(VALU_DEP_2) | instskip(SKIP_2) | instid1(VALU_DEP_4)
	v_mul_f32_e32 v13, 0x3fb8aa3b, v11
	v_fma_f32 v17, 0x3fb8aa3b, v12, -v14
	v_cmp_ngt_f32_e32 vcc_lo, 0xc2ce8ed0, v11
	v_sub_f32_e32 v14, v14, v18
	s_delay_alu instid0(VALU_DEP_4) | instskip(SKIP_2) | instid1(VALU_DEP_3)
	v_fma_f32 v15, 0x3fb8aa3b, v11, -v13
	v_rndne_f32_e32 v16, v13
	v_fmac_f32_e32 v17, 0x32a5705f, v12
	v_fmac_f32_e32 v15, 0x32a5705f, v11
	s_delay_alu instid0(VALU_DEP_2) | instskip(NEXT) | instid1(VALU_DEP_1)
	v_dual_sub_f32 v13, v13, v16 :: v_dual_add_f32 v14, v14, v17
	v_add_f32_e32 v13, v13, v15
	s_delay_alu instid0(VALU_DEP_2) | instskip(SKIP_2) | instid1(VALU_DEP_3)
	v_exp_f32_e32 v14, v14
	v_cvt_i32_f32_e32 v15, v16
	v_cvt_i32_f32_e32 v16, v18
	v_exp_f32_e32 v13, v13
	s_waitcnt_depctr 0xfff
	v_ldexp_f32 v14, v14, v16
	v_ldexp_f32 v13, v13, v15
	s_delay_alu instid0(VALU_DEP_1) | instskip(SKIP_1) | instid1(VALU_DEP_4)
	v_cndmask_b32_e32 v13, 0, v13, vcc_lo
	v_cmp_ngt_f32_e32 vcc_lo, 0xc2ce8ed0, v12
	v_cndmask_b32_e32 v14, 0, v14, vcc_lo
	v_cmp_nlt_f32_e32 vcc_lo, 0x42b17218, v11
	s_delay_alu instid0(VALU_DEP_4) | instskip(SKIP_1) | instid1(VALU_DEP_4)
	v_cndmask_b32_e32 v13, 0x7f800000, v13, vcc_lo
	v_cmp_nlt_f32_e32 vcc_lo, 0x42b17218, v12
	v_cndmask_b32_e32 v14, 0x7f800000, v14, vcc_lo
	v_cmp_le_f32_e32 vcc_lo, 0xc1a00000, v11
	s_delay_alu instid0(VALU_DEP_4) | instskip(SKIP_1) | instid1(VALU_DEP_4)
	v_cndmask_b32_e32 v11, 0, v13, vcc_lo
	v_cmp_le_f32_e32 vcc_lo, 0xc1a00000, v12
	v_cndmask_b32_e32 v12, 0, v14, vcc_lo
	s_waitcnt vmcnt(0)
	s_delay_alu instid0(VALU_DEP_3) | instskip(NEXT) | instid1(VALU_DEP_1)
	v_mul_f32_e32 v10, v10, v11
	v_dual_mul_f32 v11, s5, v11 :: v_dual_fmac_f32 v10, v3, v12
	s_delay_alu instid0(VALU_DEP_1)
	v_fmac_f32_e32 v11, v7, v12
	s_cbranch_execz .LBB45_18
	s_branch .LBB45_19
.LBB45_17:                              ;   in Loop: Header=BB45_9 Depth=1
                                        ; implicit-def: $sgpr13
                                        ; implicit-def: $vgpr10
                                        ; implicit-def: $vgpr9
                                        ; implicit-def: $vgpr11
                                        ; implicit-def: $sgpr1
                                        ; implicit-def: $sgpr15
.LBB45_18:                              ;   in Loop: Header=BB45_9 Depth=1
	v_mov_b32_e32 v11, v7
	s_waitcnt vmcnt(0)
	v_dual_mov_b32 v9, v8 :: v_dual_mov_b32 v10, v3
	s_add_i32 s1, s14, -1
	s_mov_b32 s13, 0
	s_mov_b32 s15, s16
.LBB45_19:                              ;   in Loop: Header=BB45_9 Depth=1
	s_and_not1_b32 vcc_lo, exec_lo, s13
	s_cbranch_vccz .LBB45_23
; %bb.20:                               ;   in Loop: Header=BB45_9 Depth=1
	v_dual_mov_b32 v7, v11 :: v_dual_mov_b32 v8, v9
	s_waitcnt vmcnt(0)
	v_mov_b32_e32 v3, v10
	s_mov_b32 s16, s15
	s_mov_b32 s14, s1
	s_branch .LBB45_9
.LBB45_21:
                                        ; implicit-def: $sgpr16_sgpr17
	s_load_b128 s[8:11], s[0:1], 0x44
	s_branch .LBB45_2
.LBB45_22:
                                        ; implicit-def: $sgpr18_sgpr19
	s_branch .LBB45_5
.LBB45_23:
	v_div_scale_f32 v0, null, v11, v11, v10
	s_waitcnt vmcnt(0)
	s_delay_alu instid0(VALU_DEP_1) | instskip(SKIP_2) | instid1(VALU_DEP_1)
	v_rcp_f32_e32 v3, v0
	s_waitcnt_depctr 0xfff
	v_fma_f32 v4, -v0, v3, 1.0
	v_fmac_f32_e32 v3, v4, v3
	v_div_scale_f32 v4, vcc_lo, v10, v11, v10
	s_delay_alu instid0(VALU_DEP_1) | instskip(NEXT) | instid1(VALU_DEP_1)
	v_mul_f32_e32 v5, v4, v3
	v_fma_f32 v6, -v0, v5, v4
	s_delay_alu instid0(VALU_DEP_1) | instskip(NEXT) | instid1(VALU_DEP_1)
	v_fmac_f32_e32 v5, v6, v3
	v_fma_f32 v0, -v0, v5, v4
	s_delay_alu instid0(VALU_DEP_1) | instskip(NEXT) | instid1(VALU_DEP_1)
	v_div_fmas_f32 v0, v0, v3, v5
	v_div_fixup_f32 v0, v0, v11, v10
	global_store_b32 v[1:2], v0, off
.LBB45_24:
	s_nop 0
	s_sendmsg sendmsg(MSG_DEALLOC_VGPRS)
	s_endpgm
	.section	.rodata,"a",@progbits
	.p2align	6, 0x0
	.amdhsa_kernel _ZL33flash_attn_stream_k_fixup_generalILi64ELi4ELi2EEvPfPK15HIP_vector_typeIfLj2EEiiiiS1_IjLj3EES5_S5_S5_
		.amdhsa_group_segment_fixed_size 0
		.amdhsa_private_segment_fixed_size 0
		.amdhsa_kernarg_size 336
		.amdhsa_user_sgpr_count 13
		.amdhsa_user_sgpr_dispatch_ptr 0
		.amdhsa_user_sgpr_queue_ptr 0
		.amdhsa_user_sgpr_kernarg_segment_ptr 1
		.amdhsa_user_sgpr_dispatch_id 0
		.amdhsa_user_sgpr_private_segment_size 0
		.amdhsa_wavefront_size32 1
		.amdhsa_uses_dynamic_stack 0
		.amdhsa_enable_private_segment 0
		.amdhsa_system_sgpr_workgroup_id_x 1
		.amdhsa_system_sgpr_workgroup_id_y 1
		.amdhsa_system_sgpr_workgroup_id_z 1
		.amdhsa_system_sgpr_workgroup_info 0
		.amdhsa_system_vgpr_workitem_id 0
		.amdhsa_next_free_vgpr 19
		.amdhsa_next_free_sgpr 32
		.amdhsa_reserve_vcc 1
		.amdhsa_float_round_mode_32 0
		.amdhsa_float_round_mode_16_64 0
		.amdhsa_float_denorm_mode_32 3
		.amdhsa_float_denorm_mode_16_64 3
		.amdhsa_dx10_clamp 1
		.amdhsa_ieee_mode 1
		.amdhsa_fp16_overflow 0
		.amdhsa_workgroup_processor_mode 1
		.amdhsa_memory_ordered 1
		.amdhsa_forward_progress 0
		.amdhsa_shared_vgpr_count 0
		.amdhsa_exception_fp_ieee_invalid_op 0
		.amdhsa_exception_fp_denorm_src 0
		.amdhsa_exception_fp_ieee_div_zero 0
		.amdhsa_exception_fp_ieee_overflow 0
		.amdhsa_exception_fp_ieee_underflow 0
		.amdhsa_exception_fp_ieee_inexact 0
		.amdhsa_exception_int_div_zero 0
	.end_amdhsa_kernel
	.section	.text._ZL33flash_attn_stream_k_fixup_generalILi64ELi4ELi2EEvPfPK15HIP_vector_typeIfLj2EEiiiiS1_IjLj3EES5_S5_S5_,"axG",@progbits,_ZL33flash_attn_stream_k_fixup_generalILi64ELi4ELi2EEvPfPK15HIP_vector_typeIfLj2EEiiiiS1_IjLj3EES5_S5_S5_,comdat
.Lfunc_end45:
	.size	_ZL33flash_attn_stream_k_fixup_generalILi64ELi4ELi2EEvPfPK15HIP_vector_typeIfLj2EEiiiiS1_IjLj3EES5_S5_S5_, .Lfunc_end45-_ZL33flash_attn_stream_k_fixup_generalILi64ELi4ELi2EEvPfPK15HIP_vector_typeIfLj2EEiiiiS1_IjLj3EES5_S5_S5_
                                        ; -- End function
	.section	.AMDGPU.csdata,"",@progbits
; Kernel info:
; codeLenInByte = 3224
; NumSgprs: 34
; NumVgprs: 19
; ScratchSize: 0
; MemoryBound: 0
; FloatMode: 240
; IeeeMode: 1
; LDSByteSize: 0 bytes/workgroup (compile time only)
; SGPRBlocks: 4
; VGPRBlocks: 2
; NumSGPRsForWavesPerEU: 34
; NumVGPRsForWavesPerEU: 19
; Occupancy: 16
; WaveLimiterHint : 0
; COMPUTE_PGM_RSRC2:SCRATCH_EN: 0
; COMPUTE_PGM_RSRC2:USER_SGPR: 13
; COMPUTE_PGM_RSRC2:TRAP_HANDLER: 0
; COMPUTE_PGM_RSRC2:TGID_X_EN: 1
; COMPUTE_PGM_RSRC2:TGID_Y_EN: 1
; COMPUTE_PGM_RSRC2:TGID_Z_EN: 1
; COMPUTE_PGM_RSRC2:TIDIG_COMP_CNT: 0
	.section	.text._ZL15flash_attn_tileILi64ELi64ELi2ELi2ELb0EEvPKcS1_S1_S1_S1_PKiPfP15HIP_vector_typeIfLj2EEffffjfiS5_IjLj3EEiiiiiiiiiiiliiliiiiil,"axG",@progbits,_ZL15flash_attn_tileILi64ELi64ELi2ELi2ELb0EEvPKcS1_S1_S1_S1_PKiPfP15HIP_vector_typeIfLj2EEffffjfiS5_IjLj3EEiiiiiiiiiiiliiliiiiil,comdat
	.globl	_ZL15flash_attn_tileILi64ELi64ELi2ELi2ELb0EEvPKcS1_S1_S1_S1_PKiPfP15HIP_vector_typeIfLj2EEffffjfiS5_IjLj3EEiiiiiiiiiiiliiliiiiil ; -- Begin function _ZL15flash_attn_tileILi64ELi64ELi2ELi2ELb0EEvPKcS1_S1_S1_S1_PKiPfP15HIP_vector_typeIfLj2EEffffjfiS5_IjLj3EEiiiiiiiiiiiliiliiiiil
	.p2align	8
	.type	_ZL15flash_attn_tileILi64ELi64ELi2ELi2ELb0EEvPKcS1_S1_S1_S1_PKiPfP15HIP_vector_typeIfLj2EEffffjfiS5_IjLj3EEiiiiiiiiiiiliiliiiiil,@function
_ZL15flash_attn_tileILi64ELi64ELi2ELi2ELb0EEvPKcS1_S1_S1_S1_PKiPfP15HIP_vector_typeIfLj2EEffffjfiS5_IjLj3EEiiiiiiiiiiiliiliiiiil: ; @_ZL15flash_attn_tileILi64ELi64ELi2ELi2ELb0EEvPKcS1_S1_S1_S1_PKiPfP15HIP_vector_typeIfLj2EEffffjfiS5_IjLj3EEiiiiiiiiiiiliiliiiiil
; %bb.0:
	s_clause 0x1
	s_load_b128 s[8:11], s[0:1], 0x5c
	s_load_b64 s[34:35], s[0:1], 0x80
	s_mov_b64 s[36:37], 0
	s_waitcnt lgkmcnt(0)
	s_lshr_b32 s2, s11, 31
	s_delay_alu instid0(SALU_CYCLE_1) | instskip(NEXT) | instid1(SALU_CYCLE_1)
	s_add_i32 s2, s11, s2
	s_ashr_i32 s2, s2, 1
	s_delay_alu instid0(SALU_CYCLE_1) | instskip(SKIP_1) | instid1(VALU_DEP_1)
	v_cvt_f32_u32_e32 v1, s2
	s_sub_i32 s4, 0, s2
	v_rcp_iflag_f32_e32 v1, v1
	s_waitcnt_depctr 0xfff
	v_mul_f32_e32 v1, 0x4f7ffffe, v1
	s_delay_alu instid0(VALU_DEP_1) | instskip(NEXT) | instid1(VALU_DEP_1)
	v_cvt_u32_f32_e32 v1, v1
	v_readfirstlane_b32 s3, v1
	s_delay_alu instid0(VALU_DEP_1) | instskip(NEXT) | instid1(SALU_CYCLE_1)
	s_mul_i32 s4, s4, s3
	s_mul_hi_u32 s4, s3, s4
	s_delay_alu instid0(SALU_CYCLE_1) | instskip(NEXT) | instid1(SALU_CYCLE_1)
	s_add_i32 s3, s3, s4
	s_mul_hi_u32 s3, s15, s3
	s_delay_alu instid0(SALU_CYCLE_1) | instskip(SKIP_2) | instid1(SALU_CYCLE_1)
	s_mul_i32 s4, s3, s2
	s_add_i32 s5, s3, 1
	s_sub_i32 s4, s15, s4
	s_sub_i32 s6, s4, s2
	s_cmp_ge_u32 s4, s2
	s_cselect_b32 s3, s5, s3
	s_cselect_b32 s4, s6, s4
	s_add_i32 s5, s3, 1
	s_cmp_ge_u32 s4, s2
	s_cselect_b32 s33, s5, s3
	s_abs_i32 s2, s35
	s_abs_i32 s7, s11
	v_cvt_f32_u32_e32 v1, s2
	s_sub_i32 s4, 0, s2
	s_lshl_b32 s5, s15, 1
	s_mul_i32 s6, s33, s11
	s_delay_alu instid0(VALU_DEP_1) | instskip(SKIP_3) | instid1(VALU_DEP_1)
	v_rcp_iflag_f32_e32 v1, v1
	s_sub_i32 s12, s5, s6
	s_waitcnt_depctr 0xfff
	v_mul_f32_e32 v1, 0x4f7ffffe, v1
	v_cvt_u32_f32_e32 v1, v1
	s_delay_alu instid0(VALU_DEP_1) | instskip(NEXT) | instid1(VALU_DEP_1)
	v_readfirstlane_b32 s3, v1
	s_mul_i32 s4, s4, s3
	s_delay_alu instid0(SALU_CYCLE_1) | instskip(NEXT) | instid1(SALU_CYCLE_1)
	s_mul_hi_u32 s4, s3, s4
	s_add_i32 s3, s3, s4
	s_xor_b32 s4, s11, s35
	s_mul_hi_u32 s3, s7, s3
	s_ashr_i32 s4, s4, 31
	s_mul_i32 s5, s3, s2
	s_add_i32 s6, s3, 1
	s_sub_i32 s5, s7, s5
	s_delay_alu instid0(SALU_CYCLE_1)
	s_sub_i32 s7, s5, s2
	s_cmp_ge_u32 s5, s2
	s_cselect_b32 s3, s6, s3
	s_cselect_b32 s5, s7, s5
	s_add_i32 s6, s3, 1
	s_cmp_ge_u32 s5, s2
	s_cselect_b32 s2, s6, s3
	s_delay_alu instid0(SALU_CYCLE_1) | instskip(NEXT) | instid1(SALU_CYCLE_1)
	s_xor_b32 s2, s2, s4
	s_sub_i32 s15, s2, s4
	s_clause 0x1
	s_load_b512 s[16:31], s[0:1], 0x0
	s_load_b64 s[2:3], s[0:1], 0xb8
	s_abs_i32 s35, s15
	s_delay_alu instid0(SALU_CYCLE_1) | instskip(NEXT) | instid1(VALU_DEP_1)
	v_cvt_f32_u32_e32 v1, s35
	v_rcp_iflag_f32_e32 v1, v1
	s_waitcnt_depctr 0xfff
	v_mul_f32_e32 v1, 0x4f7ffffe, v1
	s_waitcnt lgkmcnt(0)
	s_cmp_eq_u64 s[22:23], 0
	s_delay_alu instid0(VALU_DEP_1) | instskip(NEXT) | instid1(VALU_DEP_1)
	v_cvt_u32_f32_e32 v1, v1
	v_readfirstlane_b32 s38, v1
	s_cbranch_scc1 .LBB46_2
; %bb.1:
	s_abs_i32 s2, s2
	s_abs_i32 s6, s33
	v_cvt_f32_u32_e32 v1, s2
	s_sub_i32 s5, 0, s2
	s_delay_alu instid0(VALU_DEP_1) | instskip(SKIP_2) | instid1(VALU_DEP_1)
	v_rcp_iflag_f32_e32 v1, v1
	s_waitcnt_depctr 0xfff
	v_mul_f32_e32 v1, 0x4f7ffffe, v1
	v_cvt_u32_f32_e32 v1, v1
	s_delay_alu instid0(VALU_DEP_1) | instskip(NEXT) | instid1(VALU_DEP_1)
	v_readfirstlane_b32 s4, v1
	s_mul_i32 s5, s5, s4
	s_delay_alu instid0(SALU_CYCLE_1) | instskip(NEXT) | instid1(SALU_CYCLE_1)
	s_mul_hi_u32 s5, s4, s5
	s_add_i32 s7, s4, s5
	s_load_b64 s[4:5], s[0:1], 0xc8
	s_mul_hi_u32 s7, s6, s7
	s_delay_alu instid0(SALU_CYCLE_1) | instskip(NEXT) | instid1(SALU_CYCLE_1)
	s_mul_i32 s7, s7, s2
	s_sub_i32 s6, s6, s7
	s_ashr_i32 s7, s33, 31
	s_sub_i32 s36, s6, s2
	s_cmp_ge_u32 s6, s2
	s_cselect_b32 s6, s36, s6
	s_delay_alu instid0(SALU_CYCLE_1) | instskip(SKIP_2) | instid1(SALU_CYCLE_1)
	s_sub_i32 s36, s6, s2
	s_cmp_ge_u32 s6, s2
	s_cselect_b32 s2, s36, s6
	s_xor_b32 s2, s2, s7
	s_delay_alu instid0(SALU_CYCLE_1)
	s_sub_i32 s2, s2, s7
	s_waitcnt lgkmcnt(0)
	s_mul_i32 s5, s2, s5
	s_mul_hi_u32 s6, s2, s4
	s_ashr_i32 s7, s2, 31
	s_add_i32 s5, s6, s5
	s_mul_i32 s7, s7, s4
	s_mul_i32 s2, s2, s4
	s_add_i32 s5, s5, s7
	s_add_u32 s36, s22, s2
	s_addc_u32 s37, s23, s5
.LBB46_2:
	v_bfe_u32 v6, v0, 10, 10
	s_load_b128 s[4:7], s[0:1], 0x70
	v_and_b32_e32 v0, 0x3ff, v0
	s_delay_alu instid0(VALU_DEP_2) | instskip(NEXT) | instid1(VALU_DEP_2)
	v_lshl_add_u32 v1, s13, 1, v6
	v_lshlrev_b32_e32 v22, 2, v0
	s_delay_alu instid0(VALU_DEP_2) | instskip(NEXT) | instid1(VALU_DEP_2)
	v_mul_hi_u32 v2, s8, v1
	v_lshl_or_b32 v8, v6, 8, v22
	s_delay_alu instid0(VALU_DEP_1) | instskip(NEXT) | instid1(VALU_DEP_3)
	v_add_nc_u32_e32 v8, 0x1000, v8
	v_add_nc_u32_e32 v2, v1, v2
	s_waitcnt lgkmcnt(0)
	s_mul_i32 s2, s33, s6
	s_mul_i32 s6, s12, s5
	s_delay_alu instid0(VALU_DEP_1)
	v_lshrrev_b32_e32 v2, s9, v2
	s_ashr_i32 s7, s2, 31
	s_add_u32 s2, s16, s2
	s_addc_u32 s7, s17, s7
	s_ashr_i32 s8, s6, 31
	v_mul_lo_u32 v2, v2, s10
	s_add_u32 s2, s2, s6
	s_addc_u32 s6, s7, s8
	s_ashr_i32 s7, s4, 31
	s_delay_alu instid0(SALU_CYCLE_1) | instskip(SKIP_1) | instid1(VALU_DEP_2)
	v_alignbit_b32 v4, s7, s4, 2
	s_lshr_b32 s4, s7, 2
	v_sub_nc_u32_e32 v7, v1, v2
	s_delay_alu instid0(VALU_DEP_1) | instskip(NEXT) | instid1(VALU_DEP_1)
	v_mad_u64_u32 v[2:3], null, v4, v7, 0
	v_mad_u64_u32 v[4:5], null, s4, v7, v[3:4]
	s_and_b32 s4, s5, -4
	s_delay_alu instid0(VALU_DEP_1) | instskip(NEXT) | instid1(VALU_DEP_1)
	v_dual_mov_b32 v3, v4 :: v_dual_lshlrev_b32 v4, 3, v0
	v_lshlrev_b64 v[2:3], 2, v[2:3]
	s_delay_alu instid0(VALU_DEP_1) | instskip(NEXT) | instid1(VALU_DEP_2)
	v_add_co_u32 v2, vcc_lo, s2, v2
	v_add_co_ci_u32_e32 v3, vcc_lo, s6, v3, vcc_lo
	s_ashr_i32 s2, s5, 31
	s_delay_alu instid0(VALU_DEP_2) | instskip(NEXT) | instid1(VALU_DEP_2)
	v_add_co_u32 v2, vcc_lo, v2, v4
	v_add_co_ci_u32_e32 v3, vcc_lo, 0, v3, vcc_lo
	s_cmp_eq_u64 s[26:27], 0
	s_delay_alu instid0(VALU_DEP_2) | instskip(NEXT) | instid1(VALU_DEP_2)
	v_add_co_u32 v4, vcc_lo, v2, s4
	v_add_co_ci_u32_e32 v5, vcc_lo, s2, v3, vcc_lo
	s_load_b32 s2, s[0:1], 0x40
	s_clause 0x1
	global_load_b64 v[2:3], v[2:3], off
	global_load_b64 v[4:5], v[4:5], off
	s_waitcnt vmcnt(1) lgkmcnt(0)
	v_fma_mixlo_f16 v2, v2, s2, 0
	s_waitcnt vmcnt(0)
	v_fma_mixlo_f16 v4, v4, s2, 0
	s_delay_alu instid0(VALU_DEP_2) | instskip(NEXT) | instid1(VALU_DEP_2)
	v_fma_mixhi_f16 v2, v3, s2, 0
	v_fma_mixhi_f16 v4, v5, s2, 0
	ds_store_2addr_b32 v8, v2, v4 offset0:128 offset1:160
	s_waitcnt lgkmcnt(0)
	s_barrier
	buffer_gl0_inv
	s_cbranch_scc1 .LBB46_4
; %bb.3:
	s_load_b32 s2, s[0:1], 0xd0
	s_mov_b32 s5, 0
	s_waitcnt lgkmcnt(0)
	s_mul_i32 s2, s2, s33
	s_delay_alu instid0(SALU_CYCLE_1) | instskip(NEXT) | instid1(SALU_CYCLE_1)
	s_add_i32 s4, s2, s13
	s_lshl_b64 s[4:5], s[4:5], 2
	s_delay_alu instid0(SALU_CYCLE_1)
	s_add_u32 s4, s26, s4
	s_addc_u32 s5, s27, s5
	s_load_b32 s34, s[4:5], 0x0
.LBB46_4:
	v_mbcnt_lo_u32_b32 v23, -1, 0
	s_lshl_b32 s9, s14, 5
	s_waitcnt lgkmcnt(0)
	s_cmp_lt_i32 s9, s34
	s_cbranch_scc1 .LBB46_6
; %bb.5:
	v_mbcnt_lo_u32_b32 v4, -1, 0
	v_mov_b32_e32 v25, 32
	s_mov_b32 s2, 0
	s_mov_b32 s4, 0xfeffffff
	s_delay_alu instid0(VALU_DEP_2)
	v_xor_b32_e32 v30, 16, v4
	v_xor_b32_e32 v29, 8, v4
	;; [unrolled: 1-line block ×5, first 2 shown]
	s_branch .LBB46_7
.LBB46_6:
	s_mov_b32 s2, -1
                                        ; implicit-def: $sgpr4
                                        ; implicit-def: $vgpr4
                                        ; implicit-def: $vgpr25
                                        ; implicit-def: $vgpr30
                                        ; implicit-def: $vgpr29
                                        ; implicit-def: $vgpr28
                                        ; implicit-def: $vgpr27
                                        ; implicit-def: $vgpr26
.LBB46_7:
	s_delay_alu instid0(SALU_CYCLE_1) | instskip(SKIP_2) | instid1(VALU_DEP_3)
	v_cndmask_b32_e64 v2, 0, 1, s2
	v_dual_mov_b32 v3, s4 :: v_dual_mov_b32 v48, s2
	v_dual_mov_b32 v24, s2 :: v_dual_mov_b32 v21, s2
	v_cmp_ne_u32_e32 vcc_lo, 1, v2
	v_mov_b32_e32 v2, s4
	v_mov_b32_e32 v32, s2
	s_cbranch_vccnz .LBB46_11
; %bb.8:
	s_clause 0x1
	s_load_b128 s[4:7], s[0:1], 0x98
	s_load_b64 s[16:17], s[0:1], 0x8c
	s_sub_i32 s2, 0, s35
	s_abs_i32 s8, s12
	s_mul_i32 s2, s2, s38
	s_ashr_i32 s27, s15, 31
	s_mul_hi_u32 s2, s38, s2
	s_ashr_i32 s26, s12, 31
	s_add_i32 s38, s38, s2
	s_ashr_i32 s2, s3, 1
	s_mul_hi_u32 s3, s8, s38
	s_ashr_i32 s38, s33, 31
	s_load_b64 s[22:23], s[0:1], 0xa8
	s_mul_i32 s39, s3, s35
	v_lshrrev_b32_e32 v2, 3, v0
	v_and_b32_e32 v3, 28, v22
	v_mov_b32_e32 v21, 0
	v_lshl_add_u32 v37, v6, 8, 0x1200
	v_lshl_add_u32 v39, v6, 7, 0x1400
	;; [unrolled: 1-line block ×3, first 2 shown]
	s_waitcnt lgkmcnt(0)
	s_ashr_i32 s13, s6, 2
	s_mul_i32 s5, s33, s5
	s_mul_hi_u32 s6, s33, s4
	s_ashr_i32 s15, s16, 2
	s_mul_i32 s16, s38, s4
	s_add_i32 s5, s6, s5
	s_mul_i32 s4, s33, s4
	s_add_i32 s5, s5, s16
	s_add_u32 s4, s18, s4
	s_addc_u32 s5, s19, s5
	s_sub_i32 s8, s8, s39
	s_xor_b32 s6, s26, s27
	s_add_i32 s16, s3, 1
	s_sub_i32 s18, s8, s35
	s_cmp_ge_u32 s8, s35
	s_mul_i32 s38, s38, s22
	s_cselect_b32 s3, s16, s3
	s_cselect_b32 s8, s18, s8
	s_add_i32 s16, s3, 1
	s_cmp_ge_u32 s8, s35
	s_mul_i32 s8, s33, s23
	s_cselect_b32 s3, s16, s3
	s_mul_hi_u32 s16, s33, s22
	s_xor_b32 s3, s3, s6
	v_mul_lo_u32 v8, s15, v2
	s_sub_i32 s3, s3, s6
	v_mul_lo_u32 v14, s13, v2
	s_mul_i32 s6, s3, s17
	s_mul_i32 s17, s33, s22
	s_ashr_i32 s19, s6, 31
	s_add_u32 s18, s4, s6
	s_addc_u32 s19, s5, s19
	s_add_i32 s4, s16, s8
	s_mul_i32 s3, s3, s7
	s_add_i32 s4, s4, s38
	s_add_u32 s5, s20, s17
	s_addc_u32 s4, s21, s4
	s_ashr_i32 s6, s3, 31
	s_add_u32 s20, s5, s3
	s_addc_u32 s21, s4, s6
	s_lshl_b32 s3, s15, 3
	v_lshlrev_b32_e32 v4, 2, v3
	v_dual_mov_b32 v25, 32 :: v_dual_add_nc_u32 v10, s3, v8
	v_ashrrev_i32_e32 v9, 31, v8
	v_ashrrev_i32_e32 v15, 31, v14
	s_delay_alu instid0(VALU_DEP_4) | instskip(NEXT) | instid1(VALU_DEP_4)
	v_mad_u32_u24 v31, 0x90, v2, v4
	v_add_nc_u32_e32 v12, s3, v10
	v_lshl_or_b32 v38, v2, 7, v4
	v_dual_mov_b32 v2, 0xfeffffff :: v_dual_lshlrev_b32 v43, 2, v3
	s_delay_alu instid0(VALU_DEP_3)
	v_dual_mov_b32 v3, 0xfeffffff :: v_dual_add_nc_u32 v16, s3, v12
	s_lshl_b32 s3, s13, 3
	v_ashrrev_i32_e32 v11, 31, v10
	v_add_nc_u32_e32 v18, s3, v14
	v_ashrrev_i32_e32 v13, 31, v12
	v_ashrrev_i32_e32 v17, 31, v16
	v_mad_u64_u32 v[4:5], null, v7, s2, v[0:1]
	s_delay_alu instid0(VALU_DEP_4)
	v_add_nc_u32_e32 v45, s3, v18
	v_ashrrev_i32_e32 v19, 31, v18
	v_lshlrev_b64 v[5:6], 2, v[8:9]
	v_lshlrev_b64 v[7:8], 2, v[10:11]
	;; [unrolled: 1-line block ×3, first 2 shown]
	v_add_nc_u32_e32 v47, s3, v45
	v_lshlrev_b64 v[11:12], 2, v[16:17]
	v_lshlrev_b64 v[13:14], 2, v[14:15]
	;; [unrolled: 1-line block ×3, first 2 shown]
	v_dual_mov_b32 v24, 0 :: v_dual_add_nc_u32 v33, 0x480, v31
	v_ashrrev_i32_e32 v48, 31, v47
	v_add_nc_u32_e32 v34, 0x900, v31
	v_dual_mov_b32 v32, 0 :: v_dual_add_nc_u32 v35, 0xd80, v31
	v_mul_u32_u24_e32 v36, 0x90, v0
	s_delay_alu instid0(VALU_DEP_4)
	v_lshlrev_b64 v[19:20], 2, v[47:48]
	v_mov_b32_e32 v48, 0
	v_ashrrev_i32_e32 v46, 31, v45
	v_add_nc_u32_e32 v40, 0x400, v38
	v_add_nc_u32_e32 v41, 0x800, v38
	;; [unrolled: 1-line block ×3, first 2 shown]
	v_xor_b32_e32 v30, 16, v23
	v_lshlrev_b64 v[17:18], 2, v[45:46]
	v_xor_b32_e32 v29, 8, v23
	v_xor_b32_e32 v28, 4, v23
	;; [unrolled: 1-line block ×4, first 2 shown]
	v_add_nc_u32_e32 v44, v39, v22
	v_add_nc_u32_e32 v45, 0x400, v22
	;; [unrolled: 1-line block ×4, first 2 shown]
	s_add_u32 s16, s0, 0xd0
	s_addc_u32 s17, s1, 0
.LBB46_9:                               ; =>This Inner Loop Header: Depth=1
	s_mul_hi_i32 s3, s9, s15
	s_mul_i32 s2, s9, s15
	v_mov_b32_e32 v67, 0
	s_lshl_b64 s[2:3], s[2:3], 2
	v_dual_mov_b32 v68, 0 :: v_dual_add_nc_u32 v65, s9, v4
	s_add_u32 s4, s18, s2
	s_addc_u32 s5, s19, s3
	v_add_co_u32 v49, vcc_lo, s4, v7
	v_add_co_u32 v50, s2, s4, v9
	v_add_co_u32 v51, s3, s4, v11
	;; [unrolled: 1-line block ×3, first 2 shown]
	s_delay_alu instid0(VALU_DEP_1)
	v_add_co_ci_u32_e64 v54, s4, s5, v6, s4
	v_add_co_ci_u32_e32 v55, vcc_lo, s5, v8, vcc_lo
	v_add_co_ci_u32_e64 v56, vcc_lo, s5, v10, s2
	v_add_co_ci_u32_e64 v59, vcc_lo, s5, v12, s3
	v_add_co_u32 v53, vcc_lo, v49, v43
	v_add_co_u32 v49, s4, v52, v43
	v_add_co_u32 v57, s2, v50, v43
	v_add_co_ci_u32_e64 v50, s4, 0, v54, s4
	v_add_co_u32 v61, s3, v51, v43
	v_add_co_ci_u32_e32 v54, vcc_lo, 0, v55, vcc_lo
	v_add_co_ci_u32_e64 v58, vcc_lo, 0, v56, s2
	v_add_co_ci_u32_e64 v62, vcc_lo, 0, v59, s3
	s_clause 0x3
	global_load_b128 v[49:52], v[49:50], off
	global_load_b128 v[53:56], v[53:54], off
	;; [unrolled: 1-line block ×4, first 2 shown]
	v_ashrrev_i32_e32 v66, 31, v65
	s_mul_hi_i32 s3, s9, s13
	s_mul_i32 s2, s9, s13
	s_waitcnt vmcnt(3)
	ds_store_b128 v31, v[49:52]
	s_waitcnt vmcnt(2)
	ds_store_b128 v33, v[53:56]
	;; [unrolled: 2-line block ×4, first 2 shown]
	s_waitcnt lgkmcnt(0)
	s_barrier
	buffer_gl0_inv
	ds_load_b128 v[49:52], v36
	ds_load_b128 v[53:56], v37
	ds_load_b128 v[57:60], v37 offset:128
	s_waitcnt lgkmcnt(1)
	;;#ASMSTART
	v_dot2_f32_f16 v67, v49, v53, v67
	;;#ASMEND
	;;#ASMSTART
	v_dot2_f32_f16 v67, v50, v54, v67
	;;#ASMEND
	;;#ASMSTART
	v_dot2_f32_f16 v67, v51, v55, v67
	;;#ASMEND
	;;#ASMSTART
	v_dot2_f32_f16 v67, v52, v56, v67
	;;#ASMEND
	s_waitcnt lgkmcnt(0)
	;;#ASMSTART
	v_dot2_f32_f16 v68, v49, v57, v68
	;;#ASMEND
	;;#ASMSTART
	v_dot2_f32_f16 v68, v50, v58, v68
	;;#ASMEND
	;;#ASMSTART
	v_dot2_f32_f16 v68, v51, v59, v68
	;;#ASMEND
	;;#ASMSTART
	v_dot2_f32_f16 v68, v52, v60, v68
	;;#ASMEND
	ds_load_b128 v[49:52], v36 offset:16
	ds_load_b128 v[53:56], v37 offset:16
	ds_load_b128 v[57:60], v37 offset:144
	s_waitcnt lgkmcnt(1)
	;;#ASMSTART
	v_dot2_f32_f16 v67, v49, v53, v67
	;;#ASMEND
	;;#ASMSTART
	v_dot2_f32_f16 v67, v50, v54, v67
	;;#ASMEND
	;;#ASMSTART
	v_dot2_f32_f16 v67, v51, v55, v67
	;;#ASMEND
	;;#ASMSTART
	v_dot2_f32_f16 v67, v52, v56, v67
	;;#ASMEND
	s_waitcnt lgkmcnt(0)
	;;#ASMSTART
	v_dot2_f32_f16 v68, v49, v57, v68
	;;#ASMEND
	;;#ASMSTART
	v_dot2_f32_f16 v68, v50, v58, v68
	;;#ASMEND
	;;#ASMSTART
	v_dot2_f32_f16 v68, v51, v59, v68
	;;#ASMEND
	;;#ASMSTART
	v_dot2_f32_f16 v68, v52, v60, v68
	;;#ASMEND
	ds_load_b128 v[49:52], v36 offset:32
	ds_load_b128 v[53:56], v37 offset:32
	;; [unrolled: 29-line block ×7, first 2 shown]
	ds_load_b128 v[57:60], v37 offset:240
	v_lshlrev_b64 v[65:66], 1, v[65:66]
	s_waitcnt lgkmcnt(1)
	;;#ASMSTART
	v_dot2_f32_f16 v67, v49, v53, v67
	;;#ASMEND
	s_delay_alu instid0(VALU_DEP_1) | instskip(NEXT) | instid1(VALU_DEP_2)
	v_add_co_u32 v65, vcc_lo, s36, v65
	v_add_co_ci_u32_e32 v66, vcc_lo, s37, v66, vcc_lo
	;;#ASMSTART
	v_dot2_f32_f16 v67, v50, v54, v67
	;;#ASMEND
	;;#ASMSTART
	v_dot2_f32_f16 v67, v51, v55, v67
	;;#ASMEND
	;; [unrolled: 3-line block ×3, first 2 shown]
	s_waitcnt lgkmcnt(0)
	;;#ASMSTART
	v_dot2_f32_f16 v68, v49, v57, v68
	;;#ASMEND
	;;#ASMSTART
	v_dot2_f32_f16 v68, v50, v58, v68
	;;#ASMEND
	;; [unrolled: 3-line block ×4, first 2 shown]
	flat_load_u16 v65, v[65:66]
	s_lshl_b64 s[2:3], s[2:3], 2
	s_waitcnt vmcnt(0) lgkmcnt(0)
	s_add_u32 s4, s20, s2
	s_addc_u32 s5, s21, s3
	v_add_co_u32 v49, vcc_lo, s4, v15
	v_add_co_u32 v50, s2, s4, v17
	v_add_co_u32 v51, s3, s4, v19
	;; [unrolled: 1-line block ×3, first 2 shown]
	s_delay_alu instid0(VALU_DEP_1)
	v_add_co_ci_u32_e64 v54, s4, s5, v14, s4
	v_add_co_ci_u32_e32 v55, vcc_lo, s5, v16, vcc_lo
	v_add_co_ci_u32_e64 v56, vcc_lo, s5, v18, s2
	v_add_co_ci_u32_e64 v59, vcc_lo, s5, v20, s3
	v_add_co_u32 v53, vcc_lo, v49, v43
	v_add_co_u32 v49, s4, v52, v43
	v_add_co_u32 v57, s2, v50, v43
	v_add_co_ci_u32_e64 v50, s4, 0, v54, s4
	v_add_co_u32 v61, s3, v51, v43
	v_add_co_ci_u32_e32 v54, vcc_lo, 0, v55, vcc_lo
	v_add_co_ci_u32_e64 v58, vcc_lo, 0, v56, s2
	v_add_co_ci_u32_e64 v62, vcc_lo, 0, v59, s3
	s_barrier
	buffer_gl0_inv
	s_clause 0x3
	global_load_b128 v[49:52], v[49:50], off
	global_load_b128 v[53:56], v[53:54], off
	;; [unrolled: 1-line block ×4, first 2 shown]
	v_cmp_gt_i32_e64 s3, 32, v28
	v_cmp_gt_i32_e64 s4, 32, v27
	v_mov_b32_e32 v66, v3
	v_cmp_gt_i32_e64 s2, 32, v29
	v_mov_b32_e32 v105, v48
	v_cndmask_b32_e64 v48, v23, v28, s3
	v_cndmask_b32_e64 v70, v23, v27, s4
	v_max_f32_e32 v72, v66, v66
	v_cmp_gt_i32_e32 vcc_lo, 32, v30
	v_mov_b32_e32 v69, v2
	v_cmp_gt_i32_e64 s5, 32, v26
	v_cndmask_b32_e64 v3, v23, v29, s2
	s_delay_alu instid0(VALU_DEP_3) | instskip(NEXT) | instid1(VALU_DEP_3)
	v_dual_cndmask_b32 v2, v23, v30 :: v_dual_max_f32 v73, v69, v69
	v_cndmask_b32_e64 v71, v23, v26, s5
	s_delay_alu instid0(VALU_DEP_2) | instskip(SKIP_2) | instid1(VALU_DEP_2)
	v_lshlrev_b32_e32 v2, 2, v2
	v_cvt_f32_f16_e32 v65, v65
	v_lshlrev_b32_e32 v48, 2, v48
	v_dual_add_f32 v67, v67, v65 :: v_dual_lshlrev_b32 v70, 2, v70
	v_add_f32_e32 v65, v68, v65
	v_lshlrev_b32_e32 v3, 2, v3
	s_delay_alu instid0(VALU_DEP_3) | instskip(NEXT) | instid1(VALU_DEP_3)
	v_add_f32_e32 v68, 0x40051340, v67
	v_dual_add_f32 v74, 0x40051340, v65 :: v_dual_lshlrev_b32 v71, 2, v71
	s_delay_alu instid0(VALU_DEP_2) | instskip(NEXT) | instid1(VALU_DEP_2)
	v_max_f32_e32 v68, v73, v68
	v_max_f32_e32 v72, v72, v74
	ds_bpermute_b32 v73, v2, v68
	ds_bpermute_b32 v2, v2, v72
	s_waitcnt lgkmcnt(0)
	v_dual_max_f32 v73, v73, v73 :: v_dual_max_f32 v2, v2, v2
	s_delay_alu instid0(VALU_DEP_1) | instskip(NEXT) | instid1(VALU_DEP_2)
	v_max_f32_e32 v68, v68, v73
	v_max_f32_e32 v2, v72, v2
	ds_bpermute_b32 v72, v3, v68
	ds_bpermute_b32 v3, v3, v2
	s_waitcnt lgkmcnt(0)
	v_dual_max_f32 v72, v72, v72 :: v_dual_max_f32 v3, v3, v3
	s_delay_alu instid0(VALU_DEP_1) | instskip(NEXT) | instid1(VALU_DEP_2)
	v_max_f32_e32 v68, v68, v72
	v_max_f32_e32 v2, v2, v3
	ds_bpermute_b32 v3, v48, v68
	ds_bpermute_b32 v48, v48, v2
	s_waitcnt lgkmcnt(0)
	v_dual_max_f32 v3, v3, v3 :: v_dual_max_f32 v48, v48, v48
	s_delay_alu instid0(VALU_DEP_1)
	v_dual_max_f32 v3, v68, v3 :: v_dual_max_f32 v2, v2, v48
	ds_bpermute_b32 v48, v70, v3
	ds_bpermute_b32 v68, v70, v2
	s_waitcnt lgkmcnt(1)
	v_max_f32_e32 v48, v48, v48
	s_waitcnt lgkmcnt(0)
	v_max_f32_e32 v68, v68, v68
	s_delay_alu instid0(VALU_DEP_2) | instskip(NEXT) | instid1(VALU_DEP_2)
	v_max_f32_e32 v3, v3, v48
	v_max_f32_e32 v48, v2, v68
	ds_bpermute_b32 v2, v71, v3
	ds_bpermute_b32 v68, v71, v48
	s_waitcnt lgkmcnt(1)
	v_max_f32_e32 v2, v2, v2
	s_waitcnt lgkmcnt(0)
	v_max_f32_e32 v68, v68, v68
	s_delay_alu instid0(VALU_DEP_1) | instskip(NEXT) | instid1(VALU_DEP_1)
	v_dual_max_f32 v2, v3, v2 :: v_dual_max_f32 v3, v48, v68
	v_sub_f32_e32 v67, v67, v2
	s_delay_alu instid0(VALU_DEP_2) | instskip(SKIP_2) | instid1(VALU_DEP_3)
	v_sub_f32_e32 v65, v65, v3
	v_sub_f32_e32 v48, v69, v2
	;; [unrolled: 1-line block ×3, first 2 shown]
	v_dual_mul_f32 v70, 0x3fb8aa3b, v67 :: v_dual_mul_f32 v69, 0x3fb8aa3b, v65
	s_delay_alu instid0(VALU_DEP_3) | instskip(SKIP_2) | instid1(VALU_DEP_4)
	v_mul_f32_e32 v68, 0x3fb8aa3b, v48
	v_cmp_ngt_f32_e32 vcc_lo, 0xc2ce8ed0, v65
	v_cmp_ngt_f32_e64 s2, 0xc2ce8ed0, v67
	v_fma_f32 v76, 0x3fb8aa3b, v67, -v70
	v_fma_f32 v74, 0x3fb8aa3b, v65, -v69
	v_rndne_f32_e32 v75, v69
	v_rndne_f32_e32 v77, v70
	v_cmp_nlt_f32_e64 s6, 0x42b17218, v67
	v_cmp_nlt_f32_e64 s8, 0x42b17218, v65
	v_fma_f32 v72, 0x3fb8aa3b, v48, -v68
	v_rndne_f32_e32 v73, v68
	v_dual_fmac_f32 v74, 0x32a5705f, v65 :: v_dual_sub_f32 v65, v69, v75
	v_dual_fmac_f32 v76, 0x32a5705f, v67 :: v_dual_sub_f32 v67, v70, v77
	v_mul_f32_e32 v71, 0x3fb8aa3b, v66
	v_cmp_ngt_f32_e64 s4, 0xc2ce8ed0, v48
	v_cmp_nlt_f32_e64 s5, 0x42b17218, v48
	v_fmac_f32_e32 v72, 0x32a5705f, v48
	v_dual_sub_f32 v48, v68, v73 :: v_dual_add_f32 v65, v65, v74
	v_add_f32_e32 v67, v67, v76
	v_fma_f32 v78, 0x3fb8aa3b, v66, -v71
	v_rndne_f32_e32 v79, v71
	s_delay_alu instid0(VALU_DEP_4)
	v_add_f32_e32 v48, v48, v72
	v_exp_f32_e32 v65, v65
	v_exp_f32_e32 v67, v67
	v_cmp_ngt_f32_e64 s3, 0xc2ce8ed0, v66
	v_cmp_nlt_f32_e64 s7, 0x42b17218, v66
	v_fmac_f32_e32 v78, 0x32a5705f, v66
	v_sub_f32_e32 v66, v71, v79
	v_cvt_i32_f32_e32 v69, v75
	v_cvt_i32_f32_e32 v70, v77
	v_exp_f32_e32 v48, v48
	v_cvt_i32_f32_e32 v68, v73
	v_add_f32_e32 v66, v66, v78
	v_ldexp_f32 v65, v65, v69
	v_ldexp_f32 v67, v67, v70
	v_cvt_i32_f32_e32 v71, v79
	s_delay_alu instid0(VALU_DEP_4) | instskip(NEXT) | instid1(VALU_DEP_3)
	v_exp_f32_e32 v66, v66
	v_cndmask_b32_e32 v65, 0, v65, vcc_lo
	s_delay_alu instid0(VALU_DEP_3) | instskip(NEXT) | instid1(TRANS32_DEP_2)
	v_cndmask_b32_e64 v67, 0, v67, s2
	v_ldexp_f32 v48, v48, v68
	s_delay_alu instid0(VALU_DEP_3) | instskip(NEXT) | instid1(VALU_DEP_3)
	v_cndmask_b32_e64 v106, 0x7f800000, v65, s8
	v_cndmask_b32_e64 v107, 0x7f800000, v67, s6
	s_delay_alu instid0(VALU_DEP_3) | instskip(NEXT) | instid1(TRANS32_DEP_1)
	v_cndmask_b32_e64 v48, 0, v48, s4
	v_ldexp_f32 v66, v66, v71
	s_delay_alu instid0(VALU_DEP_3) | instskip(NEXT) | instid1(VALU_DEP_3)
	v_cvt_f16_f32_e32 v65, v107
	v_cndmask_b32_e64 v108, 0x7f800000, v48, s5
	v_cvt_f16_f32_e32 v48, v106
	s_delay_alu instid0(VALU_DEP_4) | instskip(NEXT) | instid1(VALU_DEP_3)
	v_cndmask_b32_e64 v66, 0, v66, s3
	v_cvt_f16_f32_e32 v72, v108
	s_delay_alu instid0(VALU_DEP_3) | instskip(NEXT) | instid1(VALU_DEP_3)
	v_pack_b32_f16 v48, v65, v48
	v_cndmask_b32_e64 v109, 0x7f800000, v66, s7
	ds_store_b32 v44, v48
	s_waitcnt vmcnt(3)
	ds_store_b128 v38, v[49:52]
	s_waitcnt vmcnt(2)
	ds_store_b128 v40, v[53:56]
	;; [unrolled: 2-line block ×4, first 2 shown]
	s_waitcnt lgkmcnt(0)
	s_barrier
	buffer_gl0_inv
	ds_load_2addr_b32 v[75:76], v22 offset1:32
	ds_load_b128 v[48:51], v39
	ds_load_b128 v[52:55], v39 offset:16
	ds_load_b128 v[56:59], v39 offset:32
	;; [unrolled: 1-line block ×3, first 2 shown]
	ds_load_2addr_b32 v[77:78], v22 offset0:64 offset1:96
	ds_load_2addr_b32 v[79:80], v22 offset0:128 offset1:160
	;; [unrolled: 1-line block ×3, first 2 shown]
	ds_load_2addr_b32 v[83:84], v45 offset1:32
	ds_load_2addr_b32 v[85:86], v45 offset0:64 offset1:96
	ds_load_2addr_b32 v[87:88], v45 offset0:128 offset1:160
	;; [unrolled: 1-line block ×3, first 2 shown]
	ds_load_2addr_b32 v[91:92], v46 offset1:32
	ds_load_2addr_b32 v[93:94], v46 offset0:64 offset1:96
	ds_load_2addr_b32 v[95:96], v46 offset0:128 offset1:160
	ds_load_b128 v[64:67], v39 offset:64
	ds_load_b128 v[68:71], v39 offset:80
	ds_load_2addr_b32 v[97:98], v46 offset0:192 offset1:224
	ds_load_2addr_b32 v[99:100], v47 offset1:32
	ds_load_2addr_b32 v[101:102], v47 offset0:64 offset1:96
	ds_load_2addr_b32 v[103:104], v47 offset0:128 offset1:160
	v_cvt_f16_f32_e32 v73, v109
	s_waitcnt lgkmcnt(19)
	v_pk_mul_f16 v74, v75, v48 op_sel_hi:[1,0]
	v_pk_mul_f16 v48, v75, v48 op_sel:[0,1]
	v_fma_f32 v32, v32, v108, v107
	s_delay_alu instid0(VALU_DEP_3) | instskip(NEXT) | instid1(VALU_DEP_3)
	v_pk_fma_f16 v24, v72, v24, v74 op_sel_hi:[0,1,1]
	v_pk_fma_f16 v21, v21, v73, v48 op_sel_hi:[1,0,1]
	ds_load_b128 v[72:75], v39 offset:96
	v_pk_fma_f16 v24, v76, v49, v24 op_sel_hi:[1,0,1]
	v_pk_fma_f16 v21, v76, v49, v21 op_sel:[0,1,0]
	s_waitcnt lgkmcnt(16)
	s_delay_alu instid0(VALU_DEP_2) | instskip(NEXT) | instid1(VALU_DEP_2)
	v_pk_fma_f16 v24, v77, v50, v24 op_sel_hi:[1,0,1]
	v_pk_fma_f16 v21, v77, v50, v21 op_sel:[0,1,0]
	s_delay_alu instid0(VALU_DEP_2) | instskip(NEXT) | instid1(VALU_DEP_2)
	v_pk_fma_f16 v24, v78, v51, v24 op_sel_hi:[1,0,1]
	v_pk_fma_f16 v21, v78, v51, v21 op_sel:[0,1,0]
	ds_load_b128 v[48:51], v39 offset:112
	ds_load_2addr_b32 v[76:77], v47 offset0:192 offset1:224
	s_waitcnt lgkmcnt(0)
	s_barrier
	v_pk_fma_f16 v24, v79, v52, v24 op_sel_hi:[1,0,1]
	v_pk_fma_f16 v21, v79, v52, v21 op_sel:[0,1,0]
	buffer_gl0_inv
	s_load_b32 s2, s[16:17], 0x4
	v_pk_fma_f16 v24, v80, v53, v24 op_sel_hi:[1,0,1]
	v_pk_fma_f16 v21, v80, v53, v21 op_sel:[0,1,0]
	s_delay_alu instid0(VALU_DEP_2) | instskip(NEXT) | instid1(VALU_DEP_2)
	v_pk_fma_f16 v24, v81, v54, v24 op_sel_hi:[1,0,1]
	v_pk_fma_f16 v21, v81, v54, v21 op_sel:[0,1,0]
	s_delay_alu instid0(VALU_DEP_2) | instskip(NEXT) | instid1(VALU_DEP_2)
	;; [unrolled: 3-line block ×3, first 2 shown]
	v_pk_fma_f16 v24, v83, v56, v24 op_sel_hi:[1,0,1]
	v_pk_fma_f16 v21, v83, v56, v21 op_sel:[0,1,0]
	s_waitcnt lgkmcnt(0)
	s_lshl_b32 s2, s2, 5
	s_delay_alu instid0(VALU_DEP_2) | instskip(NEXT) | instid1(VALU_DEP_2)
	v_pk_fma_f16 v24, v84, v57, v24 op_sel_hi:[1,0,1]
	v_pk_fma_f16 v21, v84, v57, v21 op_sel:[0,1,0]
	s_add_i32 s9, s2, s9
	s_delay_alu instid0(SALU_CYCLE_1) | instskip(NEXT) | instid1(VALU_DEP_2)
	s_cmp_ge_i32 s9, s34
	v_pk_fma_f16 v24, v85, v58, v24 op_sel_hi:[1,0,1]
	s_delay_alu instid0(VALU_DEP_2) | instskip(NEXT) | instid1(VALU_DEP_2)
	v_pk_fma_f16 v21, v85, v58, v21 op_sel:[0,1,0]
	v_pk_fma_f16 v24, v86, v59, v24 op_sel_hi:[1,0,1]
	s_delay_alu instid0(VALU_DEP_2) | instskip(NEXT) | instid1(VALU_DEP_2)
	v_pk_fma_f16 v21, v86, v59, v21 op_sel:[0,1,0]
	;; [unrolled: 3-line block ×18, first 2 shown]
	v_pk_fma_f16 v24, v103, v48, v24 op_sel_hi:[1,0,1]
	s_delay_alu instid0(VALU_DEP_2) | instskip(SKIP_1) | instid1(VALU_DEP_3)
	v_pk_fma_f16 v21, v103, v48, v21 op_sel:[0,1,0]
	v_mov_b32_e32 v48, v106
	v_pk_fma_f16 v24, v104, v49, v24 op_sel_hi:[1,0,1]
	s_delay_alu instid0(VALU_DEP_3) | instskip(NEXT) | instid1(VALU_DEP_3)
	v_pk_fma_f16 v21, v104, v49, v21 op_sel:[0,1,0]
	v_fmac_f32_e32 v48, v105, v109
	s_delay_alu instid0(VALU_DEP_3) | instskip(NEXT) | instid1(VALU_DEP_3)
	v_pk_fma_f16 v24, v76, v50, v24 op_sel_hi:[1,0,1]
	v_pk_fma_f16 v21, v76, v50, v21 op_sel:[0,1,0]
	s_delay_alu instid0(VALU_DEP_2) | instskip(NEXT) | instid1(VALU_DEP_2)
	v_pk_fma_f16 v24, v77, v51, v24 op_sel_hi:[1,0,1]
	v_pk_fma_f16 v21, v77, v51, v21 op_sel:[0,1,0]
	s_cbranch_scc0 .LBB46_9
; %bb.10:
	v_mov_b32_e32 v4, v23
.LBB46_11:
	v_cmp_lt_i32_e32 vcc_lo, v30, v25
	v_lshlrev_b32_e32 v10, 1, v0
	s_cmp_lg_u64 s[24:25], 0
	s_cselect_b32 s2, -1, 0
	v_cndmask_b32_e32 v5, v4, v30, vcc_lo
	v_cmp_lt_i32_e32 vcc_lo, v29, v25
	s_cmp_eq_u32 s14, 0
	s_cselect_b32 s3, -1, 0
	s_delay_alu instid0(VALU_DEP_2)
	v_lshlrev_b32_e32 v5, 2, v5
	s_and_b32 s2, s3, s2
	ds_bpermute_b32 v6, v5, v32
	s_waitcnt lgkmcnt(0)
	v_add_f32_e32 v6, v32, v6
	v_cndmask_b32_e32 v7, v4, v29, vcc_lo
	ds_bpermute_b32 v5, v5, v48
	v_cmp_lt_i32_e32 vcc_lo, v28, v25
	v_lshlrev_b32_e32 v7, 2, v7
	v_cndmask_b32_e32 v9, v4, v28, vcc_lo
	v_cmp_lt_i32_e32 vcc_lo, v27, v25
	ds_bpermute_b32 v8, v7, v6
	s_waitcnt lgkmcnt(0)
	v_dual_add_f32 v6, v6, v8 :: v_dual_lshlrev_b32 v9, 2, v9
	v_add_f32_e32 v5, v48, v5
	ds_bpermute_b32 v7, v7, v5
	s_waitcnt lgkmcnt(0)
	v_add_f32_e32 v5, v5, v7
	ds_bpermute_b32 v7, v9, v6
	ds_bpermute_b32 v8, v9, v5
	v_cndmask_b32_e32 v9, v4, v27, vcc_lo
	v_cmp_lt_i32_e32 vcc_lo, v26, v25
	s_delay_alu instid0(VALU_DEP_2) | instskip(SKIP_1) | instid1(VALU_DEP_1)
	v_dual_cndmask_b32 v4, v4, v26 :: v_dual_lshlrev_b32 v9, 2, v9
	s_and_b32 vcc_lo, exec_lo, s2
	v_lshlrev_b32_e32 v4, 2, v4
	s_waitcnt lgkmcnt(0)
	v_dual_add_f32 v6, v6, v7 :: v_dual_add_f32 v5, v5, v8
	ds_bpermute_b32 v7, v9, v6
	ds_bpermute_b32 v8, v9, v5
	s_waitcnt lgkmcnt(0)
	v_dual_add_f32 v6, v6, v7 :: v_dual_add_f32 v5, v5, v8
	ds_bpermute_b32 v7, v4, v6
	ds_bpermute_b32 v8, v4, v5
	s_waitcnt lgkmcnt(0)
	v_dual_add_f32 v4, v6, v7 :: v_dual_add_f32 v5, v5, v8
	s_cbranch_vccz .LBB46_14
; %bb.12:
	s_ashr_i32 s13, s12, 31
	v_dual_mov_b32 v6, 0 :: v_dual_max_f32 v11, v3, v3
	s_lshl_b64 s[2:3], s[12:13], 2
	s_delay_alu instid0(SALU_CYCLE_1)
	s_add_u32 s2, s24, s2
	s_addc_u32 s3, s25, s3
	global_load_b64 v[6:7], v6, s[2:3]
	s_waitcnt vmcnt(0)
	v_dual_max_f32 v9, v6, v6 :: v_dual_max_f32 v12, v7, v7
	v_max_f32_e32 v8, v2, v2
	s_delay_alu instid0(VALU_DEP_1) | instskip(NEXT) | instid1(VALU_DEP_1)
	v_dual_max_f32 v8, v8, v9 :: v_dual_max_f32 v9, v11, v12
	v_dual_sub_f32 v2, v2, v8 :: v_dual_sub_f32 v3, v3, v9
	v_sub_f32_e32 v7, v7, v9
	s_delay_alu instid0(VALU_DEP_2) | instskip(NEXT) | instid1(VALU_DEP_3)
	v_dual_mul_f32 v11, 0x3fb8aa3b, v2 :: v_dual_sub_f32 v6, v6, v8
	v_mul_f32_e32 v13, 0x3fb8aa3b, v3
	v_cmp_ngt_f32_e32 vcc_lo, 0xc2ce8ed0, v2
	s_delay_alu instid0(VALU_DEP_3) | instskip(NEXT) | instid1(VALU_DEP_4)
	v_fma_f32 v15, 0x3fb8aa3b, v2, -v11
	v_mul_f32_e32 v12, 0x3fb8aa3b, v6
	v_rndne_f32_e32 v16, v11
	v_mul_f32_e32 v14, 0x3fb8aa3b, v7
	v_fma_f32 v19, 0x3fb8aa3b, v3, -v13
	v_rndne_f32_e32 v20, v13
	v_fma_f32 v17, 0x3fb8aa3b, v6, -v12
	v_sub_f32_e32 v11, v11, v16
	v_rndne_f32_e32 v18, v12
	v_fma_f32 v22, 0x3fb8aa3b, v7, -v14
	v_rndne_f32_e32 v23, v14
	v_fmac_f32_e32 v15, 0x32a5705f, v2
	v_fmac_f32_e32 v17, 0x32a5705f, v6
	v_dual_sub_f32 v12, v12, v18 :: v_dual_fmac_f32 v19, 0x32a5705f, v3
	v_fmac_f32_e32 v22, 0x32a5705f, v7
	v_sub_f32_e32 v14, v14, v23
	v_add_f32_e32 v11, v11, v15
	s_delay_alu instid0(VALU_DEP_4) | instskip(SKIP_1) | instid1(VALU_DEP_4)
	v_dual_sub_f32 v13, v13, v20 :: v_dual_add_f32 v12, v12, v17
	v_cvt_i32_f32_e32 v15, v16
	v_add_f32_e32 v14, v14, v22
	s_delay_alu instid0(VALU_DEP_4)
	v_exp_f32_e32 v11, v11
	v_cvt_i32_f32_e32 v16, v18
	v_exp_f32_e32 v12, v12
	v_cvt_i32_f32_e32 v18, v23
	;; [unrolled: 2-line block ×3, first 2 shown]
	s_delay_alu instid0(TRANS32_DEP_3)
	v_ldexp_f32 v11, v11, v15
	s_waitcnt_depctr 0xfff
	v_ldexp_f32 v12, v12, v16
	v_ldexp_f32 v14, v14, v18
	v_cndmask_b32_e32 v11, 0, v11, vcc_lo
	v_cmp_ngt_f32_e32 vcc_lo, 0xc2ce8ed0, v6
	s_delay_alu instid0(VALU_DEP_4) | instskip(NEXT) | instid1(VALU_DEP_1)
	v_dual_add_f32 v13, v13, v19 :: v_dual_cndmask_b32 v12, 0, v12
	v_exp_f32_e32 v13, v13
	v_cmp_ngt_f32_e32 vcc_lo, 0xc2ce8ed0, v3
	s_waitcnt_depctr 0xfff
	v_ldexp_f32 v13, v13, v17
	s_delay_alu instid0(VALU_DEP_1)
	v_cndmask_b32_e32 v13, 0, v13, vcc_lo
	v_cmp_ngt_f32_e32 vcc_lo, 0xc2ce8ed0, v7
	v_cndmask_b32_e32 v14, 0, v14, vcc_lo
	v_cmp_nlt_f32_e32 vcc_lo, 0x42b17218, v2
	v_cndmask_b32_e32 v2, 0x7f800000, v11, vcc_lo
	v_cmp_nlt_f32_e32 vcc_lo, 0x42b17218, v6
	s_delay_alu instid0(VALU_DEP_2) | instskip(SKIP_2) | instid1(VALU_DEP_3)
	v_cvt_f16_f32_e32 v11, v2
	v_cndmask_b32_e32 v6, 0x7f800000, v12, vcc_lo
	v_cmp_nlt_f32_e32 vcc_lo, 0x42b17218, v3
	v_pk_mul_f16 v24, v24, v11 op_sel_hi:[1,0]
	s_delay_alu instid0(VALU_DEP_3) | instskip(SKIP_1) | instid1(VALU_DEP_2)
	v_dual_fmac_f32 v6, v4, v2 :: v_dual_cndmask_b32 v3, 0x7f800000, v13
	v_cmp_nlt_f32_e32 vcc_lo, 0x42b17218, v7
	v_mov_b32_e32 v4, v6
	s_delay_alu instid0(VALU_DEP_3) | instskip(SKIP_1) | instid1(VALU_DEP_2)
	v_cvt_f16_f32_e32 v12, v3
	v_cndmask_b32_e32 v7, 0x7f800000, v14, vcc_lo
	v_pk_mul_f16 v21, v21, v12 op_sel_hi:[1,0]
	s_delay_alu instid0(VALU_DEP_2) | instskip(SKIP_1) | instid1(VALU_DEP_2)
	v_dual_fmac_f32 v7, v5, v3 :: v_dual_mov_b32 v2, v8
	v_mov_b32_e32 v3, v9
	v_mov_b32_e32 v5, v7
	s_mov_b32 s2, exec_lo
	v_cmpx_gt_i32_e64 s10, v1
	s_cbranch_execnz .LBB46_15
.LBB46_13:
	s_nop 0
	s_sendmsg sendmsg(MSG_DEALLOC_VGPRS)
	s_endpgm
.LBB46_14:
	s_delay_alu instid0(VALU_DEP_1)
	v_dual_mov_b32 v7, v5 :: v_dual_mov_b32 v6, v4
	s_mov_b32 s2, exec_lo
	v_cmpx_gt_i32_e64 s10, v1
	s_cbranch_execz .LBB46_13
.LBB46_15:
	s_load_b32 s1, s[0:1], 0xd4
	v_mov_b32_e32 v11, 1.0
	s_waitcnt lgkmcnt(0)
	s_cmp_lg_u32 s1, 1
	s_cselect_b32 s3, -1, 0
	s_cmp_eq_u32 s1, 1
	s_cselect_b32 s2, -1, 0
	s_and_b32 vcc_lo, exec_lo, s3
	s_cbranch_vccnz .LBB46_17
; %bb.16:
	v_div_scale_f32 v8, null, v4, v4, 1.0
	s_delay_alu instid0(VALU_DEP_1) | instskip(SKIP_2) | instid1(VALU_DEP_1)
	v_rcp_f32_e32 v9, v8
	s_waitcnt_depctr 0xfff
	v_fma_f32 v11, -v8, v9, 1.0
	v_fmac_f32_e32 v9, v11, v9
	v_div_scale_f32 v11, vcc_lo, 1.0, v4, 1.0
	s_delay_alu instid0(VALU_DEP_1) | instskip(NEXT) | instid1(VALU_DEP_1)
	v_mul_f32_e32 v12, v11, v9
	v_fma_f32 v13, -v8, v12, v11
	s_delay_alu instid0(VALU_DEP_1) | instskip(NEXT) | instid1(VALU_DEP_1)
	v_fmac_f32_e32 v12, v13, v9
	v_fma_f32 v8, -v8, v12, v11
	s_delay_alu instid0(VALU_DEP_1) | instskip(NEXT) | instid1(VALU_DEP_1)
	v_div_fmas_f32 v8, v8, v9, v12
	v_div_fixup_f32 v11, v8, v4, 1.0
.LBB46_17:
	v_mad_u64_u32 v[8:9], null, s33, s10, v[1:2]
	v_cvt_f32_f16_e32 v4, v24
	v_lshrrev_b32_e32 v1, 16, v24
	v_cmp_eq_u32_e32 vcc_lo, 0, v0
	s_delay_alu instid0(VALU_DEP_3) | instskip(SKIP_3) | instid1(VALU_DEP_1)
	v_mul_f32_e32 v0, v11, v4
	v_mad_u64_u32 v[12:13], null, v8, s11, s[12:13]
	v_mov_b32_e32 v13, 0
	v_cvt_f32_f16_e32 v1, v1
	v_mul_f32_e32 v1, v11, v1
	s_delay_alu instid0(VALU_DEP_4) | instskip(NEXT) | instid1(VALU_DEP_1)
	v_mad_u64_u32 v[8:9], null, s1, v12, s[14:15]
	v_lshl_add_u32 v12, v8, 6, v10
	s_delay_alu instid0(VALU_DEP_1) | instskip(NEXT) | instid1(VALU_DEP_1)
	v_lshlrev_b64 v[12:13], 2, v[12:13]
	v_add_co_u32 v11, s0, s28, v12
	s_delay_alu instid0(VALU_DEP_1)
	v_add_co_ci_u32_e64 v12, s0, s29, v13, s0
	s_and_b32 s0, vcc_lo, s3
	global_store_b64 v[11:12], v[0:1], off
	s_and_saveexec_b32 s3, s0
	s_cbranch_execz .LBB46_19
; %bb.18:
	v_ashrrev_i32_e32 v9, 31, v8
	v_mov_b32_e32 v11, v2
	v_mov_b32_e32 v12, v6
	s_delay_alu instid0(VALU_DEP_3) | instskip(NEXT) | instid1(VALU_DEP_1)
	v_lshlrev_b64 v[0:1], 3, v[8:9]
	v_add_co_u32 v0, vcc_lo, s30, v0
	s_delay_alu instid0(VALU_DEP_2)
	v_add_co_ci_u32_e32 v1, vcc_lo, s31, v1, vcc_lo
	global_store_b64 v[0:1], v[11:12], off
.LBB46_19:
	s_or_b32 exec_lo, exec_lo, s3
	v_mov_b32_e32 v1, 1.0
	s_and_not1_b32 vcc_lo, exec_lo, s2
	s_cbranch_vccnz .LBB46_21
; %bb.20:
	v_div_scale_f32 v0, null, v5, v5, 1.0
	s_delay_alu instid0(VALU_DEP_1) | instskip(SKIP_2) | instid1(VALU_DEP_1)
	v_rcp_f32_e32 v1, v0
	s_waitcnt_depctr 0xfff
	v_fma_f32 v2, -v0, v1, 1.0
	v_fmac_f32_e32 v1, v2, v1
	v_div_scale_f32 v2, vcc_lo, 1.0, v5, 1.0
	s_delay_alu instid0(VALU_DEP_1) | instskip(NEXT) | instid1(VALU_DEP_1)
	v_mul_f32_e32 v4, v2, v1
	v_fma_f32 v6, -v0, v4, v2
	s_delay_alu instid0(VALU_DEP_1) | instskip(NEXT) | instid1(VALU_DEP_1)
	v_fmac_f32_e32 v4, v6, v1
	v_fma_f32 v0, -v0, v4, v2
	s_delay_alu instid0(VALU_DEP_1) | instskip(NEXT) | instid1(VALU_DEP_1)
	v_div_fmas_f32 v0, v0, v1, v4
	v_div_fixup_f32 v1, v0, v5, 1.0
.LBB46_21:
	v_dual_mov_b32 v5, 0 :: v_dual_add_nc_u32 v0, s1, v8
	v_lshrrev_b32_e32 v2, 16, v21
	v_cvt_f32_f16_e32 v6, v21
	s_delay_alu instid0(VALU_DEP_3) | instskip(NEXT) | instid1(VALU_DEP_3)
	v_lshl_add_u32 v4, v0, 6, v10
	v_cvt_f32_f16_e32 v2, v2
	s_delay_alu instid0(VALU_DEP_3) | instskip(NEXT) | instid1(VALU_DEP_3)
	v_mul_f32_e32 v8, v1, v6
	v_lshlrev_b64 v[4:5], 2, v[4:5]
	s_delay_alu instid0(VALU_DEP_3) | instskip(NEXT) | instid1(VALU_DEP_2)
	v_mul_f32_e32 v9, v1, v2
	v_add_co_u32 v1, vcc_lo, s28, v4
	s_delay_alu instid0(VALU_DEP_3)
	v_add_co_ci_u32_e32 v2, vcc_lo, s29, v5, vcc_lo
	global_store_b64 v[1:2], v[8:9], off
	s_and_b32 exec_lo, exec_lo, s0
	s_cbranch_execz .LBB46_13
; %bb.22:
	v_ashrrev_i32_e32 v1, 31, v0
	v_mov_b32_e32 v6, v3
	s_delay_alu instid0(VALU_DEP_2) | instskip(NEXT) | instid1(VALU_DEP_1)
	v_lshlrev_b64 v[0:1], 3, v[0:1]
	v_add_co_u32 v0, vcc_lo, s30, v0
	s_delay_alu instid0(VALU_DEP_2)
	v_add_co_ci_u32_e32 v1, vcc_lo, s31, v1, vcc_lo
	global_store_b64 v[0:1], v[6:7], off
	s_nop 0
	s_sendmsg sendmsg(MSG_DEALLOC_VGPRS)
	s_endpgm
	.section	.rodata,"a",@progbits
	.p2align	6, 0x0
	.amdhsa_kernel _ZL15flash_attn_tileILi64ELi64ELi2ELi2ELb0EEvPKcS1_S1_S1_S1_PKiPfP15HIP_vector_typeIfLj2EEffffjfiS5_IjLj3EEiiiiiiiiiiiliiliiiiil
		.amdhsa_group_segment_fixed_size 5376
		.amdhsa_private_segment_fixed_size 0
		.amdhsa_kernarg_size 464
		.amdhsa_user_sgpr_count 13
		.amdhsa_user_sgpr_dispatch_ptr 0
		.amdhsa_user_sgpr_queue_ptr 0
		.amdhsa_user_sgpr_kernarg_segment_ptr 1
		.amdhsa_user_sgpr_dispatch_id 0
		.amdhsa_user_sgpr_private_segment_size 0
		.amdhsa_wavefront_size32 1
		.amdhsa_uses_dynamic_stack 0
		.amdhsa_enable_private_segment 0
		.amdhsa_system_sgpr_workgroup_id_x 1
		.amdhsa_system_sgpr_workgroup_id_y 1
		.amdhsa_system_sgpr_workgroup_id_z 1
		.amdhsa_system_sgpr_workgroup_info 0
		.amdhsa_system_vgpr_workitem_id 1
		.amdhsa_next_free_vgpr 110
		.amdhsa_next_free_sgpr 40
		.amdhsa_reserve_vcc 1
		.amdhsa_float_round_mode_32 0
		.amdhsa_float_round_mode_16_64 0
		.amdhsa_float_denorm_mode_32 3
		.amdhsa_float_denorm_mode_16_64 3
		.amdhsa_dx10_clamp 1
		.amdhsa_ieee_mode 1
		.amdhsa_fp16_overflow 0
		.amdhsa_workgroup_processor_mode 1
		.amdhsa_memory_ordered 1
		.amdhsa_forward_progress 0
		.amdhsa_shared_vgpr_count 0
		.amdhsa_exception_fp_ieee_invalid_op 0
		.amdhsa_exception_fp_denorm_src 0
		.amdhsa_exception_fp_ieee_div_zero 0
		.amdhsa_exception_fp_ieee_overflow 0
		.amdhsa_exception_fp_ieee_underflow 0
		.amdhsa_exception_fp_ieee_inexact 0
		.amdhsa_exception_int_div_zero 0
	.end_amdhsa_kernel
	.section	.text._ZL15flash_attn_tileILi64ELi64ELi2ELi2ELb0EEvPKcS1_S1_S1_S1_PKiPfP15HIP_vector_typeIfLj2EEffffjfiS5_IjLj3EEiiiiiiiiiiiliiliiiiil,"axG",@progbits,_ZL15flash_attn_tileILi64ELi64ELi2ELi2ELb0EEvPKcS1_S1_S1_S1_PKiPfP15HIP_vector_typeIfLj2EEffffjfiS5_IjLj3EEiiiiiiiiiiiliiliiiiil,comdat
.Lfunc_end46:
	.size	_ZL15flash_attn_tileILi64ELi64ELi2ELi2ELb0EEvPKcS1_S1_S1_S1_PKiPfP15HIP_vector_typeIfLj2EEffffjfiS5_IjLj3EEiiiiiiiiiiiliiliiiiil, .Lfunc_end46-_ZL15flash_attn_tileILi64ELi64ELi2ELi2ELb0EEvPKcS1_S1_S1_S1_PKiPfP15HIP_vector_typeIfLj2EEffffjfiS5_IjLj3EEiiiiiiiiiiiliiliiiiil
                                        ; -- End function
	.section	.AMDGPU.csdata,"",@progbits
; Kernel info:
; codeLenInByte = 6900
; NumSgprs: 42
; NumVgprs: 110
; ScratchSize: 0
; MemoryBound: 0
; FloatMode: 240
; IeeeMode: 1
; LDSByteSize: 5376 bytes/workgroup (compile time only)
; SGPRBlocks: 5
; VGPRBlocks: 13
; NumSGPRsForWavesPerEU: 42
; NumVGPRsForWavesPerEU: 110
; Occupancy: 12
; WaveLimiterHint : 1
; COMPUTE_PGM_RSRC2:SCRATCH_EN: 0
; COMPUTE_PGM_RSRC2:USER_SGPR: 13
; COMPUTE_PGM_RSRC2:TRAP_HANDLER: 0
; COMPUTE_PGM_RSRC2:TGID_X_EN: 1
; COMPUTE_PGM_RSRC2:TGID_Y_EN: 1
; COMPUTE_PGM_RSRC2:TGID_Z_EN: 1
; COMPUTE_PGM_RSRC2:TIDIG_COMP_CNT: 1
	.section	.text._ZL33flash_attn_stream_k_fixup_uniformILi64ELi2ELi2EEvPfPK15HIP_vector_typeIfLj2EEiiiiiiS1_IjLj3EES5_S5_,"axG",@progbits,_ZL33flash_attn_stream_k_fixup_uniformILi64ELi2ELi2EEvPfPK15HIP_vector_typeIfLj2EEiiiiiiS1_IjLj3EES5_S5_,comdat
	.globl	_ZL33flash_attn_stream_k_fixup_uniformILi64ELi2ELi2EEvPfPK15HIP_vector_typeIfLj2EEiiiiiiS1_IjLj3EES5_S5_ ; -- Begin function _ZL33flash_attn_stream_k_fixup_uniformILi64ELi2ELi2EEvPfPK15HIP_vector_typeIfLj2EEiiiiiiS1_IjLj3EES5_S5_
	.p2align	8
	.type	_ZL33flash_attn_stream_k_fixup_uniformILi64ELi2ELi2EEvPfPK15HIP_vector_typeIfLj2EEiiiiiiS1_IjLj3EES5_S5_,@function
_ZL33flash_attn_stream_k_fixup_uniformILi64ELi2ELi2EEvPfPK15HIP_vector_typeIfLj2EEiiiiiiS1_IjLj3EES5_S5_: ; @_ZL33flash_attn_stream_k_fixup_uniformILi64ELi2ELi2EEvPfPK15HIP_vector_typeIfLj2EEiiiiiiS1_IjLj3EES5_S5_
; %bb.0:
	s_clause 0x1
	s_load_b256 s[4:11], s[0:1], 0x1c
	s_load_b128 s[16:19], s[0:1], 0x3c
	s_waitcnt lgkmcnt(0)
	s_mul_hi_u32 s2, s7, s13
	s_delay_alu instid0(SALU_CYCLE_1) | instskip(NEXT) | instid1(SALU_CYCLE_1)
	s_add_i32 s2, s13, s2
	s_lshr_b32 s2, s2, s8
	s_delay_alu instid0(SALU_CYCLE_1) | instskip(SKIP_2) | instid1(SALU_CYCLE_1)
	s_mul_i32 s3, s2, s9
	s_load_b64 s[8:9], s[0:1], 0x10
	s_sub_i32 s7, s13, s3
	s_mul_hi_u32 s3, s7, s10
	s_delay_alu instid0(SALU_CYCLE_1) | instskip(NEXT) | instid1(SALU_CYCLE_1)
	s_add_i32 s3, s7, s3
	s_lshr_b32 s3, s3, s11
	s_delay_alu instid0(SALU_CYCLE_1) | instskip(NEXT) | instid1(SALU_CYCLE_1)
	s_mul_i32 s10, s3, s16
	s_sub_i32 s7, s7, s10
	s_delay_alu instid0(SALU_CYCLE_1) | instskip(NEXT) | instid1(SALU_CYCLE_1)
	s_mul_hi_u32 s10, s7, s17
	s_add_i32 s10, s7, s10
	s_delay_alu instid0(SALU_CYCLE_1) | instskip(NEXT) | instid1(SALU_CYCLE_1)
	s_lshr_b32 s10, s10, s18
	s_mul_i32 s11, s10, s19
	s_lshl_b32 s10, s10, 1
	s_sub_i32 s7, s7, s11
	s_delay_alu instid0(SALU_CYCLE_1) | instskip(NEXT) | instid1(SALU_CYCLE_1)
	s_lshl_b32 s11, s7, 1
	s_add_i32 s11, s11, s14
	s_waitcnt lgkmcnt(0)
	s_cmp_lt_i32 s11, s8
	s_cselect_b32 s11, -1, 0
	s_add_i32 s12, s10, s15
	s_delay_alu instid0(SALU_CYCLE_1) | instskip(SKIP_1) | instid1(SALU_CYCLE_1)
	s_cmp_lt_i32 s12, s5
	s_cselect_b32 s12, -1, 0
	s_and_b32 s11, s11, s12
	s_delay_alu instid0(SALU_CYCLE_1)
	s_and_not1_b32 vcc_lo, exec_lo, s11
	s_cbranch_vccnz .LBB47_6
; %bb.1:
	s_mul_i32 s2, s2, s8
	s_mul_i32 s5, s3, s5
	s_add_i32 s2, s2, s14
	s_mul_i32 s7, s9, s7
	s_mul_i32 s2, s2, s9
	s_lshl_b32 s7, s7, 7
	s_add_i32 s8, s2, s15
	s_load_b128 s[0:3], s[0:1], 0x0
	s_add_i32 s5, s8, s5
	s_lshl_b32 s9, s14, 1
	s_add_i32 s5, s5, s10
	s_delay_alu instid0(SALU_CYCLE_1) | instskip(NEXT) | instid1(SALU_CYCLE_1)
	s_lshl_b32 s5, s5, 6
	s_add_i32 s7, s7, s5
	s_mul_i32 s5, s13, s6
	v_or_b32_e32 v1, s7, v0
	s_add_i32 s10, s5, s6
	s_delay_alu instid0(VALU_DEP_1) | instskip(NEXT) | instid1(VALU_DEP_1)
	v_ashrrev_i32_e32 v2, 31, v1
	v_lshlrev_b64 v[1:2], 2, v[1:2]
	s_waitcnt lgkmcnt(0)
	s_delay_alu instid0(VALU_DEP_1) | instskip(NEXT) | instid1(VALU_DEP_2)
	v_add_co_u32 v1, vcc_lo, s0, v1
	v_add_co_ci_u32_e32 v2, vcc_lo, s1, v2, vcc_lo
	s_add_i32 s0, s9, s15
	s_lshl_b32 s1, s10, 2
	s_delay_alu instid0(SALU_CYCLE_1) | instskip(SKIP_2) | instid1(SALU_CYCLE_1)
	s_add_i32 s0, s0, s1
	global_load_b32 v5, v[1:2], off
	s_add_i32 s0, s0, -4
	s_ashr_i32 s1, s0, 31
	s_delay_alu instid0(SALU_CYCLE_1) | instskip(NEXT) | instid1(SALU_CYCLE_1)
	s_lshl_b64 s[0:1], s[0:1], 3
	s_add_u32 s0, s2, s0
	s_addc_u32 s1, s3, s1
	s_add_i32 s7, s10, -2
	s_load_b32 s11, s[0:1], 0x4
	s_cmp_lt_i32 s7, s5
	s_cbranch_scc1 .LBB47_4
; %bb.2:
	s_lshl_b32 s16, s4, 4
	s_load_b32 s12, s[0:1], 0x0
	s_ashr_i32 s17, s16, 31
	s_delay_alu instid0(SALU_CYCLE_1) | instskip(NEXT) | instid1(SALU_CYCLE_1)
	s_lshl_b64 s[0:1], s[16:17], 2
	s_add_u32 s7, s2, s0
	s_addc_u32 s8, s3, s1
	s_add_i32 s13, s13, 1
	s_lshl_b32 s0, s14, 7
	s_lshl_b32 s1, s15, 6
	s_mul_i32 s6, s6, s13
	s_add_i32 s0, s1, s0
	s_lshl_b32 s1, s6, 8
	s_delay_alu instid0(SALU_CYCLE_1)
	s_add_i32 s0, s0, s1
	s_lshl_b32 s1, s6, 2
	v_or_b32_e32 v0, s0, v0
	s_lshl_b32 s0, s4, 2
	s_add_i32 s1, s15, s1
	s_waitcnt lgkmcnt(0)
	v_mov_b32_e32 v6, s11
	s_add_i32 s0, s1, s0
	v_dual_mov_b32 v0, s12 :: v_dual_add_nc_u32 v3, 0xfffffe00, v0
	s_add_i32 s0, s0, s9
	s_add_i32 s4, s10, -1
	s_add_i32 s0, s0, -8
.LBB47_3:                               ; =>This Inner Loop Header: Depth=1
	s_delay_alu instid0(VALU_DEP_1) | instskip(SKIP_1) | instid1(SALU_CYCLE_1)
	v_ashrrev_i32_e32 v4, 31, v3
	s_ashr_i32 s1, s0, 31
	s_lshl_b64 s[10:11], s[0:1], 3
	s_delay_alu instid0(SALU_CYCLE_1) | instskip(NEXT) | instid1(VALU_DEP_1)
	s_add_u32 s10, s2, s10
	v_lshlrev_b64 v[7:8], 2, v[3:4]
	s_addc_u32 s11, s3, s11
	s_add_i32 s4, s4, -1
	s_add_i32 s0, s0, -4
	s_cmp_le_i32 s4, s5
	s_load_b64 s[10:11], s[10:11], 0x0
	v_add_co_u32 v7, vcc_lo, s7, v7
	v_add_co_ci_u32_e32 v8, vcc_lo, s8, v8, vcc_lo
	global_load_b32 v4, v[7:8], off
	v_max_f32_e32 v7, v0, v0
	s_waitcnt lgkmcnt(0)
	v_max_f32_e64 v8, s10, s10
	s_delay_alu instid0(VALU_DEP_1) | instskip(NEXT) | instid1(VALU_DEP_1)
	v_max_f32_e32 v7, v7, v8
	v_sub_f32_e32 v8, s10, v7
	s_delay_alu instid0(VALU_DEP_1) | instskip(NEXT) | instid1(VALU_DEP_1)
	v_dual_sub_f32 v0, v0, v7 :: v_dual_mul_f32 v9, 0x3fb8aa3b, v8
	v_fma_f32 v10, 0x3fb8aa3b, v8, -v9
	v_rndne_f32_e32 v11, v9
	s_delay_alu instid0(VALU_DEP_3) | instskip(NEXT) | instid1(VALU_DEP_2)
	v_mul_f32_e32 v12, 0x3fb8aa3b, v0
	v_dual_fmac_f32 v10, 0x32a5705f, v8 :: v_dual_sub_f32 v9, v9, v11
	v_cvt_i32_f32_e32 v11, v11
	s_delay_alu instid0(VALU_DEP_3) | instskip(SKIP_1) | instid1(VALU_DEP_4)
	v_fma_f32 v13, 0x3fb8aa3b, v0, -v12
	v_rndne_f32_e32 v14, v12
	v_add_f32_e32 v9, v9, v10
	v_cmp_ngt_f32_e32 vcc_lo, 0xc2ce8ed0, v8
	s_delay_alu instid0(VALU_DEP_3) | instskip(NEXT) | instid1(VALU_DEP_3)
	v_sub_f32_e32 v10, v12, v14
	v_exp_f32_e32 v9, v9
	s_waitcnt_depctr 0xfff
	v_ldexp_f32 v9, v9, v11
	v_cvt_i32_f32_e32 v11, v14
	s_delay_alu instid0(VALU_DEP_2) | instskip(SKIP_1) | instid1(VALU_DEP_2)
	v_cndmask_b32_e32 v9, 0, v9, vcc_lo
	v_cmp_nlt_f32_e32 vcc_lo, 0x42b17218, v8
	v_cndmask_b32_e32 v9, 0x7f800000, v9, vcc_lo
	v_cmp_ngt_f32_e32 vcc_lo, 0xc2ce8ed0, v0
	v_fmac_f32_e32 v13, 0x32a5705f, v0
	s_delay_alu instid0(VALU_DEP_1) | instskip(NEXT) | instid1(VALU_DEP_1)
	v_add_f32_e32 v10, v10, v13
	v_exp_f32_e32 v10, v10
	s_waitcnt_depctr 0xfff
	v_ldexp_f32 v10, v10, v11
	s_delay_alu instid0(VALU_DEP_1)
	v_dual_mov_b32 v11, v6 :: v_dual_cndmask_b32 v10, 0, v10
	v_cmp_le_f32_e32 vcc_lo, 0xc1a00000, v8
	s_waitcnt vmcnt(1)
	v_dual_cndmask_b32 v8, 0, v9 :: v_dual_mov_b32 v9, v5
	v_cmp_nlt_f32_e32 vcc_lo, 0x42b17218, v0
	v_cndmask_b32_e32 v5, 0x7f800000, v10, vcc_lo
	s_delay_alu instid0(VALU_DEP_3) | instskip(SKIP_2) | instid1(VALU_DEP_3)
	v_mul_f32_e32 v10, s11, v8
	v_cmp_le_f32_e32 vcc_lo, 0xc1a00000, v0
	v_mov_b32_e32 v0, v7
	v_mov_b32_e32 v6, v10
	s_waitcnt vmcnt(0)
	v_dual_cndmask_b32 v12, 0, v5 :: v_dual_mul_f32 v5, v4, v8
	s_delay_alu instid0(VALU_DEP_1) | instskip(NEXT) | instid1(VALU_DEP_2)
	v_dual_fmac_f32 v6, v11, v12 :: v_dual_add_nc_u32 v3, 0xffffff00, v3
	v_fmac_f32_e32 v5, v9, v12
	s_cbranch_scc0 .LBB47_3
	s_branch .LBB47_5
.LBB47_4:
	s_waitcnt lgkmcnt(0)
	v_mov_b32_e32 v6, s11
.LBB47_5:
	s_waitcnt vmcnt(0)
	s_delay_alu instid0(VALU_DEP_1) | instskip(NEXT) | instid1(VALU_DEP_1)
	v_div_scale_f32 v0, null, v6, v6, v5
	v_rcp_f32_e32 v3, v0
	s_waitcnt_depctr 0xfff
	v_fma_f32 v4, -v0, v3, 1.0
	s_delay_alu instid0(VALU_DEP_1) | instskip(SKIP_1) | instid1(VALU_DEP_1)
	v_fmac_f32_e32 v3, v4, v3
	v_div_scale_f32 v4, vcc_lo, v5, v6, v5
	v_mul_f32_e32 v7, v4, v3
	s_delay_alu instid0(VALU_DEP_1) | instskip(NEXT) | instid1(VALU_DEP_1)
	v_fma_f32 v8, -v0, v7, v4
	v_fmac_f32_e32 v7, v8, v3
	s_delay_alu instid0(VALU_DEP_1) | instskip(NEXT) | instid1(VALU_DEP_1)
	v_fma_f32 v0, -v0, v7, v4
	v_div_fmas_f32 v0, v0, v3, v7
	s_delay_alu instid0(VALU_DEP_1)
	v_div_fixup_f32 v0, v0, v6, v5
	global_store_b32 v[1:2], v0, off
.LBB47_6:
	s_nop 0
	s_sendmsg sendmsg(MSG_DEALLOC_VGPRS)
	s_endpgm
	.section	.rodata,"a",@progbits
	.p2align	6, 0x0
	.amdhsa_kernel _ZL33flash_attn_stream_k_fixup_uniformILi64ELi2ELi2EEvPfPK15HIP_vector_typeIfLj2EEiiiiiiS1_IjLj3EES5_S5_
		.amdhsa_group_segment_fixed_size 0
		.amdhsa_private_segment_fixed_size 0
		.amdhsa_kernarg_size 76
		.amdhsa_user_sgpr_count 13
		.amdhsa_user_sgpr_dispatch_ptr 0
		.amdhsa_user_sgpr_queue_ptr 0
		.amdhsa_user_sgpr_kernarg_segment_ptr 1
		.amdhsa_user_sgpr_dispatch_id 0
		.amdhsa_user_sgpr_private_segment_size 0
		.amdhsa_wavefront_size32 1
		.amdhsa_uses_dynamic_stack 0
		.amdhsa_enable_private_segment 0
		.amdhsa_system_sgpr_workgroup_id_x 1
		.amdhsa_system_sgpr_workgroup_id_y 1
		.amdhsa_system_sgpr_workgroup_id_z 1
		.amdhsa_system_sgpr_workgroup_info 0
		.amdhsa_system_vgpr_workitem_id 0
		.amdhsa_next_free_vgpr 15
		.amdhsa_next_free_sgpr 20
		.amdhsa_reserve_vcc 1
		.amdhsa_float_round_mode_32 0
		.amdhsa_float_round_mode_16_64 0
		.amdhsa_float_denorm_mode_32 3
		.amdhsa_float_denorm_mode_16_64 3
		.amdhsa_dx10_clamp 1
		.amdhsa_ieee_mode 1
		.amdhsa_fp16_overflow 0
		.amdhsa_workgroup_processor_mode 1
		.amdhsa_memory_ordered 1
		.amdhsa_forward_progress 0
		.amdhsa_shared_vgpr_count 0
		.amdhsa_exception_fp_ieee_invalid_op 0
		.amdhsa_exception_fp_denorm_src 0
		.amdhsa_exception_fp_ieee_div_zero 0
		.amdhsa_exception_fp_ieee_overflow 0
		.amdhsa_exception_fp_ieee_underflow 0
		.amdhsa_exception_fp_ieee_inexact 0
		.amdhsa_exception_int_div_zero 0
	.end_amdhsa_kernel
	.section	.text._ZL33flash_attn_stream_k_fixup_uniformILi64ELi2ELi2EEvPfPK15HIP_vector_typeIfLj2EEiiiiiiS1_IjLj3EES5_S5_,"axG",@progbits,_ZL33flash_attn_stream_k_fixup_uniformILi64ELi2ELi2EEvPfPK15HIP_vector_typeIfLj2EEiiiiiiS1_IjLj3EES5_S5_,comdat
.Lfunc_end47:
	.size	_ZL33flash_attn_stream_k_fixup_uniformILi64ELi2ELi2EEvPfPK15HIP_vector_typeIfLj2EEiiiiiiS1_IjLj3EES5_S5_, .Lfunc_end47-_ZL33flash_attn_stream_k_fixup_uniformILi64ELi2ELi2EEvPfPK15HIP_vector_typeIfLj2EEiiiiiiS1_IjLj3EES5_S5_
                                        ; -- End function
	.section	.AMDGPU.csdata,"",@progbits
; Kernel info:
; codeLenInByte = 996
; NumSgprs: 22
; NumVgprs: 15
; ScratchSize: 0
; MemoryBound: 0
; FloatMode: 240
; IeeeMode: 1
; LDSByteSize: 0 bytes/workgroup (compile time only)
; SGPRBlocks: 2
; VGPRBlocks: 1
; NumSGPRsForWavesPerEU: 22
; NumVGPRsForWavesPerEU: 15
; Occupancy: 16
; WaveLimiterHint : 0
; COMPUTE_PGM_RSRC2:SCRATCH_EN: 0
; COMPUTE_PGM_RSRC2:USER_SGPR: 13
; COMPUTE_PGM_RSRC2:TRAP_HANDLER: 0
; COMPUTE_PGM_RSRC2:TGID_X_EN: 1
; COMPUTE_PGM_RSRC2:TGID_Y_EN: 1
; COMPUTE_PGM_RSRC2:TGID_Z_EN: 1
; COMPUTE_PGM_RSRC2:TIDIG_COMP_CNT: 0
	.section	.text._ZL33flash_attn_stream_k_fixup_generalILi64ELi2ELi2EEvPfPK15HIP_vector_typeIfLj2EEiiiiS1_IjLj3EES5_S5_S5_,"axG",@progbits,_ZL33flash_attn_stream_k_fixup_generalILi64ELi2ELi2EEvPfPK15HIP_vector_typeIfLj2EEiiiiS1_IjLj3EES5_S5_S5_,comdat
	.globl	_ZL33flash_attn_stream_k_fixup_generalILi64ELi2ELi2EEvPfPK15HIP_vector_typeIfLj2EEiiiiS1_IjLj3EES5_S5_S5_ ; -- Begin function _ZL33flash_attn_stream_k_fixup_generalILi64ELi2ELi2EEvPfPK15HIP_vector_typeIfLj2EEiiiiS1_IjLj3EES5_S5_S5_
	.p2align	8
	.type	_ZL33flash_attn_stream_k_fixup_generalILi64ELi2ELi2EEvPfPK15HIP_vector_typeIfLj2EEiiiiS1_IjLj3EES5_S5_S5_,@function
_ZL33flash_attn_stream_k_fixup_generalILi64ELi2ELi2EEvPfPK15HIP_vector_typeIfLj2EEiiiiS1_IjLj3EES5_S5_S5_: ; @_ZL33flash_attn_stream_k_fixup_generalILi64ELi2ELi2EEvPfPK15HIP_vector_typeIfLj2EEiiiiS1_IjLj3EES5_S5_S5_
; %bb.0:
	s_clause 0x1
	s_load_b128 s[4:7], s[0:1], 0x10
	s_load_b32 s20, s[0:1], 0x50
	s_mov_b32 s2, 0
	s_waitcnt lgkmcnt(0)
	s_mul_hi_i32 s3, s7, s13
	s_mul_i32 s12, s7, s13
	s_cmp_lg_u64 s[2:3], 0
	s_cbranch_scc0 .LBB48_21
; %bb.1:
	v_cvt_f32_ubyte0_e32 v1, 0
	v_cvt_f32_u32_e32 v2, s20
	s_sub_u32 s10, 0, s20
	s_subb_u32 s11, 0, 0
	s_delay_alu instid0(VALU_DEP_1) | instskip(NEXT) | instid1(VALU_DEP_1)
	v_fmamk_f32 v1, v1, 0x4f800000, v2
	v_rcp_f32_e32 v1, v1
	s_waitcnt_depctr 0xfff
	v_mul_f32_e32 v1, 0x5f7ffffc, v1
	s_delay_alu instid0(VALU_DEP_1) | instskip(NEXT) | instid1(VALU_DEP_1)
	v_mul_f32_e32 v2, 0x2f800000, v1
	v_trunc_f32_e32 v2, v2
	s_delay_alu instid0(VALU_DEP_1) | instskip(SKIP_1) | instid1(VALU_DEP_2)
	v_fmamk_f32 v1, v2, 0xcf800000, v1
	v_cvt_u32_f32_e32 v2, v2
	v_cvt_u32_f32_e32 v1, v1
	s_delay_alu instid0(VALU_DEP_2) | instskip(NEXT) | instid1(VALU_DEP_2)
	v_readfirstlane_b32 s8, v2
	v_readfirstlane_b32 s9, v1
	s_delay_alu instid0(VALU_DEP_2) | instskip(NEXT) | instid1(VALU_DEP_1)
	s_mul_i32 s16, s10, s8
	s_mul_hi_u32 s18, s10, s9
	s_mul_i32 s17, s11, s9
	s_add_i32 s16, s18, s16
	s_mul_i32 s19, s10, s9
	s_add_i32 s16, s16, s17
	s_mul_hi_u32 s18, s9, s19
	s_mul_hi_u32 s21, s8, s19
	s_mul_i32 s17, s8, s19
	s_mul_hi_u32 s19, s9, s16
	s_mul_i32 s9, s9, s16
	s_mul_hi_u32 s22, s8, s16
	s_add_u32 s9, s18, s9
	s_addc_u32 s18, 0, s19
	s_add_u32 s9, s9, s17
	s_mul_i32 s16, s8, s16
	s_addc_u32 s9, s18, s21
	s_addc_u32 s17, s22, 0
	s_add_u32 s9, s9, s16
	s_addc_u32 s16, 0, s17
	v_add_co_u32 v1, s9, v1, s9
	s_delay_alu instid0(VALU_DEP_1) | instskip(SKIP_1) | instid1(VALU_DEP_1)
	s_cmp_lg_u32 s9, 0
	s_addc_u32 s8, s8, s16
	v_readfirstlane_b32 s9, v1
	s_mul_i32 s16, s10, s8
	s_delay_alu instid0(VALU_DEP_1)
	s_mul_hi_u32 s17, s10, s9
	s_mul_i32 s11, s11, s9
	s_add_i32 s16, s17, s16
	s_mul_i32 s10, s10, s9
	s_add_i32 s16, s16, s11
	s_mul_hi_u32 s17, s8, s10
	s_mul_i32 s18, s8, s10
	s_mul_hi_u32 s10, s9, s10
	s_mul_hi_u32 s19, s9, s16
	s_mul_i32 s9, s9, s16
	s_mul_hi_u32 s11, s8, s16
	s_add_u32 s9, s10, s9
	s_addc_u32 s10, 0, s19
	s_add_u32 s9, s9, s18
	s_mul_i32 s16, s8, s16
	s_addc_u32 s9, s10, s17
	s_addc_u32 s10, s11, 0
	s_add_u32 s9, s9, s16
	s_addc_u32 s10, 0, s10
	v_add_co_u32 v1, s9, v1, s9
	s_delay_alu instid0(VALU_DEP_1) | instskip(SKIP_2) | instid1(SALU_CYCLE_1)
	s_cmp_lg_u32 s9, 0
	s_addc_u32 s16, s8, s10
	s_ashr_i32 s8, s3, 31
	s_add_u32 s10, s12, s8
	s_addc_u32 s11, s3, s8
	v_readfirstlane_b32 s3, v1
	s_mov_b32 s9, s8
	s_delay_alu instid0(SALU_CYCLE_1) | instskip(NEXT) | instid1(SALU_CYCLE_1)
	s_xor_b64 s[10:11], s[10:11], s[8:9]
	s_mul_i32 s18, s10, s16
	s_delay_alu instid0(VALU_DEP_1)
	s_mul_hi_u32 s19, s10, s3
	s_mul_hi_u32 s17, s10, s16
	s_mul_hi_u32 s22, s11, s3
	s_mul_i32 s3, s11, s3
	s_add_u32 s18, s19, s18
	s_addc_u32 s17, 0, s17
	s_mul_hi_u32 s21, s11, s16
	s_add_u32 s3, s18, s3
	s_mul_i32 s16, s11, s16
	s_addc_u32 s3, s17, s22
	s_addc_u32 s17, s21, 0
	s_add_u32 s3, s3, s16
	s_addc_u32 s16, 0, s17
	s_mul_i32 s18, s20, s3
	s_add_u32 s17, s3, 1
	v_sub_co_u32 v1, s10, s10, s18
	s_mul_hi_u32 s18, s20, s3
	s_addc_u32 s19, s16, 0
	s_mul_i32 s21, s20, s16
	s_delay_alu instid0(VALU_DEP_1)
	v_sub_co_u32 v2, s22, v1, s20
	s_add_u32 s23, s3, 2
	s_addc_u32 s24, s16, 0
	s_add_i32 s18, s18, s21
	s_cmp_lg_u32 s10, 0
	v_readfirstlane_b32 s10, v2
	s_subb_u32 s11, s11, s18
	s_cmp_lg_u32 s22, 0
	s_subb_u32 s18, s11, 0
	s_delay_alu instid0(VALU_DEP_1) | instskip(SKIP_4) | instid1(SALU_CYCLE_1)
	s_cmp_ge_u32 s10, s20
	s_cselect_b32 s10, -1, 0
	s_cmp_eq_u32 s18, 0
	v_readfirstlane_b32 s18, v1
	s_cselect_b32 s10, s10, -1
	s_cmp_lg_u32 s10, 0
	s_cselect_b32 s10, s23, s17
	s_cselect_b32 s17, s24, s19
	s_cmp_ge_u32 s18, s20
	s_cselect_b32 s18, -1, 0
	s_cmp_eq_u32 s11, 0
	s_cselect_b32 s11, s18, -1
	s_delay_alu instid0(SALU_CYCLE_1) | instskip(SKIP_2) | instid1(SALU_CYCLE_1)
	s_cmp_lg_u32 s11, 0
	s_cselect_b32 s11, s17, s16
	s_cselect_b32 s10, s10, s3
	s_xor_b64 s[10:11], s[10:11], s[8:9]
	s_delay_alu instid0(SALU_CYCLE_1)
	s_sub_u32 s16, s10, s8
	s_load_b128 s[8:11], s[0:1], 0x44
	s_and_not1_b32 vcc_lo, exec_lo, s2
	s_cbranch_vccnz .LBB48_3
.LBB48_2:
	v_cvt_f32_u32_e32 v1, s20
	s_sub_i32 s3, 0, s20
	s_delay_alu instid0(VALU_DEP_1) | instskip(SKIP_2) | instid1(VALU_DEP_1)
	v_rcp_iflag_f32_e32 v1, v1
	s_waitcnt_depctr 0xfff
	v_mul_f32_e32 v1, 0x4f7ffffe, v1
	v_cvt_u32_f32_e32 v1, v1
	s_delay_alu instid0(VALU_DEP_1) | instskip(NEXT) | instid1(VALU_DEP_1)
	v_readfirstlane_b32 s2, v1
	s_mul_i32 s3, s3, s2
	s_delay_alu instid0(SALU_CYCLE_1) | instskip(NEXT) | instid1(SALU_CYCLE_1)
	s_mul_hi_u32 s3, s2, s3
	s_add_i32 s2, s2, s3
	s_delay_alu instid0(SALU_CYCLE_1) | instskip(NEXT) | instid1(SALU_CYCLE_1)
	s_mul_hi_u32 s2, s12, s2
	s_mul_i32 s3, s2, s20
	s_waitcnt lgkmcnt(0)
	s_add_i32 s11, s2, 1
	s_sub_i32 s3, s12, s3
	s_delay_alu instid0(SALU_CYCLE_1)
	s_sub_i32 s12, s3, s20
	s_cmp_ge_u32 s3, s20
	s_cselect_b32 s2, s11, s2
	s_cselect_b32 s3, s12, s3
	s_add_i32 s11, s2, 1
	s_cmp_ge_u32 s3, s20
	s_cselect_b32 s16, s11, s2
.LBB48_3:
	s_waitcnt lgkmcnt(0)
	s_add_i32 s11, s13, 1
	s_mov_b32 s2, 0
	s_mul_hi_i32 s3, s7, s11
	s_mul_i32 s11, s7, s11
	s_cmp_lg_u64 s[2:3], 0
	s_cbranch_scc0 .LBB48_22
; %bb.4:
	v_cvt_f32_ubyte0_e32 v1, 0
	v_cvt_f32_u32_e32 v2, s20
	s_sub_u32 s18, 0, s20
	s_subb_u32 s19, 0, 0
	s_delay_alu instid0(VALU_DEP_1) | instskip(NEXT) | instid1(VALU_DEP_1)
	v_fmamk_f32 v1, v1, 0x4f800000, v2
	v_rcp_f32_e32 v1, v1
	s_waitcnt_depctr 0xfff
	v_mul_f32_e32 v1, 0x5f7ffffc, v1
	s_delay_alu instid0(VALU_DEP_1) | instskip(NEXT) | instid1(VALU_DEP_1)
	v_mul_f32_e32 v2, 0x2f800000, v1
	v_trunc_f32_e32 v2, v2
	s_delay_alu instid0(VALU_DEP_1) | instskip(SKIP_1) | instid1(VALU_DEP_2)
	v_fmamk_f32 v1, v2, 0xcf800000, v1
	v_cvt_u32_f32_e32 v2, v2
	v_cvt_u32_f32_e32 v1, v1
	s_delay_alu instid0(VALU_DEP_2) | instskip(NEXT) | instid1(VALU_DEP_2)
	v_readfirstlane_b32 s12, v2
	v_readfirstlane_b32 s17, v1
	s_delay_alu instid0(VALU_DEP_2) | instskip(NEXT) | instid1(VALU_DEP_1)
	s_mul_i32 s21, s18, s12
	s_mul_hi_u32 s23, s18, s17
	s_mul_i32 s22, s19, s17
	s_add_i32 s21, s23, s21
	s_mul_i32 s24, s18, s17
	s_add_i32 s21, s21, s22
	s_mul_hi_u32 s23, s17, s24
	s_mul_hi_u32 s25, s12, s24
	s_mul_i32 s22, s12, s24
	s_mul_hi_u32 s24, s17, s21
	s_mul_i32 s17, s17, s21
	s_mul_hi_u32 s26, s12, s21
	s_add_u32 s17, s23, s17
	s_addc_u32 s23, 0, s24
	s_add_u32 s17, s17, s22
	s_mul_i32 s21, s12, s21
	s_addc_u32 s17, s23, s25
	s_addc_u32 s22, s26, 0
	s_add_u32 s17, s17, s21
	s_addc_u32 s21, 0, s22
	v_add_co_u32 v1, s17, v1, s17
	s_delay_alu instid0(VALU_DEP_1) | instskip(SKIP_1) | instid1(VALU_DEP_1)
	s_cmp_lg_u32 s17, 0
	s_addc_u32 s12, s12, s21
	v_readfirstlane_b32 s17, v1
	s_mul_i32 s21, s18, s12
	s_delay_alu instid0(VALU_DEP_1)
	s_mul_hi_u32 s22, s18, s17
	s_mul_i32 s19, s19, s17
	s_add_i32 s21, s22, s21
	s_mul_i32 s18, s18, s17
	s_add_i32 s21, s21, s19
	s_mul_hi_u32 s22, s12, s18
	s_mul_i32 s23, s12, s18
	s_mul_hi_u32 s18, s17, s18
	s_mul_hi_u32 s24, s17, s21
	s_mul_i32 s17, s17, s21
	s_mul_hi_u32 s19, s12, s21
	s_add_u32 s17, s18, s17
	s_addc_u32 s18, 0, s24
	s_add_u32 s17, s17, s23
	s_mul_i32 s21, s12, s21
	s_addc_u32 s17, s18, s22
	s_addc_u32 s18, s19, 0
	s_add_u32 s17, s17, s21
	s_addc_u32 s18, 0, s18
	v_add_co_u32 v1, s17, v1, s17
	s_delay_alu instid0(VALU_DEP_1) | instskip(SKIP_2) | instid1(SALU_CYCLE_1)
	s_cmp_lg_u32 s17, 0
	s_addc_u32 s12, s12, s18
	s_ashr_i32 s18, s3, 31
	s_add_u32 s22, s11, s18
	s_addc_u32 s23, s3, s18
	v_readfirstlane_b32 s3, v1
	s_mov_b32 s19, s18
	s_delay_alu instid0(SALU_CYCLE_1) | instskip(NEXT) | instid1(SALU_CYCLE_1)
	s_xor_b64 s[22:23], s[22:23], s[18:19]
	s_mul_i32 s21, s22, s12
	s_delay_alu instid0(VALU_DEP_1)
	s_mul_hi_u32 s24, s22, s3
	s_mul_hi_u32 s17, s22, s12
	;; [unrolled: 1-line block ×3, first 2 shown]
	s_mul_i32 s3, s23, s3
	s_add_u32 s21, s24, s21
	s_addc_u32 s17, 0, s17
	s_mul_hi_u32 s25, s23, s12
	s_add_u32 s3, s21, s3
	s_mul_i32 s12, s23, s12
	s_addc_u32 s3, s17, s26
	s_addc_u32 s17, s25, 0
	s_add_u32 s3, s3, s12
	s_addc_u32 s12, 0, s17
	s_mul_i32 s21, s20, s3
	s_add_u32 s17, s3, 1
	v_sub_co_u32 v1, s21, s22, s21
	s_mul_hi_u32 s22, s20, s3
	s_addc_u32 s24, s12, 0
	s_mul_i32 s25, s20, s12
	s_delay_alu instid0(VALU_DEP_1)
	v_sub_co_u32 v2, s26, v1, s20
	s_add_u32 s27, s3, 2
	s_addc_u32 s28, s12, 0
	s_add_i32 s22, s22, s25
	s_cmp_lg_u32 s21, 0
	v_readfirstlane_b32 s21, v2
	s_subb_u32 s22, s23, s22
	s_cmp_lg_u32 s26, 0
	s_subb_u32 s23, s22, 0
	s_delay_alu instid0(VALU_DEP_1) | instskip(SKIP_4) | instid1(SALU_CYCLE_1)
	s_cmp_ge_u32 s21, s20
	s_cselect_b32 s21, -1, 0
	s_cmp_eq_u32 s23, 0
	v_readfirstlane_b32 s23, v1
	s_cselect_b32 s21, s21, -1
	s_cmp_lg_u32 s21, 0
	s_cselect_b32 s17, s27, s17
	s_cselect_b32 s21, s28, s24
	s_cmp_ge_u32 s23, s20
	s_cselect_b32 s23, -1, 0
	s_cmp_eq_u32 s22, 0
	s_cselect_b32 s22, s23, -1
	s_delay_alu instid0(SALU_CYCLE_1) | instskip(SKIP_2) | instid1(SALU_CYCLE_1)
	s_cmp_lg_u32 s22, 0
	s_cselect_b32 s23, s21, s12
	s_cselect_b32 s22, s17, s3
	s_xor_b64 s[22:23], s[22:23], s[18:19]
	s_delay_alu instid0(SALU_CYCLE_1)
	s_sub_u32 s18, s22, s18
	s_and_not1_b32 vcc_lo, exec_lo, s2
	s_cbranch_vccnz .LBB48_6
.LBB48_5:
	v_cvt_f32_u32_e32 v1, s20
	s_sub_i32 s3, 0, s20
	s_delay_alu instid0(VALU_DEP_1) | instskip(SKIP_2) | instid1(VALU_DEP_1)
	v_rcp_iflag_f32_e32 v1, v1
	s_waitcnt_depctr 0xfff
	v_mul_f32_e32 v1, 0x4f7ffffe, v1
	v_cvt_u32_f32_e32 v1, v1
	s_delay_alu instid0(VALU_DEP_1) | instskip(NEXT) | instid1(VALU_DEP_1)
	v_readfirstlane_b32 s2, v1
	s_mul_i32 s3, s3, s2
	s_delay_alu instid0(SALU_CYCLE_1) | instskip(NEXT) | instid1(SALU_CYCLE_1)
	s_mul_hi_u32 s3, s2, s3
	s_add_i32 s2, s2, s3
	s_delay_alu instid0(SALU_CYCLE_1) | instskip(NEXT) | instid1(SALU_CYCLE_1)
	s_mul_hi_u32 s2, s11, s2
	s_mul_i32 s3, s2, s20
	s_delay_alu instid0(SALU_CYCLE_1)
	s_sub_i32 s3, s11, s3
	s_add_i32 s11, s2, 1
	s_sub_i32 s12, s3, s20
	s_cmp_ge_u32 s3, s20
	s_cselect_b32 s2, s11, s2
	s_cselect_b32 s3, s12, s3
	s_add_i32 s11, s2, 1
	s_cmp_ge_u32 s3, s20
	s_cselect_b32 s18, s11, s2
.LBB48_6:
	s_delay_alu instid0(SALU_CYCLE_1) | instskip(SKIP_3) | instid1(SALU_CYCLE_1)
	s_cmp_eq_u32 s16, s18
	s_mul_hi_u32 s2, s16, s8
	s_cselect_b32 s3, -1, 0
	s_add_i32 s2, s2, s16
	s_lshr_b32 s11, s2, s9
	s_delay_alu instid0(SALU_CYCLE_1) | instskip(NEXT) | instid1(SALU_CYCLE_1)
	s_mul_i32 s2, s11, s10
	s_cmp_eq_u32 s2, s16
	s_mul_hi_u32 s2, s18, s8
	s_cselect_b32 s12, -1, 0
	s_add_i32 s2, s2, s18
	s_delay_alu instid0(SALU_CYCLE_1) | instskip(NEXT) | instid1(SALU_CYCLE_1)
	s_lshr_b32 s2, s2, s9
	s_cmp_eq_u32 s11, s2
	s_mul_i32 s2, s2, s10
	s_cselect_b32 s17, -1, 0
	s_cmp_lg_u32 s2, s18
	s_cselect_b32 s2, -1, 0
	s_or_b32 s3, s3, s12
	s_and_b32 s2, s17, s2
	s_delay_alu instid0(SALU_CYCLE_1) | instskip(NEXT) | instid1(SALU_CYCLE_1)
	s_or_b32 s2, s3, s2
	s_and_b32 vcc_lo, exec_lo, s2
	s_cbranch_vccnz .LBB48_24
; %bb.7:
	s_load_b256 s[24:31], s[0:1], 0x20
	s_waitcnt lgkmcnt(0)
	s_mul_hi_u32 s2, s16, s24
	s_delay_alu instid0(SALU_CYCLE_1) | instskip(NEXT) | instid1(SALU_CYCLE_1)
	s_add_i32 s2, s2, s16
	s_lshr_b32 s17, s2, s25
	s_load_b32 s2, s[0:1], 0x40
	s_mul_i32 s3, s17, s26
	s_delay_alu instid0(SALU_CYCLE_1) | instskip(NEXT) | instid1(SALU_CYCLE_1)
	s_sub_i32 s3, s16, s3
	s_mul_hi_u32 s12, s3, s27
	s_delay_alu instid0(SALU_CYCLE_1) | instskip(NEXT) | instid1(SALU_CYCLE_1)
	s_add_i32 s12, s3, s12
	s_lshr_b32 s21, s12, s28
	s_delay_alu instid0(SALU_CYCLE_1) | instskip(NEXT) | instid1(SALU_CYCLE_1)
	s_mul_i32 s12, s21, s29
	s_sub_i32 s3, s3, s12
	s_delay_alu instid0(SALU_CYCLE_1) | instskip(NEXT) | instid1(SALU_CYCLE_1)
	s_mul_hi_u32 s12, s3, s30
	s_add_i32 s12, s3, s12
	s_delay_alu instid0(SALU_CYCLE_1)
	s_lshr_b32 s12, s12, s31
	s_waitcnt lgkmcnt(0)
	s_mul_i32 s2, s12, s2
	s_lshl_b32 s23, s12, 1
	s_sub_i32 s2, s3, s2
	s_mov_b32 s12, 0
	s_mul_hi_u32 s3, s2, s8
	s_delay_alu instid0(SALU_CYCLE_1) | instskip(NEXT) | instid1(SALU_CYCLE_1)
	s_add_i32 s2, s2, s3
	s_lshr_b32 s22, s2, s9
	s_delay_alu instid0(SALU_CYCLE_1) | instskip(NEXT) | instid1(SALU_CYCLE_1)
	s_lshl_b32 s2, s22, 1
	s_add_i32 s2, s2, s14
	s_delay_alu instid0(SALU_CYCLE_1) | instskip(SKIP_2) | instid1(SALU_CYCLE_1)
	s_cmp_lt_i32 s2, s4
	s_cselect_b32 s2, -1, 0
	s_add_i32 s3, s23, s15
	s_cmp_lt_i32 s3, s6
	s_cselect_b32 s3, -1, 0
	s_delay_alu instid0(SALU_CYCLE_1) | instskip(NEXT) | instid1(SALU_CYCLE_1)
	s_and_b32 s2, s2, s3
	s_and_not1_b32 vcc_lo, exec_lo, s2
	s_cbranch_vccnz .LBB48_24
; %bb.8:
	s_load_b128 s[0:3], s[0:1], 0x0
	s_lshl_b32 s18, s20, 4
	s_mov_b32 s19, s12
	s_lshl_b32 s24, s14, 1
	s_lshl_b64 s[18:19], s[18:19], 2
	s_mul_i32 s4, s17, s4
	s_add_i32 s17, s24, s15
	s_mul_i32 s21, s21, s6
	v_cvt_f32_ubyte0_e32 v4, 0
	v_cvt_f32_u32_e32 v5, s20
	s_waitcnt lgkmcnt(0)
	s_add_u32 s18, s2, s18
	s_addc_u32 s19, s3, s19
	s_add_i32 s4, s4, s14
	s_delay_alu instid0(SALU_CYCLE_1) | instskip(SKIP_4) | instid1(SALU_CYCLE_1)
	s_mul_i32 s4, s4, s5
	s_mul_i32 s5, s5, s22
	s_add_i32 s4, s4, s15
	s_lshl_b32 s5, s5, 7
	s_add_i32 s4, s4, s21
	s_add_i32 s4, s4, s23
	s_delay_alu instid0(SALU_CYCLE_1) | instskip(NEXT) | instid1(SALU_CYCLE_1)
	s_lshl_b32 s4, s4, 6
	s_add_i32 s5, s5, s4
	s_delay_alu instid0(SALU_CYCLE_1) | instskip(SKIP_1) | instid1(VALU_DEP_2)
	v_or_b32_e32 v1, s5, v0
	v_lshl_or_b32 v0, s17, 6, v0
	v_ashrrev_i32_e32 v2, 31, v1
	s_delay_alu instid0(VALU_DEP_1) | instskip(NEXT) | instid1(VALU_DEP_1)
	v_lshlrev_b64 v[1:2], 2, v[1:2]
	v_add_co_u32 v1, vcc_lo, s0, v1
	s_delay_alu instid0(VALU_DEP_2) | instskip(SKIP_1) | instid1(SALU_CYCLE_1)
	v_add_co_ci_u32_e32 v2, vcc_lo, s1, v2, vcc_lo
	s_lshl_b32 s0, s13, 2
	s_add_i32 s0, s17, s0
	global_load_b32 v3, v[1:2], off
	s_ashr_i32 s1, s0, 31
	s_delay_alu instid0(SALU_CYCLE_1) | instskip(NEXT) | instid1(SALU_CYCLE_1)
	s_lshl_b64 s[0:1], s[0:1], 3
	s_add_u32 s0, s2, s0
	s_addc_u32 s1, s3, s1
	s_add_i32 s14, s13, -1
	s_load_b64 s[0:1], s[0:1], 0x0
	v_fmac_f32_e32 v5, 0x4f800000, v4
	s_sub_i32 s6, 0, s20
	s_waitcnt lgkmcnt(0)
	v_mov_b32_e32 v8, s0
	s_delay_alu instid0(VALU_DEP_2) | instskip(SKIP_2) | instid1(VALU_DEP_2)
	v_rcp_f32_e32 v4, v5
	v_cvt_f32_u32_e32 v5, s20
	v_mov_b32_e32 v7, s1
	v_rcp_iflag_f32_e32 v5, v5
	s_waitcnt_depctr 0xfff
	v_mul_f32_e32 v4, 0x5f7ffffc, v4
	s_delay_alu instid0(VALU_DEP_1) | instskip(SKIP_1) | instid1(VALU_DEP_2)
	v_mul_f32_e32 v6, 0x2f800000, v4
	v_mul_f32_e32 v9, 0x4f7ffffe, v5
	v_trunc_f32_e32 v6, v6
	s_delay_alu instid0(VALU_DEP_1) | instskip(SKIP_1) | instid1(VALU_DEP_4)
	v_fmac_f32_e32 v4, 0xcf800000, v6
	v_cvt_u32_f32_e32 v5, v6
	v_cvt_u32_f32_e32 v6, v9
	s_delay_alu instid0(VALU_DEP_3)
	v_cvt_u32_f32_e32 v4, v4
.LBB48_9:                               ; =>This Inner Loop Header: Depth=1
	s_mul_hi_i32 s13, s14, s7
	s_mul_i32 s4, s14, s7
	s_cmp_lg_u64 s[12:13], 0
	s_mov_b32 s5, -1
                                        ; implicit-def: $sgpr0_sgpr1
	s_cbranch_scc0 .LBB48_11
; %bb.10:                               ;   in Loop: Header=BB48_9 Depth=1
	v_readfirstlane_b32 s0, v4
	v_readfirstlane_b32 s1, v5
	s_sub_u32 s5, 0, s20
	s_subb_u32 s15, 0, 0
	s_delay_alu instid0(VALU_DEP_2) | instskip(NEXT) | instid1(VALU_DEP_1)
	s_mul_hi_u32 s21, s5, s0
	s_mul_i32 s22, s5, s1
	s_mul_i32 s23, s15, s0
	s_add_i32 s21, s21, s22
	s_mul_i32 s22, s5, s0
	s_add_i32 s21, s21, s23
	s_mul_hi_u32 s23, s0, s22
	s_mul_i32 s24, s0, s21
	s_mul_hi_u32 s0, s0, s21
	s_add_u32 s23, s23, s24
	s_mul_i32 s25, s1, s22
	s_addc_u32 s0, 0, s0
	s_mul_hi_u32 s22, s1, s22
	s_mul_hi_u32 s24, s1, s21
	s_add_u32 s23, s23, s25
	s_addc_u32 s0, s0, s22
	s_mul_i32 s21, s1, s21
	s_addc_u32 s22, s24, 0
	s_add_u32 s0, s0, s21
	s_addc_u32 s21, 0, s22
	v_add_co_u32 v9, s0, v4, s0
	s_delay_alu instid0(VALU_DEP_1) | instskip(SKIP_1) | instid1(VALU_DEP_1)
	s_cmp_lg_u32 s0, 0
	s_addc_u32 s1, s1, s21
	v_readfirstlane_b32 s0, v9
	s_mul_i32 s21, s5, s1
	s_delay_alu instid0(VALU_DEP_1)
	s_mul_hi_u32 s22, s5, s0
	s_mul_i32 s15, s15, s0
	s_add_i32 s21, s22, s21
	s_mul_i32 s5, s5, s0
	s_add_i32 s21, s21, s15
	s_mul_hi_u32 s15, s1, s5
	s_mul_i32 s23, s1, s5
	s_mul_i32 s24, s0, s21
	s_mul_hi_u32 s5, s0, s5
	s_mul_hi_u32 s0, s0, s21
	s_add_u32 s5, s5, s24
	s_addc_u32 s0, 0, s0
	s_mul_hi_u32 s22, s1, s21
	s_add_u32 s5, s5, s23
	s_addc_u32 s0, s0, s15
	s_mul_i32 s5, s1, s21
	s_addc_u32 s15, s22, 0
	s_add_u32 s0, s0, s5
	s_addc_u32 s5, 0, s15
	v_add_co_u32 v9, s0, v9, s0
	s_delay_alu instid0(VALU_DEP_1) | instskip(SKIP_2) | instid1(SALU_CYCLE_1)
	s_cmp_lg_u32 s0, 0
	s_addc_u32 s5, s1, s5
	s_ashr_i32 s0, s13, 31
	s_add_u32 s22, s4, s0
	s_addc_u32 s23, s13, s0
	v_readfirstlane_b32 s13, v9
	s_mov_b32 s1, s0
	s_delay_alu instid0(SALU_CYCLE_1) | instskip(NEXT) | instid1(SALU_CYCLE_1)
	s_xor_b64 s[22:23], s[22:23], s[0:1]
	s_mul_i32 s15, s22, s5
	s_delay_alu instid0(VALU_DEP_1)
	s_mul_hi_u32 s21, s22, s13
	s_mul_hi_u32 s24, s22, s5
	s_add_u32 s15, s21, s15
	s_mul_i32 s25, s23, s13
	s_addc_u32 s21, 0, s24
	s_mul_hi_u32 s13, s23, s13
	s_mul_hi_u32 s24, s23, s5
	s_add_u32 s15, s15, s25
	s_addc_u32 s13, s21, s13
	s_mul_i32 s5, s23, s5
	s_addc_u32 s15, s24, 0
	s_add_u32 s5, s13, s5
	s_addc_u32 s13, 0, s15
	s_mul_i32 s21, s20, s5
	s_add_u32 s15, s5, 1
	v_sub_co_u32 v9, s21, s22, s21
	s_addc_u32 s22, s13, 0
	s_mul_i32 s25, s20, s13
	s_mul_hi_u32 s27, s20, s5
	s_delay_alu instid0(VALU_DEP_1)
	v_sub_co_u32 v10, s26, v9, s20
	s_add_u32 s24, s5, 2
	s_addc_u32 s28, s13, 0
	s_add_i32 s27, s27, s25
	s_cmp_lg_u32 s21, 0
	v_readfirstlane_b32 s21, v10
	s_subb_u32 s23, s23, s27
	s_cmp_lg_u32 s26, 0
	s_subb_u32 s25, s23, 0
	s_delay_alu instid0(VALU_DEP_1) | instskip(SKIP_4) | instid1(SALU_CYCLE_1)
	s_cmp_ge_u32 s21, s20
	s_cselect_b32 s21, -1, 0
	s_cmp_eq_u32 s25, 0
	v_readfirstlane_b32 s25, v9
	s_cselect_b32 s21, s21, -1
	s_cmp_lg_u32 s21, 0
	s_cselect_b32 s15, s24, s15
	s_cselect_b32 s21, s28, s22
	s_cmp_ge_u32 s25, s20
	s_cselect_b32 s22, -1, 0
	s_cmp_eq_u32 s23, 0
	s_cselect_b32 s22, s22, -1
	s_delay_alu instid0(SALU_CYCLE_1) | instskip(SKIP_4) | instid1(SALU_CYCLE_1)
	s_cmp_lg_u32 s22, 0
	s_cselect_b32 s23, s21, s13
	s_cselect_b32 s22, s15, s5
	s_mov_b32 s5, 0
	s_xor_b64 s[22:23], s[22:23], s[0:1]
	s_sub_u32 s0, s22, s0
.LBB48_11:                              ;   in Loop: Header=BB48_9 Depth=1
	s_and_not1_b32 vcc_lo, exec_lo, s5
	s_cbranch_vccnz .LBB48_13
; %bb.12:                               ;   in Loop: Header=BB48_9 Depth=1
	v_readfirstlane_b32 s0, v6
	s_delay_alu instid0(VALU_DEP_1) | instskip(NEXT) | instid1(SALU_CYCLE_1)
	s_mul_i32 s1, s6, s0
	s_mul_hi_u32 s1, s0, s1
	s_delay_alu instid0(SALU_CYCLE_1) | instskip(NEXT) | instid1(SALU_CYCLE_1)
	s_add_i32 s0, s0, s1
	s_mul_hi_u32 s0, s4, s0
	s_delay_alu instid0(SALU_CYCLE_1) | instskip(NEXT) | instid1(SALU_CYCLE_1)
	s_mul_i32 s1, s0, s20
	s_sub_i32 s1, s4, s1
	s_add_i32 s4, s0, 1
	s_sub_i32 s5, s1, s20
	s_cmp_ge_u32 s1, s20
	s_cselect_b32 s0, s4, s0
	s_cselect_b32 s1, s5, s1
	s_add_i32 s4, s0, 1
	s_cmp_ge_u32 s1, s20
	s_cselect_b32 s0, s4, s0
.LBB48_13:                              ;   in Loop: Header=BB48_9 Depth=1
	s_delay_alu instid0(SALU_CYCLE_1)
	s_cmp_lg_u32 s16, s0
	s_cbranch_scc0 .LBB48_17
; %bb.14:                               ;   in Loop: Header=BB48_9 Depth=1
	s_add_i32 s1, s14, s20
	s_mov_b32 s5, s12
	s_lshl_b32 s1, s1, 2
	s_mov_b32 s15, s16
	s_add_i32 s4, s1, s17
	s_mul_hi_u32 s1, s0, s8
	s_lshl_b64 s[4:5], s[4:5], 3
	s_delay_alu instid0(SALU_CYCLE_1) | instskip(SKIP_2) | instid1(SALU_CYCLE_1)
	s_add_u32 s4, s2, s4
	s_addc_u32 s5, s3, s5
	s_add_i32 s1, s1, s0
	s_lshr_b32 s1, s1, s9
	s_delay_alu instid0(SALU_CYCLE_1) | instskip(NEXT) | instid1(SALU_CYCLE_1)
	s_mul_i32 s13, s1, s10
	s_cmp_eq_u32 s13, s0
	s_cselect_b32 s13, -1, 0
	s_cmp_lt_u32 s1, s11
	s_cselect_b32 s1, -1, 0
	s_delay_alu instid0(SALU_CYCLE_1)
	s_or_b32 s1, s1, s13
	s_mov_b32 s13, -1
	s_and_b32 vcc_lo, exec_lo, s1
	s_mov_b32 s1, s14
	s_cbranch_vccnz .LBB48_16
; %bb.15:                               ;   in Loop: Header=BB48_9 Depth=1
	s_add_i32 s1, s14, -1
	s_mov_b32 s13, 0
	s_mov_b32 s15, s0
.LBB48_16:                              ;   in Loop: Header=BB48_9 Depth=1
	v_lshl_add_u32 v9, s14, 8, v0
	s_load_b64 s[4:5], s[4:5], 0x0
	s_delay_alu instid0(VALU_DEP_1) | instskip(NEXT) | instid1(VALU_DEP_1)
	v_ashrrev_i32_e32 v10, 31, v9
	v_lshlrev_b64 v[9:10], 2, v[9:10]
	s_delay_alu instid0(VALU_DEP_1) | instskip(NEXT) | instid1(VALU_DEP_2)
	v_add_co_u32 v9, vcc_lo, s18, v9
	v_add_co_ci_u32_e32 v10, vcc_lo, s19, v10, vcc_lo
	s_waitcnt lgkmcnt(0)
	v_max_f32_e64 v11, s4, s4
	global_load_b32 v10, v[9:10], off
	v_max_f32_e32 v9, v8, v8
	s_delay_alu instid0(VALU_DEP_1) | instskip(NEXT) | instid1(VALU_DEP_1)
	v_max_f32_e32 v9, v9, v11
	v_sub_f32_e32 v12, v8, v9
	s_delay_alu instid0(VALU_DEP_1) | instskip(NEXT) | instid1(VALU_DEP_1)
	v_dual_mul_f32 v14, 0x3fb8aa3b, v12 :: v_dual_sub_f32 v11, s4, v9
	v_rndne_f32_e32 v18, v14
	s_delay_alu instid0(VALU_DEP_2) | instskip(SKIP_2) | instid1(VALU_DEP_4)
	v_mul_f32_e32 v13, 0x3fb8aa3b, v11
	v_fma_f32 v17, 0x3fb8aa3b, v12, -v14
	v_cmp_ngt_f32_e32 vcc_lo, 0xc2ce8ed0, v11
	v_sub_f32_e32 v14, v14, v18
	s_delay_alu instid0(VALU_DEP_4) | instskip(SKIP_2) | instid1(VALU_DEP_3)
	v_fma_f32 v15, 0x3fb8aa3b, v11, -v13
	v_rndne_f32_e32 v16, v13
	v_fmac_f32_e32 v17, 0x32a5705f, v12
	v_fmac_f32_e32 v15, 0x32a5705f, v11
	s_delay_alu instid0(VALU_DEP_2) | instskip(NEXT) | instid1(VALU_DEP_1)
	v_dual_sub_f32 v13, v13, v16 :: v_dual_add_f32 v14, v14, v17
	v_add_f32_e32 v13, v13, v15
	s_delay_alu instid0(VALU_DEP_2) | instskip(SKIP_2) | instid1(VALU_DEP_3)
	v_exp_f32_e32 v14, v14
	v_cvt_i32_f32_e32 v15, v16
	v_cvt_i32_f32_e32 v16, v18
	v_exp_f32_e32 v13, v13
	s_waitcnt_depctr 0xfff
	v_ldexp_f32 v14, v14, v16
	v_ldexp_f32 v13, v13, v15
	s_delay_alu instid0(VALU_DEP_1) | instskip(SKIP_1) | instid1(VALU_DEP_4)
	v_cndmask_b32_e32 v13, 0, v13, vcc_lo
	v_cmp_ngt_f32_e32 vcc_lo, 0xc2ce8ed0, v12
	v_cndmask_b32_e32 v14, 0, v14, vcc_lo
	v_cmp_nlt_f32_e32 vcc_lo, 0x42b17218, v11
	s_delay_alu instid0(VALU_DEP_4) | instskip(SKIP_1) | instid1(VALU_DEP_4)
	v_cndmask_b32_e32 v13, 0x7f800000, v13, vcc_lo
	v_cmp_nlt_f32_e32 vcc_lo, 0x42b17218, v12
	v_cndmask_b32_e32 v14, 0x7f800000, v14, vcc_lo
	v_cmp_le_f32_e32 vcc_lo, 0xc1a00000, v11
	s_delay_alu instid0(VALU_DEP_4) | instskip(SKIP_1) | instid1(VALU_DEP_4)
	v_cndmask_b32_e32 v11, 0, v13, vcc_lo
	v_cmp_le_f32_e32 vcc_lo, 0xc1a00000, v12
	v_cndmask_b32_e32 v12, 0, v14, vcc_lo
	s_waitcnt vmcnt(0)
	s_delay_alu instid0(VALU_DEP_3) | instskip(NEXT) | instid1(VALU_DEP_1)
	v_mul_f32_e32 v10, v10, v11
	v_dual_mul_f32 v11, s5, v11 :: v_dual_fmac_f32 v10, v3, v12
	s_delay_alu instid0(VALU_DEP_1)
	v_fmac_f32_e32 v11, v7, v12
	s_cbranch_execz .LBB48_18
	s_branch .LBB48_19
.LBB48_17:                              ;   in Loop: Header=BB48_9 Depth=1
                                        ; implicit-def: $sgpr13
                                        ; implicit-def: $vgpr10
                                        ; implicit-def: $vgpr9
                                        ; implicit-def: $vgpr11
                                        ; implicit-def: $sgpr1
                                        ; implicit-def: $sgpr15
.LBB48_18:                              ;   in Loop: Header=BB48_9 Depth=1
	v_mov_b32_e32 v11, v7
	s_waitcnt vmcnt(0)
	v_dual_mov_b32 v9, v8 :: v_dual_mov_b32 v10, v3
	s_add_i32 s1, s14, -1
	s_mov_b32 s13, 0
	s_mov_b32 s15, s16
.LBB48_19:                              ;   in Loop: Header=BB48_9 Depth=1
	s_and_not1_b32 vcc_lo, exec_lo, s13
	s_cbranch_vccz .LBB48_23
; %bb.20:                               ;   in Loop: Header=BB48_9 Depth=1
	v_dual_mov_b32 v7, v11 :: v_dual_mov_b32 v8, v9
	s_waitcnt vmcnt(0)
	v_mov_b32_e32 v3, v10
	s_mov_b32 s16, s15
	s_mov_b32 s14, s1
	s_branch .LBB48_9
.LBB48_21:
                                        ; implicit-def: $sgpr16_sgpr17
	s_load_b128 s[8:11], s[0:1], 0x44
	s_branch .LBB48_2
.LBB48_22:
                                        ; implicit-def: $sgpr18_sgpr19
	s_branch .LBB48_5
.LBB48_23:
	v_div_scale_f32 v0, null, v11, v11, v10
	s_waitcnt vmcnt(0)
	s_delay_alu instid0(VALU_DEP_1) | instskip(SKIP_2) | instid1(VALU_DEP_1)
	v_rcp_f32_e32 v3, v0
	s_waitcnt_depctr 0xfff
	v_fma_f32 v4, -v0, v3, 1.0
	v_fmac_f32_e32 v3, v4, v3
	v_div_scale_f32 v4, vcc_lo, v10, v11, v10
	s_delay_alu instid0(VALU_DEP_1) | instskip(NEXT) | instid1(VALU_DEP_1)
	v_mul_f32_e32 v5, v4, v3
	v_fma_f32 v6, -v0, v5, v4
	s_delay_alu instid0(VALU_DEP_1) | instskip(NEXT) | instid1(VALU_DEP_1)
	v_fmac_f32_e32 v5, v6, v3
	v_fma_f32 v0, -v0, v5, v4
	s_delay_alu instid0(VALU_DEP_1) | instskip(NEXT) | instid1(VALU_DEP_1)
	v_div_fmas_f32 v0, v0, v3, v5
	v_div_fixup_f32 v0, v0, v11, v10
	global_store_b32 v[1:2], v0, off
.LBB48_24:
	s_nop 0
	s_sendmsg sendmsg(MSG_DEALLOC_VGPRS)
	s_endpgm
	.section	.rodata,"a",@progbits
	.p2align	6, 0x0
	.amdhsa_kernel _ZL33flash_attn_stream_k_fixup_generalILi64ELi2ELi2EEvPfPK15HIP_vector_typeIfLj2EEiiiiS1_IjLj3EES5_S5_S5_
		.amdhsa_group_segment_fixed_size 0
		.amdhsa_private_segment_fixed_size 0
		.amdhsa_kernarg_size 336
		.amdhsa_user_sgpr_count 13
		.amdhsa_user_sgpr_dispatch_ptr 0
		.amdhsa_user_sgpr_queue_ptr 0
		.amdhsa_user_sgpr_kernarg_segment_ptr 1
		.amdhsa_user_sgpr_dispatch_id 0
		.amdhsa_user_sgpr_private_segment_size 0
		.amdhsa_wavefront_size32 1
		.amdhsa_uses_dynamic_stack 0
		.amdhsa_enable_private_segment 0
		.amdhsa_system_sgpr_workgroup_id_x 1
		.amdhsa_system_sgpr_workgroup_id_y 1
		.amdhsa_system_sgpr_workgroup_id_z 1
		.amdhsa_system_sgpr_workgroup_info 0
		.amdhsa_system_vgpr_workitem_id 0
		.amdhsa_next_free_vgpr 19
		.amdhsa_next_free_sgpr 32
		.amdhsa_reserve_vcc 1
		.amdhsa_float_round_mode_32 0
		.amdhsa_float_round_mode_16_64 0
		.amdhsa_float_denorm_mode_32 3
		.amdhsa_float_denorm_mode_16_64 3
		.amdhsa_dx10_clamp 1
		.amdhsa_ieee_mode 1
		.amdhsa_fp16_overflow 0
		.amdhsa_workgroup_processor_mode 1
		.amdhsa_memory_ordered 1
		.amdhsa_forward_progress 0
		.amdhsa_shared_vgpr_count 0
		.amdhsa_exception_fp_ieee_invalid_op 0
		.amdhsa_exception_fp_denorm_src 0
		.amdhsa_exception_fp_ieee_div_zero 0
		.amdhsa_exception_fp_ieee_overflow 0
		.amdhsa_exception_fp_ieee_underflow 0
		.amdhsa_exception_fp_ieee_inexact 0
		.amdhsa_exception_int_div_zero 0
	.end_amdhsa_kernel
	.section	.text._ZL33flash_attn_stream_k_fixup_generalILi64ELi2ELi2EEvPfPK15HIP_vector_typeIfLj2EEiiiiS1_IjLj3EES5_S5_S5_,"axG",@progbits,_ZL33flash_attn_stream_k_fixup_generalILi64ELi2ELi2EEvPfPK15HIP_vector_typeIfLj2EEiiiiS1_IjLj3EES5_S5_S5_,comdat
.Lfunc_end48:
	.size	_ZL33flash_attn_stream_k_fixup_generalILi64ELi2ELi2EEvPfPK15HIP_vector_typeIfLj2EEiiiiS1_IjLj3EES5_S5_S5_, .Lfunc_end48-_ZL33flash_attn_stream_k_fixup_generalILi64ELi2ELi2EEvPfPK15HIP_vector_typeIfLj2EEiiiiS1_IjLj3EES5_S5_S5_
                                        ; -- End function
	.section	.AMDGPU.csdata,"",@progbits
; Kernel info:
; codeLenInByte = 3224
; NumSgprs: 34
; NumVgprs: 19
; ScratchSize: 0
; MemoryBound: 0
; FloatMode: 240
; IeeeMode: 1
; LDSByteSize: 0 bytes/workgroup (compile time only)
; SGPRBlocks: 4
; VGPRBlocks: 2
; NumSGPRsForWavesPerEU: 34
; NumVGPRsForWavesPerEU: 19
; Occupancy: 16
; WaveLimiterHint : 0
; COMPUTE_PGM_RSRC2:SCRATCH_EN: 0
; COMPUTE_PGM_RSRC2:USER_SGPR: 13
; COMPUTE_PGM_RSRC2:TRAP_HANDLER: 0
; COMPUTE_PGM_RSRC2:TGID_X_EN: 1
; COMPUTE_PGM_RSRC2:TGID_Y_EN: 1
; COMPUTE_PGM_RSRC2:TGID_Z_EN: 1
; COMPUTE_PGM_RSRC2:TIDIG_COMP_CNT: 0
	.section	.text._ZL15flash_attn_tileILi64ELi64ELi1ELi2ELb0EEvPKcS1_S1_S1_S1_PKiPfP15HIP_vector_typeIfLj2EEffffjfiS5_IjLj3EEiiiiiiiiiiiliiliiiiil,"axG",@progbits,_ZL15flash_attn_tileILi64ELi64ELi1ELi2ELb0EEvPKcS1_S1_S1_S1_PKiPfP15HIP_vector_typeIfLj2EEffffjfiS5_IjLj3EEiiiiiiiiiiiliiliiiiil,comdat
	.globl	_ZL15flash_attn_tileILi64ELi64ELi1ELi2ELb0EEvPKcS1_S1_S1_S1_PKiPfP15HIP_vector_typeIfLj2EEffffjfiS5_IjLj3EEiiiiiiiiiiiliiliiiiil ; -- Begin function _ZL15flash_attn_tileILi64ELi64ELi1ELi2ELb0EEvPKcS1_S1_S1_S1_PKiPfP15HIP_vector_typeIfLj2EEffffjfiS5_IjLj3EEiiiiiiiiiiiliiliiiiil
	.p2align	8
	.type	_ZL15flash_attn_tileILi64ELi64ELi1ELi2ELb0EEvPKcS1_S1_S1_S1_PKiPfP15HIP_vector_typeIfLj2EEffffjfiS5_IjLj3EEiiiiiiiiiiiliiliiiiil,@function
_ZL15flash_attn_tileILi64ELi64ELi1ELi2ELb0EEvPKcS1_S1_S1_S1_PKiPfP15HIP_vector_typeIfLj2EEffffjfiS5_IjLj3EEiiiiiiiiiiiliiliiiiil: ; @_ZL15flash_attn_tileILi64ELi64ELi1ELi2ELb0EEvPKcS1_S1_S1_S1_PKiPfP15HIP_vector_typeIfLj2EEffffjfiS5_IjLj3EEiiiiiiiiiiiliiliiiiil
; %bb.0:
	s_clause 0x1
	s_load_b128 s[4:7], s[0:1], 0x5c
	s_load_b64 s[34:35], s[0:1], 0x80
	s_mov_b64 s[36:37], 0
	s_waitcnt lgkmcnt(0)
	s_lshr_b32 s2, s7, 31
	s_delay_alu instid0(SALU_CYCLE_1) | instskip(NEXT) | instid1(SALU_CYCLE_1)
	s_add_i32 s2, s7, s2
	s_ashr_i32 s2, s2, 1
	s_delay_alu instid0(SALU_CYCLE_1) | instskip(SKIP_1) | instid1(VALU_DEP_1)
	v_cvt_f32_u32_e32 v1, s2
	s_sub_i32 s8, 0, s2
	v_rcp_iflag_f32_e32 v1, v1
	s_waitcnt_depctr 0xfff
	v_mul_f32_e32 v1, 0x4f7ffffe, v1
	s_delay_alu instid0(VALU_DEP_1) | instskip(NEXT) | instid1(VALU_DEP_1)
	v_cvt_u32_f32_e32 v1, v1
	v_readfirstlane_b32 s3, v1
	s_delay_alu instid0(VALU_DEP_1) | instskip(NEXT) | instid1(SALU_CYCLE_1)
	s_mul_i32 s8, s8, s3
	s_mul_hi_u32 s8, s3, s8
	s_delay_alu instid0(SALU_CYCLE_1) | instskip(NEXT) | instid1(SALU_CYCLE_1)
	s_add_i32 s3, s3, s8
	s_mul_hi_u32 s3, s15, s3
	s_delay_alu instid0(SALU_CYCLE_1) | instskip(SKIP_2) | instid1(SALU_CYCLE_1)
	s_mul_i32 s8, s3, s2
	s_add_i32 s9, s3, 1
	s_sub_i32 s8, s15, s8
	s_sub_i32 s10, s8, s2
	s_cmp_ge_u32 s8, s2
	s_cselect_b32 s3, s9, s3
	s_cselect_b32 s8, s10, s8
	s_add_i32 s9, s3, 1
	s_cmp_ge_u32 s8, s2
	s_cselect_b32 s12, s9, s3
	s_abs_i32 s2, s35
	s_abs_i32 s11, s7
	v_cvt_f32_u32_e32 v1, s2
	s_sub_i32 s8, 0, s2
	s_lshl_b32 s9, s15, 1
	s_mul_i32 s10, s12, s7
	s_delay_alu instid0(VALU_DEP_1) | instskip(SKIP_3) | instid1(VALU_DEP_1)
	v_rcp_iflag_f32_e32 v1, v1
	s_sub_i32 s15, s9, s10
	s_waitcnt_depctr 0xfff
	v_mul_f32_e32 v1, 0x4f7ffffe, v1
	v_cvt_u32_f32_e32 v1, v1
	s_delay_alu instid0(VALU_DEP_1) | instskip(NEXT) | instid1(VALU_DEP_1)
	v_readfirstlane_b32 s3, v1
	s_mul_i32 s8, s8, s3
	s_delay_alu instid0(SALU_CYCLE_1) | instskip(NEXT) | instid1(SALU_CYCLE_1)
	s_mul_hi_u32 s8, s3, s8
	s_add_i32 s3, s3, s8
	s_xor_b32 s8, s7, s35
	s_mul_hi_u32 s3, s11, s3
	s_ashr_i32 s8, s8, 31
	s_mul_i32 s9, s3, s2
	s_add_i32 s10, s3, 1
	s_sub_i32 s9, s11, s9
	s_delay_alu instid0(SALU_CYCLE_1)
	s_sub_i32 s11, s9, s2
	s_cmp_ge_u32 s9, s2
	s_cselect_b32 s3, s10, s3
	s_cselect_b32 s9, s11, s9
	s_add_i32 s10, s3, 1
	s_cmp_ge_u32 s9, s2
	s_cselect_b32 s2, s10, s3
	s_delay_alu instid0(SALU_CYCLE_1) | instskip(NEXT) | instid1(SALU_CYCLE_1)
	s_xor_b32 s2, s2, s8
	s_sub_i32 s35, s2, s8
	s_clause 0x1
	s_load_b512 s[16:31], s[0:1], 0x0
	s_load_b64 s[2:3], s[0:1], 0xb8
	s_abs_i32 s33, s35
	s_delay_alu instid0(SALU_CYCLE_1) | instskip(NEXT) | instid1(VALU_DEP_1)
	v_cvt_f32_u32_e32 v1, s33
	v_rcp_iflag_f32_e32 v1, v1
	s_waitcnt_depctr 0xfff
	v_mul_f32_e32 v1, 0x4f7ffffe, v1
	s_waitcnt lgkmcnt(0)
	s_cmp_eq_u64 s[22:23], 0
	s_delay_alu instid0(VALU_DEP_1) | instskip(NEXT) | instid1(VALU_DEP_1)
	v_cvt_u32_f32_e32 v1, v1
	v_readfirstlane_b32 s38, v1
	s_cbranch_scc1 .LBB49_2
; %bb.1:
	s_abs_i32 s2, s2
	s_abs_i32 s10, s12
	v_cvt_f32_u32_e32 v1, s2
	s_sub_i32 s9, 0, s2
	s_delay_alu instid0(VALU_DEP_1) | instskip(SKIP_2) | instid1(VALU_DEP_1)
	v_rcp_iflag_f32_e32 v1, v1
	s_waitcnt_depctr 0xfff
	v_mul_f32_e32 v1, 0x4f7ffffe, v1
	v_cvt_u32_f32_e32 v1, v1
	s_delay_alu instid0(VALU_DEP_1) | instskip(NEXT) | instid1(VALU_DEP_1)
	v_readfirstlane_b32 s8, v1
	s_mul_i32 s9, s9, s8
	s_delay_alu instid0(SALU_CYCLE_1) | instskip(NEXT) | instid1(SALU_CYCLE_1)
	s_mul_hi_u32 s9, s8, s9
	s_add_i32 s11, s8, s9
	s_load_b64 s[8:9], s[0:1], 0xc8
	s_mul_hi_u32 s11, s10, s11
	s_delay_alu instid0(SALU_CYCLE_1) | instskip(NEXT) | instid1(SALU_CYCLE_1)
	s_mul_i32 s11, s11, s2
	s_sub_i32 s10, s10, s11
	s_ashr_i32 s11, s12, 31
	s_sub_i32 s36, s10, s2
	s_cmp_ge_u32 s10, s2
	s_cselect_b32 s10, s36, s10
	s_delay_alu instid0(SALU_CYCLE_1) | instskip(SKIP_2) | instid1(SALU_CYCLE_1)
	s_sub_i32 s36, s10, s2
	s_cmp_ge_u32 s10, s2
	s_cselect_b32 s2, s36, s10
	s_xor_b32 s2, s2, s11
	s_delay_alu instid0(SALU_CYCLE_1)
	s_sub_i32 s2, s2, s11
	s_waitcnt lgkmcnt(0)
	s_mul_i32 s9, s2, s9
	s_mul_hi_u32 s10, s2, s8
	s_ashr_i32 s11, s2, 31
	s_add_i32 s9, s10, s9
	s_mul_i32 s11, s11, s8
	s_mul_i32 s2, s2, s8
	s_add_i32 s9, s9, s11
	s_add_u32 s36, s22, s2
	s_addc_u32 s37, s23, s9
.LBB49_2:
	v_bfe_u32 v3, v0, 10, 10
	s_load_b128 s[8:11], s[0:1], 0x70
	v_and_b32_e32 v0, 0x3ff, v0
	s_delay_alu instid0(VALU_DEP_2) | instskip(SKIP_1) | instid1(VALU_DEP_2)
	v_lshrrev_b32_e32 v1, 1, v3
	v_and_b32_e32 v20, 1, v3
	v_add_nc_u32_e32 v1, s13, v1
	s_delay_alu instid0(VALU_DEP_1) | instskip(SKIP_3) | instid1(VALU_DEP_1)
	v_mul_hi_u32 v2, s4, v1
	s_waitcnt lgkmcnt(0)
	s_mul_i32 s2, s12, s10
	s_mul_i32 s4, s15, s9
	v_add_nc_u32_e32 v2, v1, v2
	s_delay_alu instid0(VALU_DEP_1)
	v_lshrrev_b32_e32 v2, s5, v2
	s_ashr_i32 s5, s2, 31
	s_add_u32 s2, s16, s2
	s_addc_u32 s5, s17, s5
	s_ashr_i32 s10, s4, 31
	v_mul_lo_u32 v2, v2, s6
	s_add_u32 s2, s2, s4
	s_addc_u32 s4, s5, s10
	s_ashr_i32 s5, s8, 31
	s_delay_alu instid0(SALU_CYCLE_1) | instskip(SKIP_2) | instid1(VALU_DEP_2)
	v_alignbit_b32 v4, s5, s8, 2
	s_ashr_i32 s8, s9, 31
	s_lshr_b32 s5, s5, 2
	v_sub_nc_u32_e32 v5, v1, v2
	s_lshr_b32 s10, s8, 2
	s_cmp_eq_u64 s[26:27], 0
	v_mul_lo_u32 v9, s10, v20
	s_delay_alu instid0(VALU_DEP_2) | instskip(SKIP_1) | instid1(VALU_DEP_2)
	v_mad_u64_u32 v[6:7], null, v4, v5, 0
	v_alignbit_b32 v4, s8, s9, 2
	v_mov_b32_e32 v2, v7
	s_delay_alu instid0(VALU_DEP_1) | instskip(NEXT) | instid1(VALU_DEP_3)
	v_mad_u64_u32 v[7:8], null, s5, v5, v[2:3]
	v_mul_lo_u32 v8, v4, v20
	s_delay_alu instid0(VALU_DEP_2) | instskip(NEXT) | instid1(VALU_DEP_2)
	v_lshlrev_b64 v[6:7], 2, v[6:7]
	v_lshlrev_b64 v[8:9], 2, v[8:9]
	s_delay_alu instid0(VALU_DEP_1) | instskip(NEXT) | instid1(VALU_DEP_2)
	v_add_co_u32 v2, vcc_lo, s2, v8
	v_add_co_ci_u32_e32 v4, vcc_lo, s4, v9, vcc_lo
	v_lshlrev_b32_e32 v8, 3, v0
	s_delay_alu instid0(VALU_DEP_3) | instskip(NEXT) | instid1(VALU_DEP_3)
	v_add_co_u32 v2, vcc_lo, v2, v6
	v_add_co_ci_u32_e32 v4, vcc_lo, v4, v7, vcc_lo
	s_load_b32 s2, s[0:1], 0x40
	s_delay_alu instid0(VALU_DEP_2) | instskip(NEXT) | instid1(VALU_DEP_2)
	v_add_co_u32 v6, vcc_lo, v2, v8
	v_add_co_ci_u32_e32 v7, vcc_lo, 0, v4, vcc_lo
	v_lshlrev_b32_e32 v2, 5, v3
	global_load_b64 v[6:7], v[6:7], off
	v_add_lshl_u32 v2, v2, v0, 2
	s_waitcnt vmcnt(0) lgkmcnt(0)
	v_fma_mixlo_f16 v4, v6, s2, 0
	s_delay_alu instid0(VALU_DEP_1)
	v_fma_mixhi_f16 v4, v7, s2, 0
	ds_store_b32 v2, v4 offset:4608
	s_waitcnt lgkmcnt(0)
	s_barrier
	buffer_gl0_inv
	s_cbranch_scc1 .LBB49_4
; %bb.3:
	s_load_b32 s2, s[0:1], 0xd0
	s_mov_b32 s5, 0
	s_waitcnt lgkmcnt(0)
	s_mul_i32 s2, s2, s12
	s_delay_alu instid0(SALU_CYCLE_1) | instskip(NEXT) | instid1(SALU_CYCLE_1)
	s_add_i32 s4, s2, s13
	s_lshl_b64 s[4:5], s[4:5], 2
	s_delay_alu instid0(SALU_CYCLE_1)
	s_add_u32 s4, s26, s4
	s_addc_u32 s5, s27, s5
	s_load_b32 s34, s[4:5], 0x0
.LBB49_4:
	v_mbcnt_lo_u32_b32 v21, -1, 0
	s_lshl_b32 s5, s14, 5
	s_waitcnt lgkmcnt(0)
	s_cmp_lt_i32 s5, s34
	s_cbranch_scc1 .LBB49_6
; %bb.5:
	v_mbcnt_lo_u32_b32 v4, -1, 0
	v_mov_b32_e32 v23, 32
	s_mov_b32 s2, 0
	s_mov_b32 s4, 0xfeffffff
	s_delay_alu instid0(VALU_DEP_2)
	v_xor_b32_e32 v29, 16, v4
	v_xor_b32_e32 v28, 8, v4
	;; [unrolled: 1-line block ×5, first 2 shown]
	s_branch .LBB49_7
.LBB49_6:
	s_mov_b32 s2, -1
                                        ; implicit-def: $sgpr4
                                        ; implicit-def: $vgpr4
                                        ; implicit-def: $vgpr23
                                        ; implicit-def: $vgpr29
                                        ; implicit-def: $vgpr28
                                        ; implicit-def: $vgpr27
                                        ; implicit-def: $vgpr26
                                        ; implicit-def: $vgpr25
.LBB49_7:
	s_delay_alu instid0(SALU_CYCLE_1) | instskip(SKIP_2) | instid1(VALU_DEP_3)
	v_cndmask_b32_e64 v2, 0, 1, s2
	v_mov_b32_e32 v22, s2
	v_mov_b32_e32 v36, s2
	v_cmp_ne_u32_e32 vcc_lo, 1, v2
	v_mov_b32_e32 v2, s4
	s_cbranch_vccnz .LBB49_11
; %bb.8:
	s_clause 0x1
	s_load_b128 s[8:11], s[0:1], 0x98
	s_load_b64 s[16:17], s[0:1], 0x8c
	s_sub_i32 s2, 0, s33
	s_abs_i32 s4, s15
	s_mul_i32 s2, s2, s38
	s_ashr_i32 s27, s35, 31
	s_mul_hi_u32 s2, s38, s2
	s_ashr_i32 s35, s12, 31
	s_add_i32 s38, s38, s2
	s_ashr_i32 s2, s3, 1
	s_mul_hi_u32 s3, s4, s38
	s_ashr_i32 s26, s15, 31
	s_load_b64 s[22:23], s[0:1], 0xa8
	s_mul_i32 s38, s3, s33
	v_lshrrev_b32_e32 v2, 3, v0
	v_lshlrev_b32_e32 v24, 2, v0
	v_mov_b32_e32 v22, 0
	v_lshl_add_u32 v37, v3, 6, 0x1300
	v_lshlrev_b32_e32 v35, 7, v3
	v_lshl_add_u32 v2, v3, 2, v2
	s_waitcnt lgkmcnt(0)
	s_mul_i32 s9, s12, s9
	s_ashr_i32 s13, s16, 2
	s_mul_hi_u32 s16, s12, s8
	s_mul_i32 s39, s35, s8
	s_add_i32 s9, s16, s9
	s_mul_i32 s8, s12, s8
	s_ashr_i32 s10, s10, 2
	s_add_i32 s9, s9, s39
	s_add_u32 s8, s18, s8
	s_addc_u32 s9, s19, s9
	s_sub_i32 s4, s4, s38
	s_xor_b32 s16, s26, s27
	s_add_i32 s18, s3, 1
	s_sub_i32 s19, s4, s33
	s_cmp_ge_u32 s4, s33
	s_mul_i32 s35, s35, s22
	s_cselect_b32 s3, s18, s3
	s_cselect_b32 s4, s19, s4
	s_add_i32 s18, s3, 1
	s_cmp_ge_u32 s4, s33
	s_mul_i32 s4, s12, s23
	s_cselect_b32 s3, s18, s3
	s_mul_hi_u32 s18, s12, s22
	s_xor_b32 s3, s3, s16
	v_mul_lo_u32 v6, s13, v2
	s_sub_i32 s3, s3, s16
	v_mul_lo_u32 v12, s10, v2
	s_mul_i32 s16, s3, s17
	s_mul_i32 s3, s3, s11
	s_ashr_i32 s17, s16, 31
	s_add_u32 s16, s8, s16
	s_addc_u32 s17, s9, s17
	s_add_i32 s4, s18, s4
	s_mul_i32 s8, s12, s22
	s_add_i32 s4, s4, s35
	s_add_u32 s8, s20, s8
	s_addc_u32 s4, s21, s4
	s_ashr_i32 s9, s3, 31
	s_add_u32 s11, s8, s3
	s_addc_u32 s18, s4, s9
	s_lshl_b32 s3, s13, 3
	v_and_b32_e32 v23, 28, v24
	v_add_nc_u32_e32 v8, s3, v6
	v_ashrrev_i32_e32 v7, 31, v6
	v_ashrrev_i32_e32 v13, 31, v12
	v_mul_u32_u24_e32 v34, 0x90, v0
	v_lshlrev_b32_e32 v4, 2, v23
	v_add_nc_u32_e32 v10, s3, v8
	v_ashrrev_i32_e32 v9, 31, v8
	v_lshl_add_u32 v39, v0, 1, v37
	v_lshlrev_b32_e32 v43, 2, v23
	v_mad_u32_u24 v30, 0x90, v2, v4
	v_add_nc_u32_e32 v14, s3, v10
	s_lshl_b32 s3, s10, 3
	v_ashrrev_i32_e32 v11, 31, v10
	v_add_nc_u32_e32 v16, s3, v12
	v_lshl_or_b32 v38, v2, 7, v4
	v_ashrrev_i32_e32 v15, 31, v14
	v_mad_u64_u32 v[3:4], null, v5, s2, v[0:1]
	s_delay_alu instid0(VALU_DEP_4)
	v_add_nc_u32_e32 v18, s3, v16
	v_ashrrev_i32_e32 v17, 31, v16
	v_lshlrev_b64 v[4:5], 2, v[6:7]
	v_lshlrev_b64 v[6:7], 2, v[8:9]
	;; [unrolled: 1-line block ×3, first 2 shown]
	v_add_nc_u32_e32 v44, s3, v18
	v_ashrrev_i32_e32 v19, 31, v18
	v_lshlrev_b64 v[10:11], 2, v[14:15]
	v_lshlrev_b64 v[12:13], 2, v[12:13]
	;; [unrolled: 1-line block ×3, first 2 shown]
	v_ashrrev_i32_e32 v45, 31, v44
	v_lshlrev_b64 v[16:17], 2, v[18:19]
	v_dual_mov_b32 v36, 0 :: v_dual_add_nc_u32 v31, 0x480, v30
	v_add_nc_u32_e32 v32, 0x900, v30
	s_delay_alu instid0(VALU_DEP_4)
	v_lshlrev_b64 v[18:19], 2, v[44:45]
	v_add_nc_u32_e32 v33, 0xd80, v30
	v_add_nc_u32_e32 v40, 0x400, v38
	;; [unrolled: 1-line block ×4, first 2 shown]
	v_dual_mov_b32 v2, 0xfeffffff :: v_dual_mov_b32 v23, 32
	v_xor_b32_e32 v29, 16, v21
	v_xor_b32_e32 v28, 8, v21
	;; [unrolled: 1-line block ×5, first 2 shown]
	v_add_nc_u32_e32 v44, 0x400, v24
	v_add_nc_u32_e32 v45, 0x800, v24
	;; [unrolled: 1-line block ×3, first 2 shown]
	s_add_u32 s8, s0, 0xd0
	s_addc_u32 s9, s1, 0
.LBB49_9:                               ; =>This Inner Loop Header: Depth=1
	s_mul_hi_i32 s3, s5, s13
	s_mul_i32 s2, s5, s13
	v_mov_b32_e32 v63, 0
	s_lshl_b64 s[2:3], s[2:3], 2
	v_mov_b32_e32 v65, v2
	s_add_u32 s4, s16, s2
	s_addc_u32 s19, s17, s3
	v_add_co_u32 v47, vcc_lo, s4, v6
	v_add_co_u32 v48, s2, s4, v8
	v_add_co_u32 v49, s3, s4, v10
	;; [unrolled: 1-line block ×3, first 2 shown]
	s_delay_alu instid0(VALU_DEP_1)
	v_add_co_ci_u32_e64 v52, s4, s19, v5, s4
	v_add_co_ci_u32_e32 v53, vcc_lo, s19, v7, vcc_lo
	v_add_co_ci_u32_e64 v54, vcc_lo, s19, v9, s2
	v_add_co_ci_u32_e64 v57, vcc_lo, s19, v11, s3
	v_add_co_u32 v51, vcc_lo, v47, v43
	v_add_co_u32 v47, s4, v50, v43
	v_add_co_u32 v55, s2, v48, v43
	v_add_co_ci_u32_e64 v48, s4, 0, v52, s4
	v_add_co_u32 v59, s3, v49, v43
	v_add_co_ci_u32_e32 v52, vcc_lo, 0, v53, vcc_lo
	v_add_co_ci_u32_e64 v56, vcc_lo, 0, v54, s2
	v_add_co_ci_u32_e64 v60, vcc_lo, 0, v57, s3
	s_clause 0x3
	global_load_b128 v[47:50], v[47:48], off
	global_load_b128 v[51:54], v[51:52], off
	;; [unrolled: 1-line block ×4, first 2 shown]
	s_mul_hi_i32 s3, s5, s10
	s_mul_i32 s2, s5, s10
	s_waitcnt vmcnt(3)
	ds_store_b128 v30, v[47:50]
	s_waitcnt vmcnt(2)
	ds_store_b128 v31, v[51:54]
	;; [unrolled: 2-line block ×4, first 2 shown]
	s_waitcnt lgkmcnt(0)
	s_barrier
	buffer_gl0_inv
	ds_load_b128 v[47:50], v34
	ds_load_b128 v[51:54], v35 offset:4608
	s_waitcnt lgkmcnt(0)
	;;#ASMSTART
	v_dot2_f32_f16 v63, v47, v51, v63
	;;#ASMEND
	;;#ASMSTART
	v_dot2_f32_f16 v63, v48, v52, v63
	;;#ASMEND
	;;#ASMSTART
	v_dot2_f32_f16 v63, v49, v53, v63
	;;#ASMEND
	;;#ASMSTART
	v_dot2_f32_f16 v63, v50, v54, v63
	;;#ASMEND
	ds_load_b128 v[47:50], v34 offset:16
	ds_load_b128 v[51:54], v35 offset:4624
	s_waitcnt lgkmcnt(0)
	;;#ASMSTART
	v_dot2_f32_f16 v63, v47, v51, v63
	;;#ASMEND
	;;#ASMSTART
	v_dot2_f32_f16 v63, v48, v52, v63
	;;#ASMEND
	;;#ASMSTART
	v_dot2_f32_f16 v63, v49, v53, v63
	;;#ASMEND
	;;#ASMSTART
	v_dot2_f32_f16 v63, v50, v54, v63
	;;#ASMEND
	ds_load_b128 v[47:50], v34 offset:32
	;; [unrolled: 15-line block ×6, first 2 shown]
	ds_load_b128 v[51:54], v35 offset:4704
	s_waitcnt lgkmcnt(0)
	;;#ASMSTART
	v_dot2_f32_f16 v63, v47, v51, v63
	;;#ASMEND
	;;#ASMSTART
	v_dot2_f32_f16 v63, v48, v52, v63
	;;#ASMEND
	;; [unrolled: 3-line block ×3, first 2 shown]
	v_dual_max_f32 v66, v65, v65 :: v_dual_add_nc_u32 v55, s5, v3
	;;#ASMSTART
	v_dot2_f32_f16 v63, v50, v54, v63
	;;#ASMEND
	ds_load_b128 v[47:50], v34 offset:112
	ds_load_b128 v[51:54], v35 offset:4720
	s_waitcnt lgkmcnt(0)
	;;#ASMSTART
	v_dot2_f32_f16 v63, v47, v51, v63
	;;#ASMEND
	v_ashrrev_i32_e32 v56, 31, v55
	;;#ASMSTART
	v_dot2_f32_f16 v63, v48, v52, v63
	;;#ASMEND
	;;#ASMSTART
	v_dot2_f32_f16 v63, v49, v53, v63
	;;#ASMEND
	;; [unrolled: 3-line block ×3, first 2 shown]
	s_lshl_b64 s[2:3], s[2:3], 2
	v_lshlrev_b64 v[55:56], 1, v[55:56]
	s_add_u32 s4, s11, s2
	s_addc_u32 s19, s18, s3
	v_add_co_u32 v48, s2, s4, v16
	v_add_co_u32 v49, s3, s4, v18
	s_delay_alu instid0(VALU_DEP_3)
	v_add_co_u32 v55, vcc_lo, s36, v55
	v_add_co_ci_u32_e32 v56, vcc_lo, s37, v56, vcc_lo
	v_add_co_u32 v47, vcc_lo, s4, v14
	v_add_co_u32 v50, s4, s4, v12
	flat_load_u16 v64, v[55:56]
	v_add_co_ci_u32_e64 v52, s4, s19, v13, s4
	v_add_co_ci_u32_e32 v53, vcc_lo, s19, v15, vcc_lo
	v_add_co_ci_u32_e64 v54, vcc_lo, s19, v17, s2
	v_add_co_ci_u32_e64 v57, vcc_lo, s19, v19, s3
	v_add_co_u32 v51, vcc_lo, v47, v43
	v_add_co_u32 v47, s4, v50, v43
	v_add_co_u32 v55, s2, v48, v43
	v_add_co_ci_u32_e64 v48, s4, 0, v52, s4
	v_add_co_u32 v59, s3, v49, v43
	v_add_co_ci_u32_e32 v52, vcc_lo, 0, v53, vcc_lo
	v_add_co_ci_u32_e64 v56, vcc_lo, 0, v54, s2
	v_add_co_ci_u32_e64 v60, vcc_lo, 0, v57, s3
	s_waitcnt vmcnt(0) lgkmcnt(0)
	s_barrier
	buffer_gl0_inv
	s_clause 0x3
	global_load_b128 v[47:50], v[47:48], off
	global_load_b128 v[51:54], v[51:52], off
	;; [unrolled: 1-line block ×4, first 2 shown]
	v_cmp_gt_i32_e32 vcc_lo, 32, v29
	v_cndmask_b32_e32 v2, v21, v29, vcc_lo
	v_cmp_gt_i32_e32 vcc_lo, 32, v28
	s_delay_alu instid0(VALU_DEP_2) | instskip(SKIP_1) | instid1(VALU_DEP_1)
	v_lshlrev_b32_e32 v2, 2, v2
	v_cvt_f32_f16_e32 v64, v64
	v_add_f32_e32 v63, v63, v64
	s_delay_alu instid0(VALU_DEP_1) | instskip(NEXT) | instid1(VALU_DEP_1)
	v_add_f32_e32 v64, 0x40051340, v63
	v_max_f32_e32 v64, v66, v64
	v_cndmask_b32_e32 v66, v21, v28, vcc_lo
	v_cmp_gt_i32_e32 vcc_lo, 32, v27
	ds_bpermute_b32 v2, v2, v64
	v_lshlrev_b32_e32 v66, 2, v66
	s_waitcnt lgkmcnt(0)
	v_max_f32_e32 v2, v2, v2
	s_delay_alu instid0(VALU_DEP_1) | instskip(SKIP_3) | instid1(VALU_DEP_2)
	v_max_f32_e32 v2, v64, v2
	ds_bpermute_b32 v64, v66, v2
	v_cndmask_b32_e32 v66, v21, v27, vcc_lo
	v_cmp_gt_i32_e32 vcc_lo, 32, v26
	v_lshlrev_b32_e32 v66, 2, v66
	s_waitcnt lgkmcnt(0)
	v_max_f32_e32 v64, v64, v64
	s_delay_alu instid0(VALU_DEP_1) | instskip(SKIP_3) | instid1(VALU_DEP_2)
	v_max_f32_e32 v2, v2, v64
	ds_bpermute_b32 v64, v66, v2
	v_cndmask_b32_e32 v66, v21, v26, vcc_lo
	v_cmp_gt_i32_e32 vcc_lo, 32, v25
	v_lshlrev_b32_e32 v66, 2, v66
	s_waitcnt lgkmcnt(0)
	v_max_f32_e32 v64, v64, v64
	s_delay_alu instid0(VALU_DEP_1) | instskip(SKIP_2) | instid1(VALU_DEP_1)
	v_max_f32_e32 v2, v2, v64
	ds_bpermute_b32 v64, v66, v2
	v_cndmask_b32_e32 v66, v21, v25, vcc_lo
	v_lshlrev_b32_e32 v66, 2, v66
	s_waitcnt lgkmcnt(0)
	v_max_f32_e32 v64, v64, v64
	s_delay_alu instid0(VALU_DEP_1) | instskip(SKIP_3) | instid1(VALU_DEP_1)
	v_max_f32_e32 v2, v2, v64
	ds_bpermute_b32 v64, v66, v2
	s_waitcnt lgkmcnt(0)
	v_max_f32_e32 v64, v64, v64
	v_max_f32_e32 v2, v2, v64
	s_delay_alu instid0(VALU_DEP_1) | instskip(NEXT) | instid1(VALU_DEP_1)
	v_sub_f32_e32 v63, v63, v2
	v_dual_sub_f32 v64, v65, v2 :: v_dual_mul_f32 v65, 0x3fb8aa3b, v63
	s_delay_alu instid0(VALU_DEP_1) | instskip(SKIP_1) | instid1(VALU_DEP_3)
	v_mul_f32_e32 v66, 0x3fb8aa3b, v64
	v_cmp_ngt_f32_e32 vcc_lo, 0xc2ce8ed0, v63
	v_fma_f32 v67, 0x3fb8aa3b, v63, -v65
	v_rndne_f32_e32 v68, v65
	s_delay_alu instid0(VALU_DEP_4) | instskip(SKIP_1) | instid1(VALU_DEP_4)
	v_fma_f32 v69, 0x3fb8aa3b, v64, -v66
	v_rndne_f32_e32 v70, v66
	v_fmac_f32_e32 v67, 0x32a5705f, v63
	s_delay_alu instid0(VALU_DEP_4) | instskip(SKIP_1) | instid1(VALU_DEP_4)
	v_sub_f32_e32 v65, v65, v68
	v_cvt_i32_f32_e32 v68, v68
	v_dual_fmac_f32 v69, 0x32a5705f, v64 :: v_dual_sub_f32 v66, v66, v70
	v_cvt_i32_f32_e32 v70, v70
	s_delay_alu instid0(VALU_DEP_2) | instskip(NEXT) | instid1(VALU_DEP_1)
	v_dual_add_f32 v65, v65, v67 :: v_dual_add_f32 v66, v66, v69
	v_exp_f32_e32 v65, v65
	s_delay_alu instid0(VALU_DEP_1) | instskip(SKIP_2) | instid1(VALU_DEP_1)
	v_exp_f32_e32 v66, v66
	s_waitcnt_depctr 0xfff
	v_ldexp_f32 v65, v65, v68
	v_cndmask_b32_e32 v65, 0, v65, vcc_lo
	v_cmp_nlt_f32_e32 vcc_lo, 0x42b17218, v63
	s_delay_alu instid0(VALU_DEP_2) | instskip(SKIP_1) | instid1(VALU_DEP_2)
	v_cndmask_b32_e32 v63, 0x7f800000, v65, vcc_lo
	v_cmp_ngt_f32_e32 vcc_lo, 0xc2ce8ed0, v64
	v_cvt_f16_f32_e32 v65, v63
	ds_store_b16 v39, v65
	s_waitcnt vmcnt(3)
	ds_store_b128 v38, v[47:50]
	s_waitcnt vmcnt(2)
	ds_store_b128 v40, v[51:54]
	;; [unrolled: 2-line block ×4, first 2 shown]
	s_waitcnt lgkmcnt(0)
	s_barrier
	buffer_gl0_inv
	ds_load_2addr_b32 v[55:56], v24 offset1:32
	ds_load_b128 v[47:50], v37
	v_ldexp_f32 v51, v66, v70
	ds_load_2addr_b32 v[57:58], v24 offset0:64 offset1:96
	ds_load_2addr_b32 v[59:60], v24 offset0:128 offset1:160
	v_cndmask_b32_e32 v51, 0, v51, vcc_lo
	v_cmp_nlt_f32_e32 vcc_lo, 0x42b17218, v64
	s_delay_alu instid0(VALU_DEP_2) | instskip(SKIP_4) | instid1(VALU_DEP_1)
	v_cndmask_b32_e32 v61, 0x7f800000, v51, vcc_lo
	ds_load_b128 v[51:54], v37 offset:16
	v_cvt_f16_f32_e32 v62, v61
	s_waitcnt lgkmcnt(3)
	v_pk_mul_f16 v55, v55, v47 op_sel_hi:[1,0]
	v_pk_fma_f16 v22, v22, v62, v55 op_sel_hi:[1,0,1]
	s_delay_alu instid0(VALU_DEP_1) | instskip(SKIP_3) | instid1(VALU_DEP_1)
	v_pk_fma_f16 v22, v56, v47, v22 op_sel:[0,1,0]
	ds_load_2addr_b32 v[55:56], v24 offset0:192 offset1:224
	s_waitcnt lgkmcnt(3)
	v_pk_fma_f16 v22, v57, v48, v22 op_sel_hi:[1,0,1]
	v_pk_fma_f16 v22, v58, v48, v22 op_sel:[0,1,0]
	ds_load_2addr_b32 v[47:48], v44 offset1:32
	ds_load_2addr_b32 v[57:58], v44 offset0:64 offset1:96
	s_waitcnt lgkmcnt(4)
	v_pk_fma_f16 v22, v59, v49, v22 op_sel_hi:[1,0,1]
	s_delay_alu instid0(VALU_DEP_1) | instskip(SKIP_3) | instid1(VALU_DEP_1)
	v_pk_fma_f16 v22, v60, v49, v22 op_sel:[0,1,0]
	ds_load_2addr_b32 v[59:60], v44 offset0:192 offset1:224
	s_waitcnt lgkmcnt(3)
	v_pk_fma_f16 v22, v55, v50, v22 op_sel_hi:[1,0,1]
	v_pk_fma_f16 v22, v56, v50, v22 op_sel:[0,1,0]
	ds_load_2addr_b32 v[55:56], v44 offset0:128 offset1:160
	s_waitcnt lgkmcnt(3)
	v_pk_fma_f16 v22, v47, v51, v22 op_sel_hi:[1,0,1]
	s_delay_alu instid0(VALU_DEP_1) | instskip(SKIP_1) | instid1(VALU_DEP_1)
	v_pk_fma_f16 v22, v48, v51, v22 op_sel:[0,1,0]
	s_waitcnt lgkmcnt(2)
	v_pk_fma_f16 v22, v57, v52, v22 op_sel_hi:[1,0,1]
	s_delay_alu instid0(VALU_DEP_1) | instskip(SKIP_4) | instid1(VALU_DEP_1)
	v_pk_fma_f16 v22, v58, v52, v22 op_sel:[0,1,0]
	ds_load_2addr_b32 v[57:58], v45 offset1:32
	ds_load_b128 v[47:50], v37 offset:32
	s_waitcnt lgkmcnt(2)
	v_pk_fma_f16 v22, v55, v53, v22 op_sel_hi:[1,0,1]
	v_pk_fma_f16 v22, v56, v53, v22 op_sel:[0,1,0]
	ds_load_2addr_b32 v[55:56], v45 offset0:64 offset1:96
	v_pk_fma_f16 v22, v59, v54, v22 op_sel_hi:[1,0,1]
	s_delay_alu instid0(VALU_DEP_1) | instskip(SKIP_4) | instid1(VALU_DEP_1)
	v_pk_fma_f16 v22, v60, v54, v22 op_sel:[0,1,0]
	ds_load_b128 v[51:54], v37 offset:48
	ds_load_2addr_b32 v[59:60], v45 offset0:128 offset1:160
	s_waitcnt lgkmcnt(3)
	v_pk_fma_f16 v22, v57, v47, v22 op_sel_hi:[1,0,1]
	v_pk_fma_f16 v22, v58, v47, v22 op_sel:[0,1,0]
	ds_load_2addr_b32 v[57:58], v45 offset0:192 offset1:224
	s_waitcnt lgkmcnt(3)
	v_pk_fma_f16 v22, v55, v48, v22 op_sel_hi:[1,0,1]
	s_delay_alu instid0(VALU_DEP_1) | instskip(SKIP_4) | instid1(VALU_DEP_1)
	v_pk_fma_f16 v22, v56, v48, v22 op_sel:[0,1,0]
	ds_load_2addr_b32 v[47:48], v46 offset1:32
	ds_load_2addr_b32 v[55:56], v46 offset0:64 offset1:96
	s_waitcnt lgkmcnt(3)
	v_pk_fma_f16 v22, v59, v49, v22 op_sel_hi:[1,0,1]
	v_pk_fma_f16 v22, v60, v49, v22 op_sel:[0,1,0]
	s_waitcnt lgkmcnt(2)
	s_delay_alu instid0(VALU_DEP_1) | instskip(NEXT) | instid1(VALU_DEP_1)
	v_pk_fma_f16 v22, v57, v50, v22 op_sel_hi:[1,0,1]
	v_pk_fma_f16 v22, v58, v50, v22 op_sel:[0,1,0]
	ds_load_2addr_b32 v[49:50], v46 offset0:128 offset1:160
	s_waitcnt lgkmcnt(2)
	v_pk_fma_f16 v22, v47, v51, v22 op_sel_hi:[1,0,1]
	s_delay_alu instid0(VALU_DEP_1)
	v_pk_fma_f16 v22, v48, v51, v22 op_sel:[0,1,0]
	ds_load_2addr_b32 v[47:48], v46 offset0:192 offset1:224
	s_waitcnt lgkmcnt(0)
	s_barrier
	buffer_gl0_inv
	v_pk_fma_f16 v22, v55, v52, v22 op_sel_hi:[1,0,1]
	s_load_b32 s2, s[8:9], 0x4
	s_delay_alu instid0(VALU_DEP_1) | instskip(NEXT) | instid1(VALU_DEP_1)
	v_pk_fma_f16 v22, v56, v52, v22 op_sel:[0,1,0]
	v_pk_fma_f16 v22, v49, v53, v22 op_sel_hi:[1,0,1]
	v_dual_mov_b32 v49, v36 :: v_dual_mov_b32 v36, v63
	s_delay_alu instid0(VALU_DEP_2) | instskip(NEXT) | instid1(VALU_DEP_2)
	v_pk_fma_f16 v22, v50, v53, v22 op_sel:[0,1,0]
	v_fmac_f32_e32 v36, v49, v61
	s_delay_alu instid0(VALU_DEP_2) | instskip(SKIP_2) | instid1(SALU_CYCLE_1)
	v_pk_fma_f16 v22, v47, v54, v22 op_sel_hi:[1,0,1]
	s_waitcnt lgkmcnt(0)
	s_lshl_b32 s2, s2, 5
	s_add_i32 s5, s2, s5
	s_delay_alu instid0(VALU_DEP_1)
	v_pk_fma_f16 v22, v48, v54, v22 op_sel:[0,1,0]
	s_cmp_lt_i32 s5, s34
	s_cbranch_scc1 .LBB49_9
; %bb.10:
	v_mov_b32_e32 v4, v21
.LBB49_11:
	v_cmp_lt_i32_e32 vcc_lo, v29, v23
	v_lshlrev_b32_e32 v6, 1, v0
	s_cmp_eq_u64 s[24:25], 0
	s_cselect_b32 s2, -1, 0
	v_cndmask_b32_e32 v3, v4, v29, vcc_lo
	v_cmp_lt_i32_e32 vcc_lo, v28, v23
	s_cmp_lg_u32 s14, 0
	s_cselect_b32 s3, -1, 0
	s_delay_alu instid0(VALU_DEP_2)
	v_lshlrev_b32_e32 v3, 2, v3
	v_cndmask_b32_e32 v5, v4, v28, vcc_lo
	v_cmp_lt_i32_e32 vcc_lo, v27, v23
	s_or_b32 s2, s3, s2
	ds_bpermute_b32 v3, v3, v36
	v_lshlrev_b32_e32 v5, 2, v5
	v_cndmask_b32_e32 v7, v4, v27, vcc_lo
	v_cmp_lt_i32_e32 vcc_lo, v26, v23
	s_delay_alu instid0(VALU_DEP_2)
	v_lshlrev_b32_e32 v7, 2, v7
	s_waitcnt lgkmcnt(0)
	v_add_f32_e32 v3, v36, v3
	ds_bpermute_b32 v5, v5, v3
	s_waitcnt lgkmcnt(0)
	v_add_f32_e32 v3, v3, v5
	ds_bpermute_b32 v5, v7, v3
	v_cndmask_b32_e32 v7, v4, v26, vcc_lo
	v_cmp_lt_i32_e32 vcc_lo, v25, v23
	s_delay_alu instid0(VALU_DEP_2) | instskip(SKIP_2) | instid1(VALU_DEP_1)
	v_dual_cndmask_b32 v4, v4, v25 :: v_dual_lshlrev_b32 v7, 2, v7
	s_and_b32 vcc_lo, exec_lo, s2
	s_waitcnt lgkmcnt(0)
	v_dual_add_f32 v3, v3, v5 :: v_dual_lshlrev_b32 v4, 2, v4
	ds_bpermute_b32 v5, v7, v3
	s_waitcnt lgkmcnt(0)
	v_add_f32_e32 v3, v3, v5
	ds_bpermute_b32 v5, v4, v3
	s_waitcnt lgkmcnt(0)
	v_dual_add_f32 v3, v3, v5 :: v_dual_add_nc_u32 v4, s15, v20
	s_cbranch_vccnz .LBB49_13
; %bb.12:
	s_delay_alu instid0(VALU_DEP_1) | instskip(NEXT) | instid1(VALU_DEP_1)
	v_ashrrev_i32_e32 v5, 31, v4
	v_lshlrev_b64 v[7:8], 2, v[4:5]
	s_delay_alu instid0(VALU_DEP_1) | instskip(NEXT) | instid1(VALU_DEP_2)
	v_add_co_u32 v7, vcc_lo, s24, v7
	v_add_co_ci_u32_e32 v8, vcc_lo, s25, v8, vcc_lo
	global_load_b32 v5, v[7:8], off
	s_waitcnt vmcnt(0)
	v_dual_max_f32 v7, v2, v2 :: v_dual_max_f32 v8, v5, v5
	s_delay_alu instid0(VALU_DEP_1) | instskip(NEXT) | instid1(VALU_DEP_1)
	v_max_f32_e32 v7, v7, v8
	v_sub_f32_e32 v2, v2, v7
	s_delay_alu instid0(VALU_DEP_1) | instskip(NEXT) | instid1(VALU_DEP_1)
	v_dual_mul_f32 v8, 0x3fb8aa3b, v2 :: v_dual_sub_f32 v5, v5, v7
	v_rndne_f32_e32 v11, v8
	s_delay_alu instid0(VALU_DEP_2) | instskip(SKIP_2) | instid1(VALU_DEP_3)
	v_mul_f32_e32 v9, 0x3fb8aa3b, v5
	v_fma_f32 v10, 0x3fb8aa3b, v2, -v8
	v_cmp_ngt_f32_e32 vcc_lo, 0xc2ce8ed0, v2
	v_rndne_f32_e32 v13, v9
	s_delay_alu instid0(VALU_DEP_3) | instskip(SKIP_1) | instid1(VALU_DEP_3)
	v_fmac_f32_e32 v10, 0x32a5705f, v2
	v_fma_f32 v12, 0x3fb8aa3b, v5, -v9
	v_dual_sub_f32 v8, v8, v11 :: v_dual_sub_f32 v9, v9, v13
	s_delay_alu instid0(VALU_DEP_2) | instskip(NEXT) | instid1(VALU_DEP_2)
	v_fmac_f32_e32 v12, 0x32a5705f, v5
	v_add_f32_e32 v8, v8, v10
	v_cvt_i32_f32_e32 v10, v11
	v_cvt_i32_f32_e32 v11, v13
	s_delay_alu instid0(VALU_DEP_4) | instskip(NEXT) | instid1(VALU_DEP_4)
	v_add_f32_e32 v9, v9, v12
	v_exp_f32_e32 v8, v8
	s_delay_alu instid0(VALU_DEP_1) | instskip(SKIP_3) | instid1(VALU_DEP_2)
	v_exp_f32_e32 v9, v9
	s_waitcnt_depctr 0xfff
	v_ldexp_f32 v8, v8, v10
	v_ldexp_f32 v9, v9, v11
	v_cndmask_b32_e32 v8, 0, v8, vcc_lo
	v_cmp_ngt_f32_e32 vcc_lo, 0xc2ce8ed0, v5
	s_delay_alu instid0(VALU_DEP_3) | instskip(SKIP_1) | instid1(VALU_DEP_4)
	v_cndmask_b32_e32 v9, 0, v9, vcc_lo
	v_cmp_nlt_f32_e32 vcc_lo, 0x42b17218, v2
	v_cndmask_b32_e32 v2, 0x7f800000, v8, vcc_lo
	v_cmp_nlt_f32_e32 vcc_lo, 0x42b17218, v5
	s_delay_alu instid0(VALU_DEP_4) | instskip(NEXT) | instid1(VALU_DEP_1)
	v_cndmask_b32_e32 v5, 0x7f800000, v9, vcc_lo
	v_fmac_f32_e32 v5, v3, v2
	s_delay_alu instid0(VALU_DEP_1) | instskip(SKIP_2) | instid1(VALU_DEP_2)
	v_mov_b32_e32 v3, v5
	v_cvt_f16_f32_e32 v8, v2
	v_mov_b32_e32 v2, v7
	v_pk_mul_f16 v22, v22, v8 op_sel_hi:[1,0]
.LBB49_13:
	s_delay_alu instid0(VALU_DEP_1) | instskip(SKIP_2) | instid1(VALU_DEP_2)
	v_div_scale_f32 v5, null, v3, v3, 1.0
	v_div_scale_f32 v11, vcc_lo, 1.0, v3, 1.0
	s_load_b32 s0, s[0:1], 0xd4
	v_rcp_f32_e32 v10, v5
	s_waitcnt_depctr 0xfff
	v_fma_f32 v7, -v5, v10, 1.0
	s_delay_alu instid0(VALU_DEP_1) | instskip(SKIP_4) | instid1(VALU_DEP_1)
	v_fmac_f32_e32 v10, v7, v10
	v_mad_u64_u32 v[7:8], null, s12, s6, v[1:2]
	s_waitcnt lgkmcnt(0)
	s_cmp_lg_u32 s0, 1
	s_cselect_b32 s1, -1, 0
	v_mad_u64_u32 v[8:9], null, v7, s7, v[4:5]
	v_dual_mov_b32 v7, 0 :: v_dual_mul_f32 v12, v11, v10
	s_delay_alu instid0(VALU_DEP_1) | instskip(NEXT) | instid1(VALU_DEP_1)
	v_fma_f32 v1, -v5, v12, v11
	v_fmac_f32_e32 v12, v1, v10
	s_delay_alu instid0(VALU_DEP_1) | instskip(SKIP_3) | instid1(VALU_DEP_4)
	v_fma_f32 v1, -v5, v12, v11
	v_mad_u64_u32 v[4:5], null, s0, v8, s[14:15]
	v_lshrrev_b32_e32 v5, 16, v22
	v_cvt_f32_f16_e32 v8, v22
	v_div_fmas_f32 v1, v1, v10, v12
	v_cmp_eq_u32_e32 vcc_lo, 0, v0
	s_delay_alu instid0(VALU_DEP_4) | instskip(SKIP_1) | instid1(VALU_DEP_4)
	v_cvt_f32_f16_e32 v9, v5
	v_lshl_add_u32 v6, v4, 6, v6
	v_div_fixup_f32 v1, v1, v3, 1.0
	s_delay_alu instid0(VALU_DEP_2) | instskip(NEXT) | instid1(VALU_DEP_2)
	v_lshlrev_b64 v[5:6], 2, v[6:7]
	v_cndmask_b32_e64 v1, v1, 1.0, s1
	s_delay_alu instid0(VALU_DEP_2) | instskip(NEXT) | instid1(VALU_DEP_2)
	v_add_co_u32 v5, s0, s28, v5
	v_mul_f32_e32 v0, v1, v8
	v_mul_f32_e32 v1, v1, v9
	v_add_co_ci_u32_e64 v6, s0, s29, v6, s0
	s_and_b32 s0, vcc_lo, s1
	global_store_b64 v[5:6], v[0:1], off
	s_and_saveexec_b32 s1, s0
	s_cbranch_execz .LBB49_15
; %bb.14:
	v_ashrrev_i32_e32 v5, 31, v4
	s_delay_alu instid0(VALU_DEP_1) | instskip(NEXT) | instid1(VALU_DEP_1)
	v_lshlrev_b64 v[0:1], 3, v[4:5]
	v_add_co_u32 v0, vcc_lo, s30, v0
	s_delay_alu instid0(VALU_DEP_2)
	v_add_co_ci_u32_e32 v1, vcc_lo, s31, v1, vcc_lo
	global_store_b64 v[0:1], v[2:3], off
.LBB49_15:
	s_nop 0
	s_sendmsg sendmsg(MSG_DEALLOC_VGPRS)
	s_endpgm
	.section	.rodata,"a",@progbits
	.p2align	6, 0x0
	.amdhsa_kernel _ZL15flash_attn_tileILi64ELi64ELi1ELi2ELb0EEvPKcS1_S1_S1_S1_PKiPfP15HIP_vector_typeIfLj2EEffffjfiS5_IjLj3EEiiiiiiiiiiiliiliiiiil
		.amdhsa_group_segment_fixed_size 4992
		.amdhsa_private_segment_fixed_size 0
		.amdhsa_kernarg_size 464
		.amdhsa_user_sgpr_count 13
		.amdhsa_user_sgpr_dispatch_ptr 0
		.amdhsa_user_sgpr_queue_ptr 0
		.amdhsa_user_sgpr_kernarg_segment_ptr 1
		.amdhsa_user_sgpr_dispatch_id 0
		.amdhsa_user_sgpr_private_segment_size 0
		.amdhsa_wavefront_size32 1
		.amdhsa_uses_dynamic_stack 0
		.amdhsa_enable_private_segment 0
		.amdhsa_system_sgpr_workgroup_id_x 1
		.amdhsa_system_sgpr_workgroup_id_y 1
		.amdhsa_system_sgpr_workgroup_id_z 1
		.amdhsa_system_sgpr_workgroup_info 0
		.amdhsa_system_vgpr_workitem_id 1
		.amdhsa_next_free_vgpr 71
		.amdhsa_next_free_sgpr 40
		.amdhsa_reserve_vcc 1
		.amdhsa_float_round_mode_32 0
		.amdhsa_float_round_mode_16_64 0
		.amdhsa_float_denorm_mode_32 3
		.amdhsa_float_denorm_mode_16_64 3
		.amdhsa_dx10_clamp 1
		.amdhsa_ieee_mode 1
		.amdhsa_fp16_overflow 0
		.amdhsa_workgroup_processor_mode 1
		.amdhsa_memory_ordered 1
		.amdhsa_forward_progress 0
		.amdhsa_shared_vgpr_count 0
		.amdhsa_exception_fp_ieee_invalid_op 0
		.amdhsa_exception_fp_denorm_src 0
		.amdhsa_exception_fp_ieee_div_zero 0
		.amdhsa_exception_fp_ieee_overflow 0
		.amdhsa_exception_fp_ieee_underflow 0
		.amdhsa_exception_fp_ieee_inexact 0
		.amdhsa_exception_int_div_zero 0
	.end_amdhsa_kernel
	.section	.text._ZL15flash_attn_tileILi64ELi64ELi1ELi2ELb0EEvPKcS1_S1_S1_S1_PKiPfP15HIP_vector_typeIfLj2EEffffjfiS5_IjLj3EEiiiiiiiiiiiliiliiiiil,"axG",@progbits,_ZL15flash_attn_tileILi64ELi64ELi1ELi2ELb0EEvPKcS1_S1_S1_S1_PKiPfP15HIP_vector_typeIfLj2EEffffjfiS5_IjLj3EEiiiiiiiiiiiliiliiiiil,comdat
.Lfunc_end49:
	.size	_ZL15flash_attn_tileILi64ELi64ELi1ELi2ELb0EEvPKcS1_S1_S1_S1_PKiPfP15HIP_vector_typeIfLj2EEffffjfiS5_IjLj3EEiiiiiiiiiiiliiliiiiil, .Lfunc_end49-_ZL15flash_attn_tileILi64ELi64ELi1ELi2ELb0EEvPKcS1_S1_S1_S1_PKiPfP15HIP_vector_typeIfLj2EEffffjfiS5_IjLj3EEiiiiiiiiiiiliiliiiiil
                                        ; -- End function
	.section	.AMDGPU.csdata,"",@progbits
; Kernel info:
; codeLenInByte = 4784
; NumSgprs: 42
; NumVgprs: 71
; ScratchSize: 0
; MemoryBound: 0
; FloatMode: 240
; IeeeMode: 1
; LDSByteSize: 4992 bytes/workgroup (compile time only)
; SGPRBlocks: 5
; VGPRBlocks: 8
; NumSGPRsForWavesPerEU: 42
; NumVGPRsForWavesPerEU: 71
; Occupancy: 13
; WaveLimiterHint : 1
; COMPUTE_PGM_RSRC2:SCRATCH_EN: 0
; COMPUTE_PGM_RSRC2:USER_SGPR: 13
; COMPUTE_PGM_RSRC2:TRAP_HANDLER: 0
; COMPUTE_PGM_RSRC2:TGID_X_EN: 1
; COMPUTE_PGM_RSRC2:TGID_Y_EN: 1
; COMPUTE_PGM_RSRC2:TGID_Z_EN: 1
; COMPUTE_PGM_RSRC2:TIDIG_COMP_CNT: 1
	.section	.text._ZL33flash_attn_stream_k_fixup_uniformILi64ELi1ELi2EEvPfPK15HIP_vector_typeIfLj2EEiiiiiiS1_IjLj3EES5_S5_,"axG",@progbits,_ZL33flash_attn_stream_k_fixup_uniformILi64ELi1ELi2EEvPfPK15HIP_vector_typeIfLj2EEiiiiiiS1_IjLj3EES5_S5_,comdat
	.globl	_ZL33flash_attn_stream_k_fixup_uniformILi64ELi1ELi2EEvPfPK15HIP_vector_typeIfLj2EEiiiiiiS1_IjLj3EES5_S5_ ; -- Begin function _ZL33flash_attn_stream_k_fixup_uniformILi64ELi1ELi2EEvPfPK15HIP_vector_typeIfLj2EEiiiiiiS1_IjLj3EES5_S5_
	.p2align	8
	.type	_ZL33flash_attn_stream_k_fixup_uniformILi64ELi1ELi2EEvPfPK15HIP_vector_typeIfLj2EEiiiiiiS1_IjLj3EES5_S5_,@function
_ZL33flash_attn_stream_k_fixup_uniformILi64ELi1ELi2EEvPfPK15HIP_vector_typeIfLj2EEiiiiiiS1_IjLj3EES5_S5_: ; @_ZL33flash_attn_stream_k_fixup_uniformILi64ELi1ELi2EEvPfPK15HIP_vector_typeIfLj2EEiiiiiiS1_IjLj3EES5_S5_
; %bb.0:
	s_clause 0x1
	s_load_b256 s[4:11], s[0:1], 0x1c
	s_load_b128 s[16:19], s[0:1], 0x3c
	s_waitcnt lgkmcnt(0)
	s_mul_hi_u32 s2, s7, s13
	s_delay_alu instid0(SALU_CYCLE_1) | instskip(NEXT) | instid1(SALU_CYCLE_1)
	s_add_i32 s2, s13, s2
	s_lshr_b32 s7, s2, s8
	s_delay_alu instid0(SALU_CYCLE_1) | instskip(SKIP_2) | instid1(SALU_CYCLE_1)
	s_mul_i32 s2, s7, s9
	s_load_b64 s[8:9], s[0:1], 0x10
	s_sub_i32 s2, s13, s2
	s_mul_hi_u32 s3, s2, s10
	s_delay_alu instid0(SALU_CYCLE_1) | instskip(NEXT) | instid1(SALU_CYCLE_1)
	s_add_i32 s3, s2, s3
	s_lshr_b32 s10, s3, s11
	s_delay_alu instid0(SALU_CYCLE_1) | instskip(NEXT) | instid1(SALU_CYCLE_1)
	s_mul_i32 s3, s10, s16
	s_sub_i32 s2, s2, s3
	s_delay_alu instid0(SALU_CYCLE_1) | instskip(NEXT) | instid1(SALU_CYCLE_1)
	s_mul_hi_u32 s3, s2, s17
	s_add_i32 s3, s2, s3
	s_delay_alu instid0(SALU_CYCLE_1) | instskip(NEXT) | instid1(SALU_CYCLE_1)
	s_lshr_b32 s3, s3, s18
	s_mul_i32 s11, s3, s19
	s_lshl_b32 s12, s3, 1
	s_sub_i32 s11, s2, s11
	s_delay_alu instid0(SALU_CYCLE_1) | instskip(SKIP_4) | instid1(SALU_CYCLE_1)
	s_add_i32 s11, s11, s14
	s_waitcnt lgkmcnt(0)
	s_cmp_lt_i32 s11, s8
	s_cselect_b32 s2, -1, 0
	s_add_i32 s12, s12, s15
	s_cmp_lt_i32 s12, s5
	s_cselect_b32 s3, -1, 0
	s_delay_alu instid0(SALU_CYCLE_1) | instskip(NEXT) | instid1(SALU_CYCLE_1)
	s_and_b32 s2, s2, s3
	s_and_not1_b32 vcc_lo, exec_lo, s2
	s_cbranch_vccnz .LBB50_6
; %bb.1:
	s_mul_i32 s7, s7, s8
	s_mul_i32 s10, s10, s5
	s_add_i32 s5, s11, s7
	s_load_b128 s[0:3], s[0:1], 0x0
	s_add_i32 s7, s12, s10
	s_mul_i32 s5, s5, s9
	s_delay_alu instid0(SALU_CYCLE_1) | instskip(SKIP_3) | instid1(VALU_DEP_1)
	s_add_i32 s7, s7, s5
	s_mul_i32 s5, s13, s6
	v_lshl_or_b32 v1, s7, 6, v0
	s_add_i32 s9, s5, s6
	v_ashrrev_i32_e32 v2, 31, v1
	s_delay_alu instid0(VALU_DEP_1) | instskip(SKIP_1) | instid1(VALU_DEP_1)
	v_lshlrev_b64 v[1:2], 2, v[1:2]
	s_waitcnt lgkmcnt(0)
	v_add_co_u32 v1, vcc_lo, s0, v1
	s_delay_alu instid0(VALU_DEP_2) | instskip(SKIP_1) | instid1(SALU_CYCLE_1)
	v_add_co_ci_u32_e32 v2, vcc_lo, s1, v2, vcc_lo
	s_add_i32 s0, s14, s9
	s_lshl_b32 s0, s0, 1
	global_load_b32 v5, v[1:2], off
	s_add_i32 s0, s0, s15
	s_delay_alu instid0(SALU_CYCLE_1) | instskip(NEXT) | instid1(SALU_CYCLE_1)
	s_add_i32 s0, s0, -2
	s_ashr_i32 s1, s0, 31
	s_delay_alu instid0(SALU_CYCLE_1) | instskip(NEXT) | instid1(SALU_CYCLE_1)
	s_lshl_b64 s[0:1], s[0:1], 3
	s_add_u32 s0, s2, s0
	s_addc_u32 s1, s3, s1
	s_add_i32 s7, s9, -2
	s_load_b32 s10, s[0:1], 0x4
	s_cmp_lt_i32 s7, s5
	s_cbranch_scc1 .LBB50_4
; %bb.2:
	s_lshl_b32 s16, s4, 3
	s_load_b32 s11, s[0:1], 0x0
	s_ashr_i32 s17, s16, 31
	s_delay_alu instid0(SALU_CYCLE_1) | instskip(NEXT) | instid1(SALU_CYCLE_1)
	s_lshl_b64 s[0:1], s[16:17], 2
	s_add_u32 s7, s2, s0
	s_addc_u32 s8, s3, s1
	s_add_i32 s13, s13, 1
	s_lshl_b32 s0, s15, 6
	s_lshl_b32 s1, s14, 7
	s_mul_i32 s6, s6, s13
	s_add_i32 s0, s0, s1
	s_lshl_b32 s1, s6, 7
	s_delay_alu instid0(SALU_CYCLE_1)
	s_add_i32 s0, s0, s1
	s_add_i32 s1, s14, s4
	v_or_b32_e32 v0, s0, v0
	s_add_i32 s1, s1, s9
	s_waitcnt lgkmcnt(0)
	v_mov_b32_e32 v6, s10
	s_lshl_b32 s0, s1, 1
	s_add_i32 s4, s9, -1
	v_dual_mov_b32 v0, s11 :: v_dual_add_nc_u32 v3, 0xffffff00, v0
	s_add_i32 s0, s15, s0
	s_delay_alu instid0(SALU_CYCLE_1)
	s_add_i32 s0, s0, -4
.LBB50_3:                               ; =>This Inner Loop Header: Depth=1
	s_delay_alu instid0(VALU_DEP_1) | instskip(SKIP_1) | instid1(SALU_CYCLE_1)
	v_ashrrev_i32_e32 v4, 31, v3
	s_ashr_i32 s1, s0, 31
	s_lshl_b64 s[10:11], s[0:1], 3
	s_delay_alu instid0(SALU_CYCLE_1) | instskip(NEXT) | instid1(VALU_DEP_1)
	s_add_u32 s10, s2, s10
	v_lshlrev_b64 v[7:8], 2, v[3:4]
	s_addc_u32 s11, s3, s11
	s_add_i32 s4, s4, -1
	s_add_i32 s0, s0, -2
	s_cmp_le_i32 s4, s5
	s_load_b64 s[10:11], s[10:11], 0x0
	v_add_co_u32 v7, vcc_lo, s7, v7
	v_add_co_ci_u32_e32 v8, vcc_lo, s8, v8, vcc_lo
	global_load_b32 v4, v[7:8], off
	v_max_f32_e32 v7, v0, v0
	s_waitcnt lgkmcnt(0)
	v_max_f32_e64 v8, s10, s10
	s_delay_alu instid0(VALU_DEP_1) | instskip(NEXT) | instid1(VALU_DEP_1)
	v_max_f32_e32 v7, v7, v8
	v_sub_f32_e32 v8, s10, v7
	s_delay_alu instid0(VALU_DEP_1) | instskip(NEXT) | instid1(VALU_DEP_1)
	v_dual_sub_f32 v0, v0, v7 :: v_dual_mul_f32 v9, 0x3fb8aa3b, v8
	v_fma_f32 v10, 0x3fb8aa3b, v8, -v9
	v_rndne_f32_e32 v11, v9
	s_delay_alu instid0(VALU_DEP_3) | instskip(NEXT) | instid1(VALU_DEP_2)
	v_mul_f32_e32 v12, 0x3fb8aa3b, v0
	v_dual_fmac_f32 v10, 0x32a5705f, v8 :: v_dual_sub_f32 v9, v9, v11
	v_cvt_i32_f32_e32 v11, v11
	s_delay_alu instid0(VALU_DEP_3) | instskip(SKIP_1) | instid1(VALU_DEP_4)
	v_fma_f32 v13, 0x3fb8aa3b, v0, -v12
	v_rndne_f32_e32 v14, v12
	v_add_f32_e32 v9, v9, v10
	v_cmp_ngt_f32_e32 vcc_lo, 0xc2ce8ed0, v8
	s_delay_alu instid0(VALU_DEP_3) | instskip(NEXT) | instid1(VALU_DEP_3)
	v_sub_f32_e32 v10, v12, v14
	v_exp_f32_e32 v9, v9
	s_waitcnt_depctr 0xfff
	v_ldexp_f32 v9, v9, v11
	v_cvt_i32_f32_e32 v11, v14
	s_delay_alu instid0(VALU_DEP_2) | instskip(SKIP_1) | instid1(VALU_DEP_2)
	v_cndmask_b32_e32 v9, 0, v9, vcc_lo
	v_cmp_nlt_f32_e32 vcc_lo, 0x42b17218, v8
	v_cndmask_b32_e32 v9, 0x7f800000, v9, vcc_lo
	v_cmp_ngt_f32_e32 vcc_lo, 0xc2ce8ed0, v0
	v_fmac_f32_e32 v13, 0x32a5705f, v0
	s_delay_alu instid0(VALU_DEP_1) | instskip(NEXT) | instid1(VALU_DEP_1)
	v_add_f32_e32 v10, v10, v13
	v_exp_f32_e32 v10, v10
	s_waitcnt_depctr 0xfff
	v_ldexp_f32 v10, v10, v11
	s_delay_alu instid0(VALU_DEP_1)
	v_dual_mov_b32 v11, v6 :: v_dual_cndmask_b32 v10, 0, v10
	v_cmp_le_f32_e32 vcc_lo, 0xc1a00000, v8
	s_waitcnt vmcnt(1)
	v_dual_cndmask_b32 v8, 0, v9 :: v_dual_mov_b32 v9, v5
	v_cmp_nlt_f32_e32 vcc_lo, 0x42b17218, v0
	v_cndmask_b32_e32 v5, 0x7f800000, v10, vcc_lo
	s_delay_alu instid0(VALU_DEP_3) | instskip(SKIP_2) | instid1(VALU_DEP_3)
	v_mul_f32_e32 v10, s11, v8
	v_cmp_le_f32_e32 vcc_lo, 0xc1a00000, v0
	v_mov_b32_e32 v0, v7
	v_mov_b32_e32 v6, v10
	s_waitcnt vmcnt(0)
	v_dual_cndmask_b32 v12, 0, v5 :: v_dual_mul_f32 v5, v4, v8
	s_delay_alu instid0(VALU_DEP_1) | instskip(NEXT) | instid1(VALU_DEP_2)
	v_dual_fmac_f32 v6, v11, v12 :: v_dual_add_nc_u32 v3, 0xffffff80, v3
	v_fmac_f32_e32 v5, v9, v12
	s_cbranch_scc0 .LBB50_3
	s_branch .LBB50_5
.LBB50_4:
	s_waitcnt lgkmcnt(0)
	v_mov_b32_e32 v6, s10
.LBB50_5:
	s_waitcnt vmcnt(0)
	s_delay_alu instid0(VALU_DEP_1) | instskip(NEXT) | instid1(VALU_DEP_1)
	v_div_scale_f32 v0, null, v6, v6, v5
	v_rcp_f32_e32 v3, v0
	s_waitcnt_depctr 0xfff
	v_fma_f32 v4, -v0, v3, 1.0
	s_delay_alu instid0(VALU_DEP_1) | instskip(SKIP_1) | instid1(VALU_DEP_1)
	v_fmac_f32_e32 v3, v4, v3
	v_div_scale_f32 v4, vcc_lo, v5, v6, v5
	v_mul_f32_e32 v7, v4, v3
	s_delay_alu instid0(VALU_DEP_1) | instskip(NEXT) | instid1(VALU_DEP_1)
	v_fma_f32 v8, -v0, v7, v4
	v_fmac_f32_e32 v7, v8, v3
	s_delay_alu instid0(VALU_DEP_1) | instskip(NEXT) | instid1(VALU_DEP_1)
	v_fma_f32 v0, -v0, v7, v4
	v_div_fmas_f32 v0, v0, v3, v7
	s_delay_alu instid0(VALU_DEP_1)
	v_div_fixup_f32 v0, v0, v6, v5
	global_store_b32 v[1:2], v0, off
.LBB50_6:
	s_nop 0
	s_sendmsg sendmsg(MSG_DEALLOC_VGPRS)
	s_endpgm
	.section	.rodata,"a",@progbits
	.p2align	6, 0x0
	.amdhsa_kernel _ZL33flash_attn_stream_k_fixup_uniformILi64ELi1ELi2EEvPfPK15HIP_vector_typeIfLj2EEiiiiiiS1_IjLj3EES5_S5_
		.amdhsa_group_segment_fixed_size 0
		.amdhsa_private_segment_fixed_size 0
		.amdhsa_kernarg_size 76
		.amdhsa_user_sgpr_count 13
		.amdhsa_user_sgpr_dispatch_ptr 0
		.amdhsa_user_sgpr_queue_ptr 0
		.amdhsa_user_sgpr_kernarg_segment_ptr 1
		.amdhsa_user_sgpr_dispatch_id 0
		.amdhsa_user_sgpr_private_segment_size 0
		.amdhsa_wavefront_size32 1
		.amdhsa_uses_dynamic_stack 0
		.amdhsa_enable_private_segment 0
		.amdhsa_system_sgpr_workgroup_id_x 1
		.amdhsa_system_sgpr_workgroup_id_y 1
		.amdhsa_system_sgpr_workgroup_id_z 1
		.amdhsa_system_sgpr_workgroup_info 0
		.amdhsa_system_vgpr_workitem_id 0
		.amdhsa_next_free_vgpr 15
		.amdhsa_next_free_sgpr 20
		.amdhsa_reserve_vcc 1
		.amdhsa_float_round_mode_32 0
		.amdhsa_float_round_mode_16_64 0
		.amdhsa_float_denorm_mode_32 3
		.amdhsa_float_denorm_mode_16_64 3
		.amdhsa_dx10_clamp 1
		.amdhsa_ieee_mode 1
		.amdhsa_fp16_overflow 0
		.amdhsa_workgroup_processor_mode 1
		.amdhsa_memory_ordered 1
		.amdhsa_forward_progress 0
		.amdhsa_shared_vgpr_count 0
		.amdhsa_exception_fp_ieee_invalid_op 0
		.amdhsa_exception_fp_denorm_src 0
		.amdhsa_exception_fp_ieee_div_zero 0
		.amdhsa_exception_fp_ieee_overflow 0
		.amdhsa_exception_fp_ieee_underflow 0
		.amdhsa_exception_fp_ieee_inexact 0
		.amdhsa_exception_int_div_zero 0
	.end_amdhsa_kernel
	.section	.text._ZL33flash_attn_stream_k_fixup_uniformILi64ELi1ELi2EEvPfPK15HIP_vector_typeIfLj2EEiiiiiiS1_IjLj3EES5_S5_,"axG",@progbits,_ZL33flash_attn_stream_k_fixup_uniformILi64ELi1ELi2EEvPfPK15HIP_vector_typeIfLj2EEiiiiiiS1_IjLj3EES5_S5_,comdat
.Lfunc_end50:
	.size	_ZL33flash_attn_stream_k_fixup_uniformILi64ELi1ELi2EEvPfPK15HIP_vector_typeIfLj2EEiiiiiiS1_IjLj3EES5_S5_, .Lfunc_end50-_ZL33flash_attn_stream_k_fixup_uniformILi64ELi1ELi2EEvPfPK15HIP_vector_typeIfLj2EEiiiiiiS1_IjLj3EES5_S5_
                                        ; -- End function
	.section	.AMDGPU.csdata,"",@progbits
; Kernel info:
; codeLenInByte = 968
; NumSgprs: 22
; NumVgprs: 15
; ScratchSize: 0
; MemoryBound: 0
; FloatMode: 240
; IeeeMode: 1
; LDSByteSize: 0 bytes/workgroup (compile time only)
; SGPRBlocks: 2
; VGPRBlocks: 1
; NumSGPRsForWavesPerEU: 22
; NumVGPRsForWavesPerEU: 15
; Occupancy: 16
; WaveLimiterHint : 0
; COMPUTE_PGM_RSRC2:SCRATCH_EN: 0
; COMPUTE_PGM_RSRC2:USER_SGPR: 13
; COMPUTE_PGM_RSRC2:TRAP_HANDLER: 0
; COMPUTE_PGM_RSRC2:TGID_X_EN: 1
; COMPUTE_PGM_RSRC2:TGID_Y_EN: 1
; COMPUTE_PGM_RSRC2:TGID_Z_EN: 1
; COMPUTE_PGM_RSRC2:TIDIG_COMP_CNT: 0
	.section	.text._ZL33flash_attn_stream_k_fixup_generalILi64ELi1ELi2EEvPfPK15HIP_vector_typeIfLj2EEiiiiS1_IjLj3EES5_S5_S5_,"axG",@progbits,_ZL33flash_attn_stream_k_fixup_generalILi64ELi1ELi2EEvPfPK15HIP_vector_typeIfLj2EEiiiiS1_IjLj3EES5_S5_S5_,comdat
	.globl	_ZL33flash_attn_stream_k_fixup_generalILi64ELi1ELi2EEvPfPK15HIP_vector_typeIfLj2EEiiiiS1_IjLj3EES5_S5_S5_ ; -- Begin function _ZL33flash_attn_stream_k_fixup_generalILi64ELi1ELi2EEvPfPK15HIP_vector_typeIfLj2EEiiiiS1_IjLj3EES5_S5_S5_
	.p2align	8
	.type	_ZL33flash_attn_stream_k_fixup_generalILi64ELi1ELi2EEvPfPK15HIP_vector_typeIfLj2EEiiiiS1_IjLj3EES5_S5_S5_,@function
_ZL33flash_attn_stream_k_fixup_generalILi64ELi1ELi2EEvPfPK15HIP_vector_typeIfLj2EEiiiiS1_IjLj3EES5_S5_S5_: ; @_ZL33flash_attn_stream_k_fixup_generalILi64ELi1ELi2EEvPfPK15HIP_vector_typeIfLj2EEiiiiS1_IjLj3EES5_S5_S5_
; %bb.0:
	s_clause 0x1
	s_load_b128 s[4:7], s[0:1], 0x10
	s_load_b32 s20, s[0:1], 0x50
	s_mov_b32 s2, 0
	s_waitcnt lgkmcnt(0)
	s_mul_hi_i32 s3, s7, s13
	s_mul_i32 s12, s7, s13
	s_cmp_lg_u64 s[2:3], 0
	s_cbranch_scc0 .LBB51_21
; %bb.1:
	v_cvt_f32_ubyte0_e32 v1, 0
	v_cvt_f32_u32_e32 v2, s20
	s_sub_u32 s10, 0, s20
	s_subb_u32 s11, 0, 0
	s_delay_alu instid0(VALU_DEP_1) | instskip(NEXT) | instid1(VALU_DEP_1)
	v_fmamk_f32 v1, v1, 0x4f800000, v2
	v_rcp_f32_e32 v1, v1
	s_waitcnt_depctr 0xfff
	v_mul_f32_e32 v1, 0x5f7ffffc, v1
	s_delay_alu instid0(VALU_DEP_1) | instskip(NEXT) | instid1(VALU_DEP_1)
	v_mul_f32_e32 v2, 0x2f800000, v1
	v_trunc_f32_e32 v2, v2
	s_delay_alu instid0(VALU_DEP_1) | instskip(SKIP_1) | instid1(VALU_DEP_2)
	v_fmamk_f32 v1, v2, 0xcf800000, v1
	v_cvt_u32_f32_e32 v2, v2
	v_cvt_u32_f32_e32 v1, v1
	s_delay_alu instid0(VALU_DEP_2) | instskip(NEXT) | instid1(VALU_DEP_2)
	v_readfirstlane_b32 s8, v2
	v_readfirstlane_b32 s9, v1
	s_delay_alu instid0(VALU_DEP_2) | instskip(NEXT) | instid1(VALU_DEP_1)
	s_mul_i32 s16, s10, s8
	s_mul_hi_u32 s18, s10, s9
	s_mul_i32 s17, s11, s9
	s_add_i32 s16, s18, s16
	s_mul_i32 s19, s10, s9
	s_add_i32 s16, s16, s17
	s_mul_hi_u32 s18, s9, s19
	s_mul_hi_u32 s21, s8, s19
	s_mul_i32 s17, s8, s19
	s_mul_hi_u32 s19, s9, s16
	s_mul_i32 s9, s9, s16
	s_mul_hi_u32 s22, s8, s16
	s_add_u32 s9, s18, s9
	s_addc_u32 s18, 0, s19
	s_add_u32 s9, s9, s17
	s_mul_i32 s16, s8, s16
	s_addc_u32 s9, s18, s21
	s_addc_u32 s17, s22, 0
	s_add_u32 s9, s9, s16
	s_addc_u32 s16, 0, s17
	v_add_co_u32 v1, s9, v1, s9
	s_delay_alu instid0(VALU_DEP_1) | instskip(SKIP_1) | instid1(VALU_DEP_1)
	s_cmp_lg_u32 s9, 0
	s_addc_u32 s8, s8, s16
	v_readfirstlane_b32 s9, v1
	s_mul_i32 s16, s10, s8
	s_delay_alu instid0(VALU_DEP_1)
	s_mul_hi_u32 s17, s10, s9
	s_mul_i32 s11, s11, s9
	s_add_i32 s16, s17, s16
	s_mul_i32 s10, s10, s9
	s_add_i32 s16, s16, s11
	s_mul_hi_u32 s17, s8, s10
	s_mul_i32 s18, s8, s10
	s_mul_hi_u32 s10, s9, s10
	s_mul_hi_u32 s19, s9, s16
	s_mul_i32 s9, s9, s16
	s_mul_hi_u32 s11, s8, s16
	s_add_u32 s9, s10, s9
	s_addc_u32 s10, 0, s19
	s_add_u32 s9, s9, s18
	s_mul_i32 s16, s8, s16
	s_addc_u32 s9, s10, s17
	s_addc_u32 s10, s11, 0
	s_add_u32 s9, s9, s16
	s_addc_u32 s10, 0, s10
	v_add_co_u32 v1, s9, v1, s9
	s_delay_alu instid0(VALU_DEP_1) | instskip(SKIP_2) | instid1(SALU_CYCLE_1)
	s_cmp_lg_u32 s9, 0
	s_addc_u32 s16, s8, s10
	s_ashr_i32 s8, s3, 31
	s_add_u32 s10, s12, s8
	s_addc_u32 s11, s3, s8
	v_readfirstlane_b32 s3, v1
	s_mov_b32 s9, s8
	s_delay_alu instid0(SALU_CYCLE_1) | instskip(NEXT) | instid1(SALU_CYCLE_1)
	s_xor_b64 s[10:11], s[10:11], s[8:9]
	s_mul_i32 s18, s10, s16
	s_delay_alu instid0(VALU_DEP_1)
	s_mul_hi_u32 s19, s10, s3
	s_mul_hi_u32 s17, s10, s16
	;; [unrolled: 1-line block ×3, first 2 shown]
	s_mul_i32 s3, s11, s3
	s_add_u32 s18, s19, s18
	s_addc_u32 s17, 0, s17
	s_mul_hi_u32 s21, s11, s16
	s_add_u32 s3, s18, s3
	s_mul_i32 s16, s11, s16
	s_addc_u32 s3, s17, s22
	s_addc_u32 s17, s21, 0
	s_add_u32 s3, s3, s16
	s_addc_u32 s16, 0, s17
	s_mul_i32 s18, s20, s3
	s_add_u32 s17, s3, 1
	v_sub_co_u32 v1, s10, s10, s18
	s_mul_hi_u32 s18, s20, s3
	s_addc_u32 s19, s16, 0
	s_mul_i32 s21, s20, s16
	s_delay_alu instid0(VALU_DEP_1)
	v_sub_co_u32 v2, s22, v1, s20
	s_add_u32 s23, s3, 2
	s_addc_u32 s24, s16, 0
	s_add_i32 s18, s18, s21
	s_cmp_lg_u32 s10, 0
	v_readfirstlane_b32 s10, v2
	s_subb_u32 s11, s11, s18
	s_cmp_lg_u32 s22, 0
	s_subb_u32 s18, s11, 0
	s_delay_alu instid0(VALU_DEP_1) | instskip(SKIP_4) | instid1(SALU_CYCLE_1)
	s_cmp_ge_u32 s10, s20
	s_cselect_b32 s10, -1, 0
	s_cmp_eq_u32 s18, 0
	v_readfirstlane_b32 s18, v1
	s_cselect_b32 s10, s10, -1
	s_cmp_lg_u32 s10, 0
	s_cselect_b32 s10, s23, s17
	s_cselect_b32 s17, s24, s19
	s_cmp_ge_u32 s18, s20
	s_cselect_b32 s18, -1, 0
	s_cmp_eq_u32 s11, 0
	s_cselect_b32 s11, s18, -1
	s_delay_alu instid0(SALU_CYCLE_1) | instskip(SKIP_2) | instid1(SALU_CYCLE_1)
	s_cmp_lg_u32 s11, 0
	s_cselect_b32 s11, s17, s16
	s_cselect_b32 s10, s10, s3
	s_xor_b64 s[10:11], s[10:11], s[8:9]
	s_delay_alu instid0(SALU_CYCLE_1)
	s_sub_u32 s16, s10, s8
	s_load_b128 s[8:11], s[0:1], 0x44
	s_and_not1_b32 vcc_lo, exec_lo, s2
	s_cbranch_vccnz .LBB51_3
.LBB51_2:
	v_cvt_f32_u32_e32 v1, s20
	s_sub_i32 s3, 0, s20
	s_delay_alu instid0(VALU_DEP_1) | instskip(SKIP_2) | instid1(VALU_DEP_1)
	v_rcp_iflag_f32_e32 v1, v1
	s_waitcnt_depctr 0xfff
	v_mul_f32_e32 v1, 0x4f7ffffe, v1
	v_cvt_u32_f32_e32 v1, v1
	s_delay_alu instid0(VALU_DEP_1) | instskip(NEXT) | instid1(VALU_DEP_1)
	v_readfirstlane_b32 s2, v1
	s_mul_i32 s3, s3, s2
	s_delay_alu instid0(SALU_CYCLE_1) | instskip(NEXT) | instid1(SALU_CYCLE_1)
	s_mul_hi_u32 s3, s2, s3
	s_add_i32 s2, s2, s3
	s_delay_alu instid0(SALU_CYCLE_1) | instskip(NEXT) | instid1(SALU_CYCLE_1)
	s_mul_hi_u32 s2, s12, s2
	s_mul_i32 s3, s2, s20
	s_waitcnt lgkmcnt(0)
	s_add_i32 s11, s2, 1
	s_sub_i32 s3, s12, s3
	s_delay_alu instid0(SALU_CYCLE_1)
	s_sub_i32 s12, s3, s20
	s_cmp_ge_u32 s3, s20
	s_cselect_b32 s2, s11, s2
	s_cselect_b32 s3, s12, s3
	s_add_i32 s11, s2, 1
	s_cmp_ge_u32 s3, s20
	s_cselect_b32 s16, s11, s2
.LBB51_3:
	s_waitcnt lgkmcnt(0)
	s_add_i32 s11, s13, 1
	s_mov_b32 s2, 0
	s_mul_hi_i32 s3, s7, s11
	s_mul_i32 s11, s7, s11
	s_cmp_lg_u64 s[2:3], 0
	s_cbranch_scc0 .LBB51_22
; %bb.4:
	v_cvt_f32_ubyte0_e32 v1, 0
	v_cvt_f32_u32_e32 v2, s20
	s_sub_u32 s18, 0, s20
	s_subb_u32 s19, 0, 0
	s_delay_alu instid0(VALU_DEP_1) | instskip(NEXT) | instid1(VALU_DEP_1)
	v_fmamk_f32 v1, v1, 0x4f800000, v2
	v_rcp_f32_e32 v1, v1
	s_waitcnt_depctr 0xfff
	v_mul_f32_e32 v1, 0x5f7ffffc, v1
	s_delay_alu instid0(VALU_DEP_1) | instskip(NEXT) | instid1(VALU_DEP_1)
	v_mul_f32_e32 v2, 0x2f800000, v1
	v_trunc_f32_e32 v2, v2
	s_delay_alu instid0(VALU_DEP_1) | instskip(SKIP_1) | instid1(VALU_DEP_2)
	v_fmamk_f32 v1, v2, 0xcf800000, v1
	v_cvt_u32_f32_e32 v2, v2
	v_cvt_u32_f32_e32 v1, v1
	s_delay_alu instid0(VALU_DEP_2) | instskip(NEXT) | instid1(VALU_DEP_2)
	v_readfirstlane_b32 s12, v2
	v_readfirstlane_b32 s17, v1
	s_delay_alu instid0(VALU_DEP_2) | instskip(NEXT) | instid1(VALU_DEP_1)
	s_mul_i32 s21, s18, s12
	s_mul_hi_u32 s23, s18, s17
	s_mul_i32 s22, s19, s17
	s_add_i32 s21, s23, s21
	s_mul_i32 s24, s18, s17
	s_add_i32 s21, s21, s22
	s_mul_hi_u32 s23, s17, s24
	s_mul_hi_u32 s25, s12, s24
	s_mul_i32 s22, s12, s24
	s_mul_hi_u32 s24, s17, s21
	s_mul_i32 s17, s17, s21
	s_mul_hi_u32 s26, s12, s21
	s_add_u32 s17, s23, s17
	s_addc_u32 s23, 0, s24
	s_add_u32 s17, s17, s22
	s_mul_i32 s21, s12, s21
	s_addc_u32 s17, s23, s25
	s_addc_u32 s22, s26, 0
	s_add_u32 s17, s17, s21
	s_addc_u32 s21, 0, s22
	v_add_co_u32 v1, s17, v1, s17
	s_delay_alu instid0(VALU_DEP_1) | instskip(SKIP_1) | instid1(VALU_DEP_1)
	s_cmp_lg_u32 s17, 0
	s_addc_u32 s12, s12, s21
	v_readfirstlane_b32 s17, v1
	s_mul_i32 s21, s18, s12
	s_delay_alu instid0(VALU_DEP_1)
	s_mul_hi_u32 s22, s18, s17
	s_mul_i32 s19, s19, s17
	s_add_i32 s21, s22, s21
	s_mul_i32 s18, s18, s17
	s_add_i32 s21, s21, s19
	s_mul_hi_u32 s22, s12, s18
	s_mul_i32 s23, s12, s18
	s_mul_hi_u32 s18, s17, s18
	s_mul_hi_u32 s24, s17, s21
	s_mul_i32 s17, s17, s21
	s_mul_hi_u32 s19, s12, s21
	s_add_u32 s17, s18, s17
	s_addc_u32 s18, 0, s24
	s_add_u32 s17, s17, s23
	s_mul_i32 s21, s12, s21
	s_addc_u32 s17, s18, s22
	s_addc_u32 s18, s19, 0
	s_add_u32 s17, s17, s21
	s_addc_u32 s18, 0, s18
	v_add_co_u32 v1, s17, v1, s17
	s_delay_alu instid0(VALU_DEP_1) | instskip(SKIP_2) | instid1(SALU_CYCLE_1)
	s_cmp_lg_u32 s17, 0
	s_addc_u32 s12, s12, s18
	s_ashr_i32 s18, s3, 31
	s_add_u32 s22, s11, s18
	s_addc_u32 s23, s3, s18
	v_readfirstlane_b32 s3, v1
	s_mov_b32 s19, s18
	s_delay_alu instid0(SALU_CYCLE_1) | instskip(NEXT) | instid1(SALU_CYCLE_1)
	s_xor_b64 s[22:23], s[22:23], s[18:19]
	s_mul_i32 s21, s22, s12
	s_delay_alu instid0(VALU_DEP_1)
	s_mul_hi_u32 s24, s22, s3
	s_mul_hi_u32 s17, s22, s12
	;; [unrolled: 1-line block ×3, first 2 shown]
	s_mul_i32 s3, s23, s3
	s_add_u32 s21, s24, s21
	s_addc_u32 s17, 0, s17
	s_mul_hi_u32 s25, s23, s12
	s_add_u32 s3, s21, s3
	s_mul_i32 s12, s23, s12
	s_addc_u32 s3, s17, s26
	s_addc_u32 s17, s25, 0
	s_add_u32 s3, s3, s12
	s_addc_u32 s12, 0, s17
	s_mul_i32 s21, s20, s3
	s_add_u32 s17, s3, 1
	v_sub_co_u32 v1, s21, s22, s21
	s_mul_hi_u32 s22, s20, s3
	s_addc_u32 s24, s12, 0
	s_mul_i32 s25, s20, s12
	s_delay_alu instid0(VALU_DEP_1)
	v_sub_co_u32 v2, s26, v1, s20
	s_add_u32 s27, s3, 2
	s_addc_u32 s28, s12, 0
	s_add_i32 s22, s22, s25
	s_cmp_lg_u32 s21, 0
	v_readfirstlane_b32 s21, v2
	s_subb_u32 s22, s23, s22
	s_cmp_lg_u32 s26, 0
	s_subb_u32 s23, s22, 0
	s_delay_alu instid0(VALU_DEP_1) | instskip(SKIP_4) | instid1(SALU_CYCLE_1)
	s_cmp_ge_u32 s21, s20
	s_cselect_b32 s21, -1, 0
	s_cmp_eq_u32 s23, 0
	v_readfirstlane_b32 s23, v1
	s_cselect_b32 s21, s21, -1
	s_cmp_lg_u32 s21, 0
	s_cselect_b32 s17, s27, s17
	s_cselect_b32 s21, s28, s24
	s_cmp_ge_u32 s23, s20
	s_cselect_b32 s23, -1, 0
	s_cmp_eq_u32 s22, 0
	s_cselect_b32 s22, s23, -1
	s_delay_alu instid0(SALU_CYCLE_1) | instskip(SKIP_2) | instid1(SALU_CYCLE_1)
	s_cmp_lg_u32 s22, 0
	s_cselect_b32 s23, s21, s12
	s_cselect_b32 s22, s17, s3
	s_xor_b64 s[22:23], s[22:23], s[18:19]
	s_delay_alu instid0(SALU_CYCLE_1)
	s_sub_u32 s18, s22, s18
	s_and_not1_b32 vcc_lo, exec_lo, s2
	s_cbranch_vccnz .LBB51_6
.LBB51_5:
	v_cvt_f32_u32_e32 v1, s20
	s_sub_i32 s3, 0, s20
	s_delay_alu instid0(VALU_DEP_1) | instskip(SKIP_2) | instid1(VALU_DEP_1)
	v_rcp_iflag_f32_e32 v1, v1
	s_waitcnt_depctr 0xfff
	v_mul_f32_e32 v1, 0x4f7ffffe, v1
	v_cvt_u32_f32_e32 v1, v1
	s_delay_alu instid0(VALU_DEP_1) | instskip(NEXT) | instid1(VALU_DEP_1)
	v_readfirstlane_b32 s2, v1
	s_mul_i32 s3, s3, s2
	s_delay_alu instid0(SALU_CYCLE_1) | instskip(NEXT) | instid1(SALU_CYCLE_1)
	s_mul_hi_u32 s3, s2, s3
	s_add_i32 s2, s2, s3
	s_delay_alu instid0(SALU_CYCLE_1) | instskip(NEXT) | instid1(SALU_CYCLE_1)
	s_mul_hi_u32 s2, s11, s2
	s_mul_i32 s3, s2, s20
	s_delay_alu instid0(SALU_CYCLE_1)
	s_sub_i32 s3, s11, s3
	s_add_i32 s11, s2, 1
	s_sub_i32 s12, s3, s20
	s_cmp_ge_u32 s3, s20
	s_cselect_b32 s2, s11, s2
	s_cselect_b32 s3, s12, s3
	s_add_i32 s11, s2, 1
	s_cmp_ge_u32 s3, s20
	s_cselect_b32 s18, s11, s2
.LBB51_6:
	s_delay_alu instid0(SALU_CYCLE_1) | instskip(SKIP_3) | instid1(SALU_CYCLE_1)
	s_cmp_eq_u32 s16, s18
	s_mul_hi_u32 s2, s16, s8
	s_cselect_b32 s3, -1, 0
	s_add_i32 s2, s2, s16
	s_lshr_b32 s11, s2, s9
	s_delay_alu instid0(SALU_CYCLE_1) | instskip(NEXT) | instid1(SALU_CYCLE_1)
	s_mul_i32 s2, s11, s10
	s_cmp_eq_u32 s2, s16
	s_mul_hi_u32 s2, s18, s8
	s_cselect_b32 s12, -1, 0
	s_add_i32 s2, s2, s18
	s_delay_alu instid0(SALU_CYCLE_1) | instskip(NEXT) | instid1(SALU_CYCLE_1)
	s_lshr_b32 s2, s2, s9
	s_cmp_eq_u32 s11, s2
	s_mul_i32 s2, s2, s10
	s_cselect_b32 s17, -1, 0
	s_cmp_lg_u32 s2, s18
	s_cselect_b32 s2, -1, 0
	s_or_b32 s3, s3, s12
	s_and_b32 s2, s17, s2
	s_delay_alu instid0(SALU_CYCLE_1) | instskip(NEXT) | instid1(SALU_CYCLE_1)
	s_or_b32 s2, s3, s2
	s_and_b32 vcc_lo, exec_lo, s2
	s_cbranch_vccnz .LBB51_24
; %bb.7:
	s_load_b256 s[24:31], s[0:1], 0x20
	s_waitcnt lgkmcnt(0)
	s_mul_hi_u32 s2, s16, s24
	s_delay_alu instid0(SALU_CYCLE_1) | instskip(NEXT) | instid1(SALU_CYCLE_1)
	s_add_i32 s2, s2, s16
	s_lshr_b32 s17, s2, s25
	s_load_b32 s2, s[0:1], 0x40
	s_mul_i32 s3, s17, s26
	s_delay_alu instid0(SALU_CYCLE_1) | instskip(NEXT) | instid1(SALU_CYCLE_1)
	s_sub_i32 s3, s16, s3
	s_mul_hi_u32 s12, s3, s27
	s_delay_alu instid0(SALU_CYCLE_1) | instskip(NEXT) | instid1(SALU_CYCLE_1)
	s_add_i32 s12, s3, s12
	s_lshr_b32 s18, s12, s28
	s_delay_alu instid0(SALU_CYCLE_1) | instskip(NEXT) | instid1(SALU_CYCLE_1)
	s_mul_i32 s12, s18, s29
	s_sub_i32 s3, s3, s12
	s_delay_alu instid0(SALU_CYCLE_1) | instskip(NEXT) | instid1(SALU_CYCLE_1)
	s_mul_hi_u32 s12, s3, s30
	s_add_i32 s12, s3, s12
	s_delay_alu instid0(SALU_CYCLE_1)
	s_lshr_b32 s12, s12, s31
	s_waitcnt lgkmcnt(0)
	s_mul_i32 s2, s12, s2
	s_lshl_b32 s21, s12, 1
	s_sub_i32 s2, s3, s2
	s_mov_b32 s12, 0
	s_mul_hi_u32 s3, s2, s8
	s_delay_alu instid0(SALU_CYCLE_1) | instskip(NEXT) | instid1(SALU_CYCLE_1)
	s_add_i32 s2, s2, s3
	s_lshr_b32 s19, s2, s9
	s_delay_alu instid0(SALU_CYCLE_1) | instskip(NEXT) | instid1(SALU_CYCLE_1)
	s_add_i32 s19, s19, s14
	s_cmp_lt_i32 s19, s4
	s_cselect_b32 s2, -1, 0
	s_add_i32 s21, s21, s15
	s_delay_alu instid0(SALU_CYCLE_1) | instskip(SKIP_1) | instid1(SALU_CYCLE_1)
	s_cmp_lt_i32 s21, s6
	s_cselect_b32 s3, -1, 0
	s_and_b32 s2, s2, s3
	s_delay_alu instid0(SALU_CYCLE_1)
	s_and_not1_b32 vcc_lo, exec_lo, s2
	s_cbranch_vccnz .LBB51_24
; %bb.8:
	s_load_b128 s[0:3], s[0:1], 0x0
	s_lshl_b32 s22, s20, 3
	s_mov_b32 s23, s12
	s_mul_i32 s4, s17, s4
	s_lshl_b64 s[22:23], s[22:23], 2
	s_mul_i32 s18, s18, s6
	v_cvt_f32_ubyte0_e32 v4, 0
	v_cvt_f32_u32_e32 v5, s20
	s_waitcnt lgkmcnt(0)
	s_add_u32 s6, s2, s22
	s_addc_u32 s17, s3, s23
	s_add_i32 s4, s19, s4
	s_add_i32 s18, s21, s18
	s_mul_i32 s4, s4, s5
	s_delay_alu instid0(SALU_CYCLE_1) | instskip(NEXT) | instid1(SALU_CYCLE_1)
	s_add_i32 s18, s18, s4
	v_lshl_or_b32 v1, s18, 6, v0
	v_lshl_or_b32 v0, s15, 6, v0
	s_delay_alu instid0(VALU_DEP_2) | instskip(NEXT) | instid1(VALU_DEP_1)
	v_ashrrev_i32_e32 v2, 31, v1
	v_lshlrev_b64 v[1:2], 2, v[1:2]
	s_delay_alu instid0(VALU_DEP_1) | instskip(NEXT) | instid1(VALU_DEP_2)
	v_add_co_u32 v1, vcc_lo, s0, v1
	v_add_co_ci_u32_e32 v2, vcc_lo, s1, v2, vcc_lo
	s_add_i32 s0, s14, s13
	s_delay_alu instid0(SALU_CYCLE_1) | instskip(SKIP_2) | instid1(SALU_CYCLE_1)
	s_lshl_b32 s0, s0, 1
	global_load_b32 v3, v[1:2], off
	s_add_i32 s0, s0, s15
	s_ashr_i32 s1, s0, 31
	s_delay_alu instid0(SALU_CYCLE_1) | instskip(NEXT) | instid1(SALU_CYCLE_1)
	s_lshl_b64 s[0:1], s[0:1], 3
	s_add_u32 s0, s2, s0
	s_addc_u32 s1, s3, s1
	s_add_i32 s19, s13, -1
	s_load_b64 s[0:1], s[0:1], 0x0
	v_fmac_f32_e32 v5, 0x4f800000, v4
	s_sub_i32 s18, 0, s20
	s_waitcnt lgkmcnt(0)
	v_mov_b32_e32 v8, s0
	s_delay_alu instid0(VALU_DEP_2) | instskip(SKIP_2) | instid1(VALU_DEP_2)
	v_rcp_f32_e32 v4, v5
	v_cvt_f32_u32_e32 v5, s20
	v_mov_b32_e32 v7, s1
	v_rcp_iflag_f32_e32 v5, v5
	s_waitcnt_depctr 0xfff
	v_mul_f32_e32 v4, 0x5f7ffffc, v4
	s_delay_alu instid0(VALU_DEP_1) | instskip(SKIP_1) | instid1(VALU_DEP_2)
	v_mul_f32_e32 v6, 0x2f800000, v4
	v_mul_f32_e32 v9, 0x4f7ffffe, v5
	v_trunc_f32_e32 v6, v6
	s_delay_alu instid0(VALU_DEP_1) | instskip(SKIP_1) | instid1(VALU_DEP_4)
	v_fmac_f32_e32 v4, 0xcf800000, v6
	v_cvt_u32_f32_e32 v5, v6
	v_cvt_u32_f32_e32 v6, v9
	s_delay_alu instid0(VALU_DEP_3)
	v_cvt_u32_f32_e32 v4, v4
.LBB51_9:                               ; =>This Inner Loop Header: Depth=1
	s_mul_hi_i32 s13, s19, s7
	s_mul_i32 s4, s19, s7
	s_cmp_lg_u64 s[12:13], 0
	s_mov_b32 s5, -1
                                        ; implicit-def: $sgpr0_sgpr1
	s_cbranch_scc0 .LBB51_11
; %bb.10:                               ;   in Loop: Header=BB51_9 Depth=1
	v_readfirstlane_b32 s0, v4
	v_readfirstlane_b32 s1, v5
	s_sub_u32 s5, 0, s20
	s_subb_u32 s21, 0, 0
	s_delay_alu instid0(VALU_DEP_2) | instskip(NEXT) | instid1(VALU_DEP_1)
	s_mul_hi_u32 s22, s5, s0
	s_mul_i32 s23, s5, s1
	s_mul_i32 s24, s21, s0
	s_add_i32 s22, s22, s23
	s_mul_i32 s23, s5, s0
	s_add_i32 s22, s22, s24
	s_mul_hi_u32 s24, s0, s23
	s_mul_i32 s25, s0, s22
	s_mul_hi_u32 s0, s0, s22
	s_add_u32 s24, s24, s25
	s_mul_i32 s26, s1, s23
	s_addc_u32 s0, 0, s0
	s_mul_hi_u32 s23, s1, s23
	s_mul_hi_u32 s25, s1, s22
	s_add_u32 s24, s24, s26
	s_addc_u32 s0, s0, s23
	s_mul_i32 s22, s1, s22
	s_addc_u32 s23, s25, 0
	s_add_u32 s0, s0, s22
	s_addc_u32 s22, 0, s23
	v_add_co_u32 v9, s0, v4, s0
	s_delay_alu instid0(VALU_DEP_1) | instskip(SKIP_1) | instid1(VALU_DEP_1)
	s_cmp_lg_u32 s0, 0
	s_addc_u32 s1, s1, s22
	v_readfirstlane_b32 s0, v9
	s_mul_i32 s22, s5, s1
	s_delay_alu instid0(VALU_DEP_1)
	s_mul_hi_u32 s23, s5, s0
	s_mul_i32 s21, s21, s0
	s_add_i32 s22, s23, s22
	s_mul_i32 s5, s5, s0
	s_add_i32 s22, s22, s21
	s_mul_hi_u32 s21, s1, s5
	s_mul_i32 s24, s1, s5
	s_mul_i32 s25, s0, s22
	s_mul_hi_u32 s5, s0, s5
	s_mul_hi_u32 s0, s0, s22
	s_add_u32 s5, s5, s25
	s_addc_u32 s0, 0, s0
	s_mul_hi_u32 s23, s1, s22
	s_add_u32 s5, s5, s24
	s_addc_u32 s0, s0, s21
	s_mul_i32 s5, s1, s22
	s_addc_u32 s21, s23, 0
	s_add_u32 s0, s0, s5
	s_addc_u32 s5, 0, s21
	v_add_co_u32 v9, s0, v9, s0
	s_delay_alu instid0(VALU_DEP_1) | instskip(SKIP_2) | instid1(SALU_CYCLE_1)
	s_cmp_lg_u32 s0, 0
	s_addc_u32 s5, s1, s5
	s_ashr_i32 s0, s13, 31
	s_add_u32 s22, s4, s0
	s_addc_u32 s23, s13, s0
	v_readfirstlane_b32 s13, v9
	s_mov_b32 s1, s0
	s_delay_alu instid0(SALU_CYCLE_1) | instskip(NEXT) | instid1(SALU_CYCLE_1)
	s_xor_b64 s[22:23], s[22:23], s[0:1]
	s_mul_i32 s21, s22, s5
	s_delay_alu instid0(VALU_DEP_1)
	s_mul_hi_u32 s24, s22, s13
	s_mul_hi_u32 s25, s22, s5
	s_add_u32 s21, s24, s21
	s_mul_i32 s26, s23, s13
	s_addc_u32 s24, 0, s25
	s_mul_hi_u32 s13, s23, s13
	s_mul_hi_u32 s25, s23, s5
	s_add_u32 s21, s21, s26
	s_addc_u32 s13, s24, s13
	s_mul_i32 s5, s23, s5
	s_addc_u32 s21, s25, 0
	s_add_u32 s5, s13, s5
	s_addc_u32 s13, 0, s21
	s_mul_i32 s24, s20, s5
	s_add_u32 s21, s5, 1
	v_sub_co_u32 v9, s22, s22, s24
	s_addc_u32 s24, s13, 0
	s_mul_i32 s26, s20, s13
	s_mul_hi_u32 s28, s20, s5
	s_delay_alu instid0(VALU_DEP_1)
	v_sub_co_u32 v10, s27, v9, s20
	s_add_u32 s25, s5, 2
	s_addc_u32 s29, s13, 0
	s_add_i32 s28, s28, s26
	s_cmp_lg_u32 s22, 0
	v_readfirstlane_b32 s22, v10
	s_subb_u32 s23, s23, s28
	s_cmp_lg_u32 s27, 0
	s_subb_u32 s26, s23, 0
	s_delay_alu instid0(VALU_DEP_1) | instskip(SKIP_4) | instid1(SALU_CYCLE_1)
	s_cmp_ge_u32 s22, s20
	s_cselect_b32 s22, -1, 0
	s_cmp_eq_u32 s26, 0
	v_readfirstlane_b32 s26, v9
	s_cselect_b32 s22, s22, -1
	s_cmp_lg_u32 s22, 0
	s_cselect_b32 s21, s25, s21
	s_cselect_b32 s22, s29, s24
	s_cmp_ge_u32 s26, s20
	s_cselect_b32 s24, -1, 0
	s_cmp_eq_u32 s23, 0
	s_cselect_b32 s23, s24, -1
	s_delay_alu instid0(SALU_CYCLE_1) | instskip(SKIP_4) | instid1(SALU_CYCLE_1)
	s_cmp_lg_u32 s23, 0
	s_cselect_b32 s23, s22, s13
	s_cselect_b32 s22, s21, s5
	s_mov_b32 s5, 0
	s_xor_b64 s[22:23], s[22:23], s[0:1]
	s_sub_u32 s0, s22, s0
.LBB51_11:                              ;   in Loop: Header=BB51_9 Depth=1
	s_and_not1_b32 vcc_lo, exec_lo, s5
	s_cbranch_vccnz .LBB51_13
; %bb.12:                               ;   in Loop: Header=BB51_9 Depth=1
	v_readfirstlane_b32 s0, v6
	s_delay_alu instid0(VALU_DEP_1) | instskip(NEXT) | instid1(SALU_CYCLE_1)
	s_mul_i32 s1, s18, s0
	s_mul_hi_u32 s1, s0, s1
	s_delay_alu instid0(SALU_CYCLE_1) | instskip(NEXT) | instid1(SALU_CYCLE_1)
	s_add_i32 s0, s0, s1
	s_mul_hi_u32 s0, s4, s0
	s_delay_alu instid0(SALU_CYCLE_1) | instskip(NEXT) | instid1(SALU_CYCLE_1)
	s_mul_i32 s1, s0, s20
	s_sub_i32 s1, s4, s1
	s_add_i32 s4, s0, 1
	s_sub_i32 s5, s1, s20
	s_cmp_ge_u32 s1, s20
	s_cselect_b32 s0, s4, s0
	s_cselect_b32 s1, s5, s1
	s_add_i32 s4, s0, 1
	s_cmp_ge_u32 s1, s20
	s_cselect_b32 s0, s4, s0
.LBB51_13:                              ;   in Loop: Header=BB51_9 Depth=1
	s_delay_alu instid0(SALU_CYCLE_1)
	s_cmp_lg_u32 s16, s0
	s_cbranch_scc0 .LBB51_17
; %bb.14:                               ;   in Loop: Header=BB51_9 Depth=1
	s_add_i32 s22, s19, s14
	s_mov_b32 s5, s12
	s_add_i32 s1, s22, s20
	s_mov_b32 s21, s16
	s_lshl_b32 s1, s1, 1
	s_delay_alu instid0(SALU_CYCLE_1) | instskip(SKIP_2) | instid1(SALU_CYCLE_1)
	s_add_i32 s4, s1, s15
	s_mul_hi_u32 s1, s0, s8
	s_lshl_b64 s[4:5], s[4:5], 3
	s_add_u32 s4, s2, s4
	s_addc_u32 s5, s3, s5
	s_add_i32 s1, s1, s0
	s_delay_alu instid0(SALU_CYCLE_1) | instskip(NEXT) | instid1(SALU_CYCLE_1)
	s_lshr_b32 s1, s1, s9
	s_mul_i32 s13, s1, s10
	s_delay_alu instid0(SALU_CYCLE_1) | instskip(SKIP_3) | instid1(SALU_CYCLE_1)
	s_cmp_eq_u32 s13, s0
	s_cselect_b32 s13, -1, 0
	s_cmp_lt_u32 s1, s11
	s_cselect_b32 s1, -1, 0
	s_or_b32 s1, s1, s13
	s_mov_b32 s13, -1
	s_and_b32 vcc_lo, exec_lo, s1
	s_mov_b32 s1, s19
	s_cbranch_vccnz .LBB51_16
; %bb.15:                               ;   in Loop: Header=BB51_9 Depth=1
	s_add_i32 s1, s19, -1
	s_mov_b32 s13, 0
	s_mov_b32 s21, s0
.LBB51_16:                              ;   in Loop: Header=BB51_9 Depth=1
	v_lshl_add_u32 v9, s22, 7, v0
	s_load_b64 s[4:5], s[4:5], 0x0
	s_delay_alu instid0(VALU_DEP_1) | instskip(NEXT) | instid1(VALU_DEP_1)
	v_ashrrev_i32_e32 v10, 31, v9
	v_lshlrev_b64 v[9:10], 2, v[9:10]
	s_delay_alu instid0(VALU_DEP_1) | instskip(NEXT) | instid1(VALU_DEP_2)
	v_add_co_u32 v9, vcc_lo, s6, v9
	v_add_co_ci_u32_e32 v10, vcc_lo, s17, v10, vcc_lo
	s_waitcnt lgkmcnt(0)
	v_max_f32_e64 v11, s4, s4
	global_load_b32 v10, v[9:10], off
	v_max_f32_e32 v9, v8, v8
	s_delay_alu instid0(VALU_DEP_1) | instskip(NEXT) | instid1(VALU_DEP_1)
	v_max_f32_e32 v9, v9, v11
	v_sub_f32_e32 v12, v8, v9
	s_delay_alu instid0(VALU_DEP_1) | instskip(NEXT) | instid1(VALU_DEP_1)
	v_dual_mul_f32 v14, 0x3fb8aa3b, v12 :: v_dual_sub_f32 v11, s4, v9
	v_rndne_f32_e32 v18, v14
	s_delay_alu instid0(VALU_DEP_2) | instskip(SKIP_2) | instid1(VALU_DEP_4)
	v_mul_f32_e32 v13, 0x3fb8aa3b, v11
	v_fma_f32 v17, 0x3fb8aa3b, v12, -v14
	v_cmp_ngt_f32_e32 vcc_lo, 0xc2ce8ed0, v11
	v_sub_f32_e32 v14, v14, v18
	s_delay_alu instid0(VALU_DEP_4) | instskip(SKIP_2) | instid1(VALU_DEP_3)
	v_fma_f32 v15, 0x3fb8aa3b, v11, -v13
	v_rndne_f32_e32 v16, v13
	v_fmac_f32_e32 v17, 0x32a5705f, v12
	v_fmac_f32_e32 v15, 0x32a5705f, v11
	s_delay_alu instid0(VALU_DEP_2) | instskip(NEXT) | instid1(VALU_DEP_1)
	v_dual_sub_f32 v13, v13, v16 :: v_dual_add_f32 v14, v14, v17
	v_add_f32_e32 v13, v13, v15
	s_delay_alu instid0(VALU_DEP_2) | instskip(SKIP_2) | instid1(VALU_DEP_3)
	v_exp_f32_e32 v14, v14
	v_cvt_i32_f32_e32 v15, v16
	v_cvt_i32_f32_e32 v16, v18
	v_exp_f32_e32 v13, v13
	s_waitcnt_depctr 0xfff
	v_ldexp_f32 v14, v14, v16
	v_ldexp_f32 v13, v13, v15
	s_delay_alu instid0(VALU_DEP_1) | instskip(SKIP_1) | instid1(VALU_DEP_4)
	v_cndmask_b32_e32 v13, 0, v13, vcc_lo
	v_cmp_ngt_f32_e32 vcc_lo, 0xc2ce8ed0, v12
	v_cndmask_b32_e32 v14, 0, v14, vcc_lo
	v_cmp_nlt_f32_e32 vcc_lo, 0x42b17218, v11
	s_delay_alu instid0(VALU_DEP_4) | instskip(SKIP_1) | instid1(VALU_DEP_4)
	v_cndmask_b32_e32 v13, 0x7f800000, v13, vcc_lo
	v_cmp_nlt_f32_e32 vcc_lo, 0x42b17218, v12
	v_cndmask_b32_e32 v14, 0x7f800000, v14, vcc_lo
	v_cmp_le_f32_e32 vcc_lo, 0xc1a00000, v11
	s_delay_alu instid0(VALU_DEP_4) | instskip(SKIP_1) | instid1(VALU_DEP_4)
	v_cndmask_b32_e32 v11, 0, v13, vcc_lo
	v_cmp_le_f32_e32 vcc_lo, 0xc1a00000, v12
	v_cndmask_b32_e32 v12, 0, v14, vcc_lo
	s_waitcnt vmcnt(0)
	s_delay_alu instid0(VALU_DEP_3) | instskip(NEXT) | instid1(VALU_DEP_1)
	v_mul_f32_e32 v10, v10, v11
	v_dual_mul_f32 v11, s5, v11 :: v_dual_fmac_f32 v10, v3, v12
	s_delay_alu instid0(VALU_DEP_1)
	v_fmac_f32_e32 v11, v7, v12
	s_cbranch_execz .LBB51_18
	s_branch .LBB51_19
.LBB51_17:                              ;   in Loop: Header=BB51_9 Depth=1
                                        ; implicit-def: $sgpr13
                                        ; implicit-def: $vgpr10
                                        ; implicit-def: $vgpr9
                                        ; implicit-def: $vgpr11
                                        ; implicit-def: $sgpr1
                                        ; implicit-def: $sgpr21
.LBB51_18:                              ;   in Loop: Header=BB51_9 Depth=1
	v_mov_b32_e32 v11, v7
	s_waitcnt vmcnt(0)
	v_dual_mov_b32 v9, v8 :: v_dual_mov_b32 v10, v3
	s_add_i32 s1, s19, -1
	s_mov_b32 s13, 0
	s_mov_b32 s21, s16
.LBB51_19:                              ;   in Loop: Header=BB51_9 Depth=1
	s_and_not1_b32 vcc_lo, exec_lo, s13
	s_cbranch_vccz .LBB51_23
; %bb.20:                               ;   in Loop: Header=BB51_9 Depth=1
	v_dual_mov_b32 v7, v11 :: v_dual_mov_b32 v8, v9
	s_waitcnt vmcnt(0)
	v_mov_b32_e32 v3, v10
	s_mov_b32 s16, s21
	s_mov_b32 s19, s1
	s_branch .LBB51_9
.LBB51_21:
                                        ; implicit-def: $sgpr16_sgpr17
	s_load_b128 s[8:11], s[0:1], 0x44
	s_branch .LBB51_2
.LBB51_22:
                                        ; implicit-def: $sgpr18_sgpr19
	s_branch .LBB51_5
.LBB51_23:
	v_div_scale_f32 v0, null, v11, v11, v10
	s_waitcnt vmcnt(0)
	s_delay_alu instid0(VALU_DEP_1) | instskip(SKIP_2) | instid1(VALU_DEP_1)
	v_rcp_f32_e32 v3, v0
	s_waitcnt_depctr 0xfff
	v_fma_f32 v4, -v0, v3, 1.0
	v_fmac_f32_e32 v3, v4, v3
	v_div_scale_f32 v4, vcc_lo, v10, v11, v10
	s_delay_alu instid0(VALU_DEP_1) | instskip(NEXT) | instid1(VALU_DEP_1)
	v_mul_f32_e32 v5, v4, v3
	v_fma_f32 v6, -v0, v5, v4
	s_delay_alu instid0(VALU_DEP_1) | instskip(NEXT) | instid1(VALU_DEP_1)
	v_fmac_f32_e32 v5, v6, v3
	v_fma_f32 v0, -v0, v5, v4
	s_delay_alu instid0(VALU_DEP_1) | instskip(NEXT) | instid1(VALU_DEP_1)
	v_div_fmas_f32 v0, v0, v3, v5
	v_div_fixup_f32 v0, v0, v11, v10
	global_store_b32 v[1:2], v0, off
.LBB51_24:
	s_nop 0
	s_sendmsg sendmsg(MSG_DEALLOC_VGPRS)
	s_endpgm
	.section	.rodata,"a",@progbits
	.p2align	6, 0x0
	.amdhsa_kernel _ZL33flash_attn_stream_k_fixup_generalILi64ELi1ELi2EEvPfPK15HIP_vector_typeIfLj2EEiiiiS1_IjLj3EES5_S5_S5_
		.amdhsa_group_segment_fixed_size 0
		.amdhsa_private_segment_fixed_size 0
		.amdhsa_kernarg_size 336
		.amdhsa_user_sgpr_count 13
		.amdhsa_user_sgpr_dispatch_ptr 0
		.amdhsa_user_sgpr_queue_ptr 0
		.amdhsa_user_sgpr_kernarg_segment_ptr 1
		.amdhsa_user_sgpr_dispatch_id 0
		.amdhsa_user_sgpr_private_segment_size 0
		.amdhsa_wavefront_size32 1
		.amdhsa_uses_dynamic_stack 0
		.amdhsa_enable_private_segment 0
		.amdhsa_system_sgpr_workgroup_id_x 1
		.amdhsa_system_sgpr_workgroup_id_y 1
		.amdhsa_system_sgpr_workgroup_id_z 1
		.amdhsa_system_sgpr_workgroup_info 0
		.amdhsa_system_vgpr_workitem_id 0
		.amdhsa_next_free_vgpr 19
		.amdhsa_next_free_sgpr 32
		.amdhsa_reserve_vcc 1
		.amdhsa_float_round_mode_32 0
		.amdhsa_float_round_mode_16_64 0
		.amdhsa_float_denorm_mode_32 3
		.amdhsa_float_denorm_mode_16_64 3
		.amdhsa_dx10_clamp 1
		.amdhsa_ieee_mode 1
		.amdhsa_fp16_overflow 0
		.amdhsa_workgroup_processor_mode 1
		.amdhsa_memory_ordered 1
		.amdhsa_forward_progress 0
		.amdhsa_shared_vgpr_count 0
		.amdhsa_exception_fp_ieee_invalid_op 0
		.amdhsa_exception_fp_denorm_src 0
		.amdhsa_exception_fp_ieee_div_zero 0
		.amdhsa_exception_fp_ieee_overflow 0
		.amdhsa_exception_fp_ieee_underflow 0
		.amdhsa_exception_fp_ieee_inexact 0
		.amdhsa_exception_int_div_zero 0
	.end_amdhsa_kernel
	.section	.text._ZL33flash_attn_stream_k_fixup_generalILi64ELi1ELi2EEvPfPK15HIP_vector_typeIfLj2EEiiiiS1_IjLj3EES5_S5_S5_,"axG",@progbits,_ZL33flash_attn_stream_k_fixup_generalILi64ELi1ELi2EEvPfPK15HIP_vector_typeIfLj2EEiiiiS1_IjLj3EES5_S5_S5_,comdat
.Lfunc_end51:
	.size	_ZL33flash_attn_stream_k_fixup_generalILi64ELi1ELi2EEvPfPK15HIP_vector_typeIfLj2EEiiiiS1_IjLj3EES5_S5_S5_, .Lfunc_end51-_ZL33flash_attn_stream_k_fixup_generalILi64ELi1ELi2EEvPfPK15HIP_vector_typeIfLj2EEiiiiS1_IjLj3EES5_S5_S5_
                                        ; -- End function
	.section	.AMDGPU.csdata,"",@progbits
; Kernel info:
; codeLenInByte = 3200
; NumSgprs: 34
; NumVgprs: 19
; ScratchSize: 0
; MemoryBound: 0
; FloatMode: 240
; IeeeMode: 1
; LDSByteSize: 0 bytes/workgroup (compile time only)
; SGPRBlocks: 4
; VGPRBlocks: 2
; NumSGPRsForWavesPerEU: 34
; NumVGPRsForWavesPerEU: 19
; Occupancy: 16
; WaveLimiterHint : 0
; COMPUTE_PGM_RSRC2:SCRATCH_EN: 0
; COMPUTE_PGM_RSRC2:USER_SGPR: 13
; COMPUTE_PGM_RSRC2:TRAP_HANDLER: 0
; COMPUTE_PGM_RSRC2:TGID_X_EN: 1
; COMPUTE_PGM_RSRC2:TGID_Y_EN: 1
; COMPUTE_PGM_RSRC2:TGID_Z_EN: 1
; COMPUTE_PGM_RSRC2:TIDIG_COMP_CNT: 0
	.section	.text._ZL15flash_attn_tileILi64ELi64ELi64ELi1ELb0EEvPKcS1_S1_S1_S1_PKiPfP15HIP_vector_typeIfLj2EEffffjfiS5_IjLj3EEiiiiiiiiiiiliiliiiiil,"axG",@progbits,_ZL15flash_attn_tileILi64ELi64ELi64ELi1ELb0EEvPKcS1_S1_S1_S1_PKiPfP15HIP_vector_typeIfLj2EEffffjfiS5_IjLj3EEiiiiiiiiiiiliiliiiiil,comdat
	.globl	_ZL15flash_attn_tileILi64ELi64ELi64ELi1ELb0EEvPKcS1_S1_S1_S1_PKiPfP15HIP_vector_typeIfLj2EEffffjfiS5_IjLj3EEiiiiiiiiiiiliiliiiiil ; -- Begin function _ZL15flash_attn_tileILi64ELi64ELi64ELi1ELb0EEvPKcS1_S1_S1_S1_PKiPfP15HIP_vector_typeIfLj2EEffffjfiS5_IjLj3EEiiiiiiiiiiiliiliiiiil
	.p2align	8
	.type	_ZL15flash_attn_tileILi64ELi64ELi64ELi1ELb0EEvPKcS1_S1_S1_S1_PKiPfP15HIP_vector_typeIfLj2EEffffjfiS5_IjLj3EEiiiiiiiiiiiliiliiiiil,@function
_ZL15flash_attn_tileILi64ELi64ELi64ELi1ELb0EEvPKcS1_S1_S1_S1_PKiPfP15HIP_vector_typeIfLj2EEffffjfiS5_IjLj3EEiiiiiiiiiiiliiliiiiil: ; @_ZL15flash_attn_tileILi64ELi64ELi64ELi1ELb0EEvPKcS1_S1_S1_S1_PKiPfP15HIP_vector_typeIfLj2EEffffjfiS5_IjLj3EEiiiiiiiiiiiliiliiiiil
; %bb.0:
	s_clause 0x3
	s_load_b128 s[8:11], s[0:1], 0x5c
	s_load_b64 s[70:71], s[0:1], 0x80
	s_load_b512 s[16:31], s[0:1], 0x0
	s_load_b64 s[36:37], s[0:1], 0xb8
	s_mov_b64 s[68:69], 0
	s_waitcnt lgkmcnt(0)
	v_cvt_f32_u32_e32 v1, s11
	s_sub_i32 s3, 0, s11
	s_delay_alu instid0(VALU_DEP_1) | instskip(SKIP_2) | instid1(VALU_DEP_1)
	v_rcp_iflag_f32_e32 v1, v1
	s_waitcnt_depctr 0xfff
	v_mul_f32_e32 v1, 0x4f7ffffe, v1
	v_cvt_u32_f32_e32 v1, v1
	s_delay_alu instid0(VALU_DEP_1) | instskip(NEXT) | instid1(VALU_DEP_1)
	v_readfirstlane_b32 s2, v1
	s_mul_i32 s3, s3, s2
	s_delay_alu instid0(SALU_CYCLE_1) | instskip(NEXT) | instid1(SALU_CYCLE_1)
	s_mul_hi_u32 s3, s2, s3
	s_add_i32 s2, s2, s3
	s_delay_alu instid0(SALU_CYCLE_1) | instskip(NEXT) | instid1(SALU_CYCLE_1)
	s_mul_hi_u32 s2, s15, s2
	s_mul_i32 s3, s2, s11
	s_add_i32 s4, s2, 1
	s_sub_i32 s3, s15, s3
	s_delay_alu instid0(SALU_CYCLE_1)
	s_sub_i32 s5, s3, s11
	s_cmp_ge_u32 s3, s11
	s_cselect_b32 s2, s4, s2
	s_cselect_b32 s3, s5, s3
	s_add_i32 s4, s2, 1
	s_cmp_ge_u32 s3, s11
	s_cselect_b32 s33, s4, s2
	s_abs_i32 s2, s71
	s_abs_i32 s6, s11
	v_cvt_f32_u32_e32 v1, s2
	s_sub_i32 s4, 0, s2
	s_mul_i32 s5, s33, s11
	s_delay_alu instid0(SALU_CYCLE_1) | instskip(NEXT) | instid1(VALU_DEP_1)
	s_sub_i32 s34, s15, s5
	v_rcp_iflag_f32_e32 v1, v1
	s_waitcnt_depctr 0xfff
	v_mul_f32_e32 v1, 0x4f7ffffe, v1
	s_delay_alu instid0(VALU_DEP_1) | instskip(NEXT) | instid1(VALU_DEP_1)
	v_cvt_u32_f32_e32 v1, v1
	v_readfirstlane_b32 s3, v1
	s_delay_alu instid0(VALU_DEP_1) | instskip(NEXT) | instid1(SALU_CYCLE_1)
	s_mul_i32 s4, s4, s3
	s_mul_hi_u32 s4, s3, s4
	s_delay_alu instid0(SALU_CYCLE_1) | instskip(SKIP_4) | instid1(SALU_CYCLE_1)
	s_add_i32 s3, s3, s4
	s_xor_b32 s4, s11, s71
	s_mul_hi_u32 s3, s6, s3
	s_ashr_i32 s4, s4, 31
	s_mul_i32 s5, s3, s2
	s_sub_i32 s5, s6, s5
	s_add_i32 s6, s3, 1
	s_sub_i32 s7, s5, s2
	s_cmp_ge_u32 s5, s2
	s_cselect_b32 s3, s6, s3
	s_cselect_b32 s5, s7, s5
	s_add_i32 s6, s3, 1
	s_cmp_ge_u32 s5, s2
	s_cselect_b32 s2, s6, s3
	s_abs_i32 s44, s34
	s_xor_b32 s2, s2, s4
	s_delay_alu instid0(SALU_CYCLE_1) | instskip(NEXT) | instid1(SALU_CYCLE_1)
	s_sub_i32 s38, s2, s4
	s_abs_i32 s12, s38
	s_delay_alu instid0(SALU_CYCLE_1) | instskip(SKIP_1) | instid1(VALU_DEP_1)
	v_cvt_f32_u32_e32 v1, s12
	s_sub_i32 s3, 0, s12
	v_rcp_iflag_f32_e32 v1, v1
	s_waitcnt_depctr 0xfff
	v_mul_f32_e32 v1, 0x4f7ffffe, v1
	s_delay_alu instid0(VALU_DEP_1) | instskip(NEXT) | instid1(VALU_DEP_1)
	v_cvt_u32_f32_e32 v1, v1
	v_readfirstlane_b32 s2, v1
	s_delay_alu instid0(VALU_DEP_1) | instskip(NEXT) | instid1(SALU_CYCLE_1)
	s_mul_i32 s3, s3, s2
	s_mul_hi_u32 s3, s2, s3
	s_delay_alu instid0(SALU_CYCLE_1)
	s_add_i32 s2, s2, s3
	s_cmp_eq_u64 s[22:23], 0
	s_cbranch_scc1 .LBB52_2
; %bb.1:
	s_abs_i32 s3, s36
	s_abs_i32 s6, s33
	v_cvt_f32_u32_e32 v1, s3
	s_sub_i32 s5, 0, s3
	s_delay_alu instid0(VALU_DEP_1) | instskip(SKIP_2) | instid1(VALU_DEP_1)
	v_rcp_iflag_f32_e32 v1, v1
	s_waitcnt_depctr 0xfff
	v_mul_f32_e32 v1, 0x4f7ffffe, v1
	v_cvt_u32_f32_e32 v1, v1
	s_delay_alu instid0(VALU_DEP_1) | instskip(NEXT) | instid1(VALU_DEP_1)
	v_readfirstlane_b32 s4, v1
	s_mul_i32 s5, s5, s4
	s_delay_alu instid0(SALU_CYCLE_1) | instskip(NEXT) | instid1(SALU_CYCLE_1)
	s_mul_hi_u32 s5, s4, s5
	s_add_i32 s7, s4, s5
	s_load_b64 s[4:5], s[0:1], 0xc8
	s_mul_hi_u32 s7, s6, s7
	s_delay_alu instid0(SALU_CYCLE_1) | instskip(NEXT) | instid1(SALU_CYCLE_1)
	s_mul_i32 s7, s7, s3
	s_sub_i32 s6, s6, s7
	s_ashr_i32 s7, s33, 31
	s_sub_i32 s15, s6, s3
	s_cmp_ge_u32 s6, s3
	s_cselect_b32 s6, s15, s6
	s_delay_alu instid0(SALU_CYCLE_1) | instskip(SKIP_2) | instid1(SALU_CYCLE_1)
	s_sub_i32 s15, s6, s3
	s_cmp_ge_u32 s6, s3
	s_cselect_b32 s3, s15, s6
	s_xor_b32 s3, s3, s7
	s_delay_alu instid0(SALU_CYCLE_1)
	s_sub_i32 s3, s3, s7
	s_waitcnt lgkmcnt(0)
	s_mul_i32 s5, s3, s5
	s_mul_hi_u32 s6, s3, s4
	s_ashr_i32 s7, s3, 31
	s_add_i32 s5, s6, s5
	s_mul_i32 s7, s7, s4
	s_mul_i32 s3, s3, s4
	s_add_i32 s5, s5, s7
	s_add_u32 s68, s22, s3
	s_addc_u32 s69, s23, s5
.LBB52_2:
	s_clause 0x1
	s_load_b128 s[40:43], s[0:1], 0x40
	s_load_b32 s3, s[0:1], 0x50
	v_mov_b32_e32 v58, 1.0
	s_mul_hi_u32 s45, s44, s2
	s_waitcnt lgkmcnt(0)
	v_cmp_le_f32_e64 s4, s41, 0
	s_delay_alu instid0(VALU_DEP_1)
	s_and_b32 vcc_lo, exec_lo, s4
	s_cbranch_vccnz .LBB52_4
; %bb.3:
	s_sub_i32 s2, s34, s3
	s_add_i32 s4, s34, 1
	s_lshl_b32 s2, s2, 1
	v_mov_b32_e32 v1, s42
	s_or_b32 s2, s2, 1
	s_cmp_lt_u32 s34, s3
	s_cselect_b32 vcc_lo, -1, 0
	s_delay_alu instid0(VALU_DEP_1)
	v_cndmask_b32_e32 v3, s43, v1, vcc_lo
	s_and_b32 s3, vcc_lo, exec_lo
	s_cselect_b32 s2, s4, s2
	s_mov_b32 s3, 0x3e76c4e1
	v_cvt_f32_i32_e32 v1, s2
	v_cmp_neq_f32_e32 vcc_lo, 1.0, v3
	s_delay_alu instid0(VALU_DEP_2) | instskip(NEXT) | instid1(VALU_DEP_1)
	v_cndmask_b32_e32 v4, 1.0, v1, vcc_lo
	v_cmp_eq_f32_e32 vcc_lo, 0, v4
	v_cndmask_b32_e64 v5, |v3|, 1.0, vcc_lo
	s_delay_alu instid0(VALU_DEP_1) | instskip(NEXT) | instid1(VALU_DEP_1)
	v_frexp_mant_f32_e32 v1, v5
	v_cmp_gt_f32_e64 s2, 0x3f2aaaab, v1
	s_delay_alu instid0(VALU_DEP_1) | instskip(NEXT) | instid1(VALU_DEP_1)
	v_cndmask_b32_e64 v2, 1.0, 2.0, s2
	v_mul_f32_e32 v1, v1, v2
	s_delay_alu instid0(VALU_DEP_1) | instskip(SKIP_1) | instid1(VALU_DEP_2)
	v_add_f32_e32 v2, 1.0, v1
	v_add_f32_e32 v7, -1.0, v1
	v_rcp_f32_e32 v6, v2
	s_waitcnt_depctr 0xfff
	v_mul_f32_e32 v8, v7, v6
	s_delay_alu instid0(VALU_DEP_1) | instskip(NEXT) | instid1(VALU_DEP_1)
	v_dual_add_f32 v9, -1.0, v2 :: v_dual_mul_f32 v10, v2, v8
	v_sub_f32_e32 v1, v1, v9
	v_cndmask_b32_e64 v3, v3, 1.0, vcc_lo
	s_delay_alu instid0(VALU_DEP_3) | instskip(NEXT) | instid1(VALU_DEP_2)
	v_fma_f32 v2, v8, v2, -v10
	v_cmp_eq_f32_e64 s4, 0, v3
	s_delay_alu instid0(VALU_DEP_2) | instskip(NEXT) | instid1(VALU_DEP_1)
	v_fmac_f32_e32 v2, v8, v1
	v_add_f32_e32 v1, v10, v2
	s_delay_alu instid0(VALU_DEP_1) | instskip(NEXT) | instid1(VALU_DEP_1)
	v_dual_sub_f32 v10, v1, v10 :: v_dual_sub_f32 v9, v7, v1
	v_dual_sub_f32 v2, v10, v2 :: v_dual_sub_f32 v7, v7, v9
	s_delay_alu instid0(VALU_DEP_1) | instskip(NEXT) | instid1(VALU_DEP_1)
	v_sub_f32_e32 v1, v7, v1
	v_add_f32_e32 v1, v2, v1
	s_delay_alu instid0(VALU_DEP_1) | instskip(NEXT) | instid1(VALU_DEP_1)
	v_add_f32_e32 v1, v9, v1
	v_mul_f32_e32 v1, v6, v1
	s_delay_alu instid0(VALU_DEP_1) | instskip(NEXT) | instid1(VALU_DEP_1)
	v_add_f32_e32 v6, v8, v1
	v_sub_f32_e32 v2, v6, v8
	v_mul_f32_e32 v7, v6, v6
	s_delay_alu instid0(VALU_DEP_2) | instskip(NEXT) | instid1(VALU_DEP_2)
	v_sub_f32_e32 v8, v1, v2
	v_fma_f32 v9, v6, v6, -v7
	s_delay_alu instid0(VALU_DEP_2) | instskip(NEXT) | instid1(VALU_DEP_1)
	v_add_f32_e32 v1, v8, v8
	v_fmac_f32_e32 v9, v6, v1
	v_cvt_f64_f32_e32 v[1:2], v5
	s_delay_alu instid0(VALU_DEP_2) | instskip(NEXT) | instid1(VALU_DEP_1)
	v_add_f32_e32 v10, v7, v9
	v_fmaak_f32 v11, s3, v10, 0x3e91f4c4
	v_sub_f32_e32 v7, v10, v7
	v_mul_f32_e32 v14, v6, v10
	s_delay_alu instid0(VALU_DEP_3) | instskip(NEXT) | instid1(VALU_DEP_3)
	v_fmaak_f32 v11, v10, v11, 0x3ecccdef
	v_sub_f32_e32 v7, v9, v7
	s_delay_alu instid0(VALU_DEP_2) | instskip(NEXT) | instid1(VALU_DEP_1)
	v_mul_f32_e32 v12, v10, v11
	v_fma_f32 v9, v10, v11, -v12
	s_delay_alu instid0(VALU_DEP_1) | instskip(NEXT) | instid1(VALU_DEP_1)
	v_fmac_f32_e32 v9, v7, v11
	v_add_f32_e32 v11, v12, v9
	v_frexp_exp_i32_f64_e32 v1, v[1:2]
	s_delay_alu instid0(VALU_DEP_2) | instskip(NEXT) | instid1(VALU_DEP_1)
	v_sub_f32_e32 v12, v11, v12
	v_sub_f32_e32 v2, v9, v12
	v_fma_f32 v12, v10, v6, -v14
	s_delay_alu instid0(VALU_DEP_2) | instskip(NEXT) | instid1(VALU_DEP_2)
	v_add_f32_e32 v2, 0x31739010, v2
	v_dual_add_f32 v13, 0x3f2aaaaa, v11 :: v_dual_fmac_f32 v12, v10, v8
	v_ldexp_f32 v8, v8, 1
	s_delay_alu instid0(VALU_DEP_2) | instskip(NEXT) | instid1(VALU_DEP_1)
	v_dual_add_f32 v9, 0xbf2aaaaa, v13 :: v_dual_fmac_f32 v12, v7, v6
	v_sub_f32_e32 v9, v11, v9
	s_delay_alu instid0(VALU_DEP_1) | instskip(NEXT) | instid1(VALU_DEP_3)
	v_add_f32_e32 v2, v2, v9
	v_add_f32_e32 v9, v14, v12
	s_delay_alu instid0(VALU_DEP_2) | instskip(NEXT) | instid1(VALU_DEP_1)
	v_add_f32_e32 v7, v13, v2
	v_sub_f32_e32 v10, v13, v7
	s_delay_alu instid0(VALU_DEP_3) | instskip(SKIP_2) | instid1(VALU_DEP_4)
	v_mul_f32_e32 v11, v9, v7
	v_sub_f32_e32 v13, v9, v14
	v_subrev_co_ci_u32_e64 v1, s2, 0, v1, s2
	v_add_f32_e32 v2, v2, v10
	s_delay_alu instid0(VALU_DEP_4) | instskip(NEXT) | instid1(VALU_DEP_4)
	v_fma_f32 v10, v9, v7, -v11
	v_sub_f32_e32 v12, v12, v13
	s_delay_alu instid0(VALU_DEP_4) | instskip(NEXT) | instid1(VALU_DEP_3)
	v_cvt_f32_i32_e32 v1, v1
	v_fmac_f32_e32 v10, v9, v2
	v_ldexp_f32 v2, v6, 1
	s_delay_alu instid0(VALU_DEP_2) | instskip(NEXT) | instid1(VALU_DEP_1)
	v_fmac_f32_e32 v10, v12, v7
	v_add_f32_e32 v6, v11, v10
	s_delay_alu instid0(VALU_DEP_1) | instskip(NEXT) | instid1(VALU_DEP_1)
	v_add_f32_e32 v7, v2, v6
	v_dual_sub_f32 v2, v7, v2 :: v_dual_sub_f32 v9, v6, v11
	s_delay_alu instid0(VALU_DEP_1) | instskip(NEXT) | instid1(VALU_DEP_2)
	v_sub_f32_e32 v2, v6, v2
	v_sub_f32_e32 v9, v10, v9
	s_delay_alu instid0(VALU_DEP_1) | instskip(NEXT) | instid1(VALU_DEP_1)
	v_add_f32_e32 v6, v8, v9
	v_dual_mul_f32 v11, 0x3f317218, v1 :: v_dual_add_f32 v2, v6, v2
	s_delay_alu instid0(VALU_DEP_1) | instskip(NEXT) | instid1(VALU_DEP_2)
	v_fma_f32 v10, 0x3f317218, v1, -v11
	v_add_f32_e32 v8, v7, v2
	s_delay_alu instid0(VALU_DEP_1) | instskip(NEXT) | instid1(VALU_DEP_1)
	v_sub_f32_e32 v7, v8, v7
	v_dual_fmamk_f32 v1, v1, 0xb102e308, v10 :: v_dual_sub_f32 v2, v2, v7
	s_delay_alu instid0(VALU_DEP_1) | instskip(NEXT) | instid1(VALU_DEP_1)
	v_add_f32_e32 v6, v11, v1
	v_add_f32_e32 v9, v6, v8
	s_delay_alu instid0(VALU_DEP_1) | instskip(NEXT) | instid1(VALU_DEP_1)
	v_dual_sub_f32 v11, v6, v11 :: v_dual_sub_f32 v10, v9, v6
	v_sub_f32_e32 v12, v9, v10
	s_delay_alu instid0(VALU_DEP_2) | instskip(NEXT) | instid1(VALU_DEP_2)
	v_sub_f32_e32 v1, v1, v11
	v_dual_sub_f32 v7, v8, v10 :: v_dual_sub_f32 v6, v6, v12
	s_delay_alu instid0(VALU_DEP_2) | instskip(NEXT) | instid1(VALU_DEP_2)
	v_add_f32_e32 v8, v1, v2
	v_add_f32_e32 v6, v7, v6
	s_delay_alu instid0(VALU_DEP_1) | instskip(NEXT) | instid1(VALU_DEP_1)
	v_add_f32_e32 v6, v8, v6
	v_dual_sub_f32 v7, v8, v1 :: v_dual_add_f32 v10, v9, v6
	s_delay_alu instid0(VALU_DEP_1) | instskip(SKIP_1) | instid1(VALU_DEP_3)
	v_sub_f32_e32 v8, v8, v7
	v_sub_f32_e32 v2, v2, v7
	;; [unrolled: 1-line block ×3, first 2 shown]
	s_delay_alu instid0(VALU_DEP_3) | instskip(NEXT) | instid1(VALU_DEP_1)
	v_sub_f32_e32 v1, v1, v8
	v_add_f32_e32 v1, v2, v1
	s_delay_alu instid0(VALU_DEP_3) | instskip(NEXT) | instid1(VALU_DEP_1)
	v_sub_f32_e32 v2, v6, v7
	v_add_f32_e32 v1, v1, v2
	s_delay_alu instid0(VALU_DEP_1) | instskip(NEXT) | instid1(VALU_DEP_1)
	v_add_f32_e32 v2, v10, v1
	v_mul_f32_e32 v7, v4, v2
	v_sub_f32_e32 v6, v2, v10
	s_delay_alu instid0(VALU_DEP_2) | instskip(NEXT) | instid1(VALU_DEP_2)
	v_fma_f32 v2, v4, v2, -v7
	v_sub_f32_e32 v1, v1, v6
	v_cmp_class_f32_e64 s2, v7, 0x204
	s_delay_alu instid0(VALU_DEP_2) | instskip(NEXT) | instid1(VALU_DEP_1)
	v_fmac_f32_e32 v2, v4, v1
	v_add_f32_e32 v1, v7, v2
	s_delay_alu instid0(VALU_DEP_1) | instskip(NEXT) | instid1(VALU_DEP_1)
	v_cndmask_b32_e64 v6, v1, v7, s2
	v_cmp_eq_f32_e64 s2, 0x42b17218, v6
	s_delay_alu instid0(VALU_DEP_1) | instskip(SKIP_1) | instid1(VALU_DEP_2)
	v_cndmask_b32_e64 v8, 0, 0x37000000, s2
	v_cmp_neq_f32_e64 s2, 0x7f800000, |v6|
	v_sub_f32_e32 v9, v6, v8
	v_trunc_f32_e32 v6, v4
	s_delay_alu instid0(VALU_DEP_2) | instskip(NEXT) | instid1(VALU_DEP_1)
	v_mul_f32_e32 v10, 0x3fb8aa3b, v9
	v_fma_f32 v11, 0x3fb8aa3b, v9, -v10
	v_rndne_f32_e32 v12, v10
	s_delay_alu instid0(VALU_DEP_1) | instskip(NEXT) | instid1(VALU_DEP_1)
	v_dual_fmamk_f32 v11, v9, 0x32a5705f, v11 :: v_dual_sub_f32 v10, v10, v12
	v_add_f32_e32 v10, v10, v11
	v_sub_f32_e32 v1, v1, v7
	v_cvt_i32_f32_e32 v7, v12
	s_delay_alu instid0(VALU_DEP_3) | instskip(NEXT) | instid1(VALU_DEP_2)
	v_exp_f32_e32 v10, v10
	v_sub_f32_e32 v1, v2, v1
	s_delay_alu instid0(VALU_DEP_1)
	v_cndmask_b32_e64 v1, 0, v1, s2
	v_cmp_ngt_f32_e64 s2, 0xc2ce8ed0, v9
	s_waitcnt_depctr 0xfff
	v_ldexp_f32 v2, v10, v7
	v_mul_f32_e32 v7, 0.5, v4
	v_add_f32_e32 v1, v8, v1
	s_delay_alu instid0(VALU_DEP_3) | instskip(NEXT) | instid1(VALU_DEP_3)
	v_cndmask_b32_e64 v2, 0, v2, s2
	v_trunc_f32_e32 v10, v7
	v_cmp_nlt_f32_e64 s2, 0x42b17218, v9
	s_delay_alu instid0(VALU_DEP_2) | instskip(NEXT) | instid1(VALU_DEP_2)
	v_cmp_neq_f32_e64 s3, v10, v7
	v_cndmask_b32_e64 v2, 0x7f800000, v2, s2
	v_cmp_eq_f32_e64 s2, v6, v4
	s_delay_alu instid0(VALU_DEP_2) | instskip(NEXT) | instid1(VALU_DEP_2)
	v_fma_f32 v1, v2, v1, v2
	s_and_b32 vcc_lo, s2, s3
	v_cmp_class_f32_e64 s3, v2, 0x204
	v_cndmask_b32_e32 v6, 1.0, v3, vcc_lo
	s_delay_alu instid0(VALU_DEP_2) | instskip(SKIP_1) | instid1(VALU_DEP_2)
	v_cndmask_b32_e64 v1, v1, v2, s3
	v_cmp_gt_f32_e64 s3, 0, v4
	v_bfi_b32 v1, 0x7fffffff, v1, v6
	s_delay_alu instid0(VALU_DEP_2)
	s_xor_b32 s3, s3, s4
	v_cndmask_b32_e32 v6, 0, v3, vcc_lo
	v_cndmask_b32_e64 v2, 0x7f800000, 0, s3
	v_cmp_eq_f32_e32 vcc_lo, 0x7f800000, v5
	v_cndmask_b32_e64 v4, 0x7fc00000, v1, s2
	v_cmp_gt_f32_e64 s2, 0, v3
	s_delay_alu instid0(VALU_DEP_4) | instskip(SKIP_1) | instid1(VALU_DEP_2)
	v_bfi_b32 v2, 0x7fffffff, v2, v6
	s_or_b32 vcc_lo, vcc_lo, s4
	v_cndmask_b32_e64 v1, v1, v4, s2
	s_delay_alu instid0(VALU_DEP_1) | instskip(SKIP_1) | instid1(VALU_DEP_2)
	v_cndmask_b32_e32 v1, v1, v2, vcc_lo
	v_cmp_o_f32_e32 vcc_lo, v3, v3
	v_cndmask_b32_e32 v58, 0x7fc00000, v1, vcc_lo
.LBB52_4:
	v_bfe_u32 v48, v0, 10, 10
	s_lshl_b32 s15, s13, 6
	s_load_b128 s[4:7], s[0:1], 0x70
	v_and_b32_e32 v93, 0x3ff, v0
	s_ashr_i32 s35, s34, 31
	v_lshlrev_b32_e32 v94, 4, v48
	s_ashr_i32 s2, s38, 31
	s_mov_b32 s36, 0
	v_lshlrev_b32_e32 v7, 3, v93
	s_delay_alu instid0(VALU_DEP_2) | instskip(SKIP_3) | instid1(VALU_DEP_4)
	v_or_b32_e32 v52, 1, v94
	v_add_nc_u32_e32 v96, s15, v94
	v_or_b32_e32 v51, 2, v94
	v_or_b32_e32 v50, 3, v94
	v_add_nc_u32_e32 v95, s15, v52
	s_delay_alu instid0(VALU_DEP_4) | instskip(NEXT) | instid1(VALU_DEP_4)
	v_mul_hi_u32 v0, v96, s8
	v_add_nc_u32_e32 v92, s15, v51
	s_delay_alu instid0(VALU_DEP_4) | instskip(NEXT) | instid1(VALU_DEP_4)
	v_add_nc_u32_e32 v89, s15, v50
	v_mul_hi_u32 v1, v95, s8
	s_delay_alu instid0(VALU_DEP_3)
	v_mul_hi_u32 v2, v92, s8
	s_waitcnt lgkmcnt(0)
	s_mul_i32 s3, s33, s6
	v_add_nc_u32_e32 v0, v96, v0
	v_mul_hi_u32 v3, v89, s8
	s_mul_i32 s5, s34, s5
	s_ashr_i32 s6, s3, 31
	v_add_nc_u32_e32 v1, v95, v1
	v_lshrrev_b32_e32 v0, s9, v0
	s_add_u32 s3, s16, s3
	v_add_nc_u32_e32 v2, v92, v2
	s_addc_u32 s6, s17, s6
	v_lshrrev_b32_e32 v1, s9, v1
	v_mul_lo_u32 v0, v0, s10
	s_ashr_i32 s7, s5, 31
	s_add_u32 s5, s3, s5
	s_addc_u32 s6, s6, s7
	v_mul_lo_u32 v4, v1, s10
	s_ashr_i32 s3, s4, 31
	v_lshrrev_b32_e32 v2, s9, v2
	v_alignbit_b32 v35, s3, s4, 2
	v_sub_nc_u32_e32 v123, v96, v0
	v_add_nc_u32_e32 v3, v89, v3
	s_lshr_b32 s3, s3, 2
	v_mul_lo_u32 v5, v2, s10
	v_sub_nc_u32_e32 v9, v95, v4
	v_mad_u64_u32 v[0:1], null, v35, v123, 0
	v_lshrrev_b32_e32 v4, s9, v3
	v_add_co_u32 v36, s4, s5, v7
	s_delay_alu instid0(VALU_DEP_4) | instskip(SKIP_1) | instid1(VALU_DEP_4)
	v_mad_u64_u32 v[2:3], null, v35, v9, 0
	v_sub_nc_u32_e32 v12, v92, v5
	v_mul_lo_u32 v8, v4, s10
	v_add_co_ci_u32_e64 v37, null, s6, 0, s4
	s_cmp_eq_u64 s[26:27], 0
	s_delay_alu instid0(VALU_DEP_4) | instskip(SKIP_1) | instid1(VALU_DEP_4)
	v_mad_u64_u32 v[4:5], null, s3, v123, v[1:2]
	v_mad_u64_u32 v[5:6], null, v35, v12, 0
	v_sub_nc_u32_e32 v13, v89, v8
	s_delay_alu instid0(VALU_DEP_3) | instskip(SKIP_3) | instid1(VALU_DEP_3)
	v_mov_b32_e32 v1, v4
	v_or_b32_e32 v49, 4, v94
	v_or_b32_e32 v45, 5, v94
	v_mad_u64_u32 v[7:8], null, s3, v9, v[3:4]
	v_dual_mov_b32 v3, v6 :: v_dual_add_nc_u32 v88, s15, v49
	v_mad_u64_u32 v[8:9], null, v35, v13, 0
	s_delay_alu instid0(VALU_DEP_4) | instskip(SKIP_1) | instid1(VALU_DEP_4)
	v_add_nc_u32_e32 v86, s15, v45
	v_or_b32_e32 v44, 6, v94
	v_mul_hi_u32 v10, v88, s8
	v_or_b32_e32 v43, 7, v94
	v_or_b32_e32 v42, 8, v94
	v_or_b32_e32 v41, 9, v94
	v_add_nc_u32_e32 v84, s15, v44
	v_or_b32_e32 v223, 10, v94
	v_add_nc_u32_e32 v81, s15, v43
	v_add_nc_u32_e32 v91, s15, v42
	;; [unrolled: 1-line block ×3, first 2 shown]
	v_mad_u64_u32 v[10:11], null, s3, v12, v[3:4]
	v_mul_hi_u32 v11, v86, s8
	v_dual_mov_b32 v4, v9 :: v_dual_mov_b32 v3, v7
	s_delay_alu instid0(VALU_DEP_4)
	v_lshrrev_b32_e32 v7, s9, v14
	v_mul_hi_u32 v17, v91, s8
	v_add_nc_u32_e32 v90, s15, v41
	v_mov_b32_e32 v6, v10
	v_mad_u64_u32 v[9:10], null, s3, v13, v[4:5]
	v_add_nc_u32_e32 v10, v86, v11
	v_mul_lo_u32 v7, v7, s10
	v_mul_hi_u32 v11, v84, s8
	v_lshlrev_b64 v[4:5], 2, v[5:6]
	v_mul_hi_u32 v13, v81, s8
	v_lshrrev_b32_e32 v10, s9, v10
	v_lshlrev_b64 v[8:9], 2, v[8:9]
	v_add_nc_u32_e32 v87, s15, v223
	v_or_b32_e32 v222, 11, v94
	v_sub_nc_u32_e32 v12, v88, v7
	v_mul_lo_u32 v10, v10, s10
	v_add_nc_u32_e32 v11, v84, v11
	v_add_nc_u32_e32 v13, v81, v13
	;; [unrolled: 1-line block ×3, first 2 shown]
	v_mad_u64_u32 v[6:7], null, v35, v12, 0
	s_delay_alu instid0(VALU_DEP_4)
	v_lshrrev_b32_e32 v15, s9, v11
	v_or_b32_e32 v221, 12, v94
	v_sub_nc_u32_e32 v14, v86, v10
	v_or_b32_e32 v220, 13, v94
	v_or_b32_e32 v46, 14, v94
	v_mul_lo_u32 v15, v15, s10
	v_mad_u64_u32 v[10:11], null, s3, v12, v[7:8]
	v_mad_u64_u32 v[11:12], null, v35, v14, 0
	v_add_nc_u32_e32 v82, s15, v221
	v_add_nc_u32_e32 v80, s15, v220
	;; [unrolled: 1-line block ×3, first 2 shown]
	v_sub_nc_u32_e32 v16, v84, v15
	v_mov_b32_e32 v7, v10
	v_lshrrev_b32_e32 v15, s9, v13
	v_mov_b32_e32 v10, v12
	v_or_b32_e32 v47, 15, v94
	v_mul_hi_u32 v28, v85, s8
	v_lshlrev_b64 v[0:1], 2, v[0:1]
	v_mul_lo_u32 v15, v15, s10
	v_mad_u64_u32 v[12:13], null, s3, v14, v[10:11]
	v_mad_u64_u32 v[13:14], null, v35, v16, 0
	v_add_nc_u32_e32 v255, s15, v47
	v_add_nc_u32_e32 v28, v85, v28
	v_lshlrev_b64 v[2:3], 2, v[2:3]
	v_sub_nc_u32_e32 v18, v81, v15
	v_add_co_u32 v0, vcc_lo, v36, v0
	v_mov_b32_e32 v10, v14
	v_mul_hi_u32 v31, v255, s8
	v_lshrrev_b32_e32 v28, s9, v28
	v_add_co_ci_u32_e32 v1, vcc_lo, v37, v1, vcc_lo
	s_delay_alu instid0(VALU_DEP_4)
	v_mad_u64_u32 v[14:15], null, s3, v16, v[10:11]
	v_mad_u64_u32 v[15:16], null, v35, v18, 0
	v_add_nc_u32_e32 v10, v91, v17
	v_mul_hi_u32 v17, v90, s8
	v_add_co_u32 v2, vcc_lo, v36, v2
	v_add_co_ci_u32_e32 v3, vcc_lo, v37, v3, vcc_lo
	s_delay_alu instid0(VALU_DEP_4)
	v_lshrrev_b32_e32 v19, s9, v10
	v_lshlrev_b64 v[10:11], 2, v[11:12]
	v_mov_b32_e32 v12, v16
	v_add_nc_u32_e32 v20, v90, v17
	v_add_co_u32 v4, vcc_lo, v36, v4
	v_mul_lo_u32 v19, v19, s10
	s_delay_alu instid0(VALU_DEP_4) | instskip(NEXT) | instid1(VALU_DEP_4)
	v_mad_u64_u32 v[16:17], null, s3, v18, v[12:13]
	v_lshrrev_b32_e32 v17, s9, v20
	v_lshlrev_b64 v[12:13], 2, v[13:14]
	v_lshlrev_b64 v[6:7], 2, v[6:7]
	v_add_co_ci_u32_e32 v5, vcc_lo, v37, v5, vcc_lo
	v_sub_nc_u32_e32 v23, v91, v19
	v_mul_lo_u32 v14, v17, s10
	v_add_co_u32 v8, vcc_lo, v36, v8
	v_add_co_ci_u32_e32 v9, vcc_lo, v37, v9, vcc_lo
	s_delay_alu instid0(VALU_DEP_4)
	v_mad_u64_u32 v[17:18], null, v35, v23, 0
	v_add_co_u32 v6, vcc_lo, v36, v6
	v_sub_nc_u32_e32 v24, v90, v14
	v_lshlrev_b64 v[14:15], 2, v[15:16]
	v_add_co_ci_u32_e32 v7, vcc_lo, v37, v7, vcc_lo
	v_mov_b32_e32 v16, v18
	s_delay_alu instid0(VALU_DEP_4) | instskip(SKIP_2) | instid1(VALU_DEP_4)
	v_mad_u64_u32 v[19:20], null, v35, v24, 0
	v_mul_hi_u32 v18, v87, s8
	v_add_co_u32 v10, vcc_lo, v36, v10
	v_mad_u64_u32 v[21:22], null, s3, v23, v[16:17]
	v_mul_hi_u32 v23, v82, s8
	v_mov_b32_e32 v16, v20
	v_add_co_ci_u32_e32 v11, vcc_lo, v37, v11, vcc_lo
	v_add_nc_u32_e32 v22, v87, v18
	v_add_co_u32 v12, vcc_lo, v36, v12
	v_mov_b32_e32 v18, v21
	v_mad_u64_u32 v[20:21], null, s3, v24, v[16:17]
	s_delay_alu instid0(VALU_DEP_4) | instskip(SKIP_1) | instid1(VALU_DEP_4)
	v_lshrrev_b32_e32 v21, s9, v22
	v_mul_hi_u32 v22, v83, s8
	v_lshlrev_b64 v[16:17], 2, v[17:18]
	v_mul_hi_u32 v24, v80, s8
	v_add_nc_u32_e32 v25, v82, v23
	v_mul_lo_u32 v21, v21, s10
	v_add_co_ci_u32_e32 v13, vcc_lo, v37, v13, vcc_lo
	v_add_co_u32 v14, vcc_lo, v36, v14
	v_add_nc_u32_e32 v18, v83, v22
	v_lshrrev_b32_e32 v25, s9, v25
	v_add_nc_u32_e32 v24, v80, v24
	v_sub_nc_u32_e32 v26, v87, v21
	v_add_co_ci_u32_e32 v15, vcc_lo, v37, v15, vcc_lo
	v_lshrrev_b32_e32 v22, s9, v18
	v_lshlrev_b64 v[18:19], 2, v[19:20]
	s_delay_alu instid0(VALU_DEP_4) | instskip(SKIP_1) | instid1(VALU_DEP_4)
	v_mad_u64_u32 v[20:21], null, v35, v26, 0
	v_mul_lo_u32 v29, v25, s10
	v_mul_lo_u32 v22, v22, s10
	v_lshrrev_b32_e32 v30, s9, v24
	v_add_co_u32 v16, vcc_lo, v36, v16
	v_add_co_ci_u32_e32 v17, vcc_lo, v37, v17, vcc_lo
	v_add_co_u32 v18, vcc_lo, v36, v18
	v_sub_nc_u32_e32 v27, v83, v22
	v_sub_nc_u32_e32 v32, v82, v29
	v_add_co_ci_u32_e32 v19, vcc_lo, v37, v19, vcc_lo
	s_clause 0x3
	global_load_b64 v[0:1], v[0:1], off
	global_load_b64 v[2:3], v[2:3], off
	global_load_b64 v[4:5], v[4:5], off
	global_load_b64 v[8:9], v[8:9], off
	v_mad_u64_u32 v[22:23], null, v35, v27, 0
	s_clause 0x3
	global_load_b64 v[6:7], v[6:7], off
	global_load_b64 v[10:11], v[10:11], off
	;; [unrolled: 1-line block ×4, first 2 shown]
	v_lshlrev_b32_e32 v99, 2, v93
	v_mad_u64_u32 v[24:25], null, s3, v26, v[21:22]
	v_mov_b32_e32 v21, v23
	v_mul_lo_u32 v23, v30, s10
	v_mul_lo_u32 v30, v28, s10
	s_delay_alu instid0(VALU_DEP_3) | instskip(SKIP_4) | instid1(VALU_DEP_3)
	v_mad_u64_u32 v[25:26], null, s3, v27, v[21:22]
	v_mad_u64_u32 v[26:27], null, v35, v32, 0
	v_add_nc_u32_e32 v21, v255, v31
	v_sub_nc_u32_e32 v38, v80, v23
	v_sub_nc_u32_e32 v39, v85, v30
	v_lshrrev_b32_e32 v23, s9, v21
	v_dual_mov_b32 v21, v24 :: v_dual_mov_b32 v24, v27
	s_delay_alu instid0(VALU_DEP_4) | instskip(NEXT) | instid1(VALU_DEP_3)
	v_mad_u64_u32 v[28:29], null, v35, v38, 0
	v_mul_lo_u32 v33, v23, s10
	v_mov_b32_e32 v23, v25
	s_delay_alu instid0(VALU_DEP_4)
	v_mad_u64_u32 v[30:31], null, s3, v32, v[24:25]
	v_mad_u64_u32 v[31:32], null, v35, v39, 0
	v_mov_b32_e32 v24, v29
	v_lshlrev_b64 v[20:21], 2, v[20:21]
	v_sub_nc_u32_e32 v40, v255, v33
	v_lshlrev_b64 v[22:23], 2, v[22:23]
	v_mov_b32_e32 v27, v30
	v_mad_u64_u32 v[33:34], null, s3, v38, v[24:25]
	s_delay_alu instid0(VALU_DEP_4) | instskip(NEXT) | instid1(VALU_DEP_3)
	v_mad_u64_u32 v[24:25], null, v35, v40, 0
	v_lshlrev_b64 v[26:27], 2, v[26:27]
	v_add_co_u32 v20, vcc_lo, v36, v20
	v_add_co_ci_u32_e32 v21, vcc_lo, v37, v21, vcc_lo
	v_mov_b32_e32 v29, v33
	v_mad_u64_u32 v[33:34], null, s3, v39, v[32:33]
	v_mad_u64_u32 v[34:35], null, s3, v40, v[25:26]
	v_add_co_u32 v22, vcc_lo, v36, v22
	s_delay_alu instid0(VALU_DEP_4) | instskip(SKIP_1) | instid1(VALU_DEP_4)
	v_lshlrev_b64 v[28:29], 2, v[28:29]
	v_add_co_ci_u32_e32 v23, vcc_lo, v37, v23, vcc_lo
	v_dual_mov_b32 v32, v33 :: v_dual_mov_b32 v25, v34
	v_add_co_u32 v26, vcc_lo, v36, v26
	v_add_co_ci_u32_e32 v27, vcc_lo, v37, v27, vcc_lo
	s_delay_alu instid0(VALU_DEP_3) | instskip(SKIP_3) | instid1(VALU_DEP_4)
	v_lshlrev_b64 v[30:31], 2, v[31:32]
	v_add_co_u32 v28, vcc_lo, v36, v28
	v_lshlrev_b64 v[24:25], 2, v[24:25]
	v_add_co_ci_u32_e32 v29, vcc_lo, v37, v29, vcc_lo
	v_add_co_u32 v30, vcc_lo, v36, v30
	v_add_co_ci_u32_e32 v31, vcc_lo, v37, v31, vcc_lo
	s_delay_alu instid0(VALU_DEP_4)
	v_add_co_u32 v24, vcc_lo, v36, v24
	v_add_co_ci_u32_e32 v25, vcc_lo, v37, v25, vcc_lo
	s_clause 0x7
	global_load_b64 v[16:17], v[16:17], off
	global_load_b64 v[18:19], v[18:19], off
	;; [unrolled: 1-line block ×8, first 2 shown]
	v_lshlrev_b32_e32 v33, 5, v52
	v_lshlrev_b32_e32 v34, 5, v51
	;; [unrolled: 1-line block ×3, first 2 shown]
	v_lshl_or_b32 v32, v48, 11, v99
	s_clause 0x7
	scratch_store_b32 off, v52, off offset:16
	scratch_store_b32 off, v51, off offset:20
	;; [unrolled: 1-line block ×8, first 2 shown]
	v_lshlrev_b32_e32 v37, 5, v45
	v_lshlrev_b32_e32 v38, 5, v44
	;; [unrolled: 1-line block ×3, first 2 shown]
	v_lshl_or_b32 v40, v42, 7, v99
	s_clause 0x2
	scratch_store_b32 off, v41, off offset:48
	scratch_store_b32 off, v46, off offset:52
	;; [unrolled: 1-line block ×3, first 2 shown]
	v_lshlrev_b32_e32 v41, 5, v41
	v_lshlrev_b32_e32 v42, 5, v223
	;; [unrolled: 1-line block ×6, first 2 shown]
	v_add_lshl_u32 v33, v33, v93, 2
	v_add_lshl_u32 v34, v34, v93, 2
	v_add_lshl_u32 v35, v35, v93, 2
	v_lshl_or_b32 v36, v49, 7, v99
	v_lshl_or_b32 v44, v221, 7, v99
	v_add_lshl_u32 v37, v37, v93, 2
	v_add_lshl_u32 v38, v38, v93, 2
	;; [unrolled: 1-line block ×9, first 2 shown]
	s_waitcnt vmcnt(15)
	v_fma_mixlo_f16 v0, v0, s40, 0
	s_waitcnt vmcnt(11)
	v_fma_mixlo_f16 v6, v6, s40, 0
	s_delay_alu instid0(VALU_DEP_2)
	v_fma_mixhi_f16 v0, v1, s40, 0
	v_fma_mixlo_f16 v1, v2, s40, 0
	v_fma_mixlo_f16 v2, v4, s40, 0
	;; [unrolled: 1-line block ×3, first 2 shown]
	s_waitcnt vmcnt(10)
	v_fma_mixlo_f16 v8, v10, s40, 0
	s_waitcnt vmcnt(9)
	v_fma_mixlo_f16 v10, v12, s40, 0
	;; [unrolled: 2-line block ×3, first 2 shown]
	v_fma_mixhi_f16 v1, v3, s40, 0
	v_fma_mixhi_f16 v2, v5, s40, 0
	;; [unrolled: 1-line block ×7, first 2 shown]
	s_waitcnt vmcnt(7)
	v_fma_mixlo_f16 v14, v16, s40, 0
	s_waitcnt vmcnt(6)
	v_fma_mixlo_f16 v16, v18, s40, 0
	;; [unrolled: 2-line block ×8, first 2 shown]
	v_fma_mixhi_f16 v14, v17, s40, 0
	v_fma_mixhi_f16 v16, v19, s40, 0
	;; [unrolled: 1-line block ×8, first 2 shown]
	ds_store_b32 v32, v0 offset:17408
	ds_store_b32 v33, v1 offset:17408
	;; [unrolled: 1-line block ×16, first 2 shown]
	s_waitcnt lgkmcnt(0)
	s_waitcnt_vscnt null, 0x0
	s_barrier
	buffer_gl0_inv
	s_cbranch_scc1 .LBB52_6
; %bb.5:
	s_load_b32 s3, s[0:1], 0xd0
	s_mov_b32 s5, s36
	s_waitcnt lgkmcnt(0)
	s_mul_i32 s3, s3, s33
	s_delay_alu instid0(SALU_CYCLE_1) | instskip(NEXT) | instid1(SALU_CYCLE_1)
	s_add_i32 s4, s3, s13
	s_lshl_b64 s[4:5], s[4:5], 2
	s_delay_alu instid0(SALU_CYCLE_1)
	s_add_u32 s4, s26, s4
	s_addc_u32 s5, s27, s5
	s_load_b32 s70, s[4:5], 0x0
.LBB52_6:
	s_clause 0x2
	s_load_b64 s[16:17], s[0:1], 0x8c
	s_load_b128 s[4:7], s[0:1], 0x98
	s_load_b64 s[26:27], s[0:1], 0xa8
	s_ashr_i32 s3, s33, 31
	s_ashr_i32 s22, s37, 1
	s_mul_i32 s42, s45, s12
	v_dual_mov_b32 v127, 0 :: v_dual_lshlrev_b32 v98, 11, v48
	v_lshrrev_b32_e32 v49, 3, v93
	v_mul_u32_u24_e32 v128, 0x90, v93
	v_or_b32_e32 v125, 1, v96
	v_or_b32_e32 v124, 2, v96
	;; [unrolled: 1-line block ×10, first 2 shown]
	s_waitcnt lgkmcnt(0)
	s_ashr_i32 s23, s16, 2
	s_ashr_i32 s13, s6, 2
	s_mul_i32 s5, s33, s5
	s_mul_hi_u32 s6, s33, s4
	s_mul_i32 s16, s3, s4
	s_add_i32 s5, s6, s5
	s_mul_i32 s4, s33, s4
	s_add_i32 s5, s5, s16
	s_add_u32 s4, s18, s4
	s_addc_u32 s5, s19, s5
	s_sub_i32 s6, s44, s42
	s_xor_b32 s2, s35, s2
	s_add_i32 s16, s45, 1
	s_sub_i32 s18, s6, s12
	s_cmp_ge_u32 s6, s12
	s_mul_i32 s3, s3, s26
	s_cselect_b32 s16, s16, s45
	s_cselect_b32 s6, s18, s6
	s_add_i32 s18, s16, 1
	s_cmp_ge_u32 s6, s12
	s_mul_i32 s12, s33, s27
	s_cselect_b32 s6, s18, s16
	s_mul_hi_u32 s16, s33, s26
	s_xor_b32 s6, s6, s2
	v_or_b32_e32 v63, 11, v96
	s_sub_i32 s2, s6, s2
	v_or_b32_e32 v62, 12, v96
	s_mul_i32 s6, s2, s17
	s_mul_i32 s17, s33, s26
	s_ashr_i32 s18, s6, 31
	s_add_u32 s4, s4, s6
	s_addc_u32 s5, s5, s18
	s_add_i32 s6, s16, s12
	s_mul_i32 s2, s2, s7
	s_add_i32 s6, s6, s3
	s_add_u32 s3, s20, s17
	s_addc_u32 s6, s21, s6
	s_ashr_i32 s7, s2, 31
	s_add_u32 s16, s3, s2
	v_or_b32_e32 v61, 13, v96
	v_or_b32_e32 v60, 14, v96
	;; [unrolled: 1-line block ×3, first 2 shown]
	v_mbcnt_lo_u32_b32 v97, -1, 0
	s_addc_u32 s17, s6, s7
	s_lshl_b32 s12, s14, 6
	s_sub_i32 s6, s70, 64
	s_mov_b32 s52, 0xfeffffff
	s_cmp_ge_i32 s12, s6
	s_cbranch_scc1 .LBB52_75
; %bb.7:
	v_mul_hi_u32 v1, s8, v125
	v_mul_hi_u32 v3, s8, v124
	;; [unrolled: 1-line block ×7, first 2 shown]
	v_lshl_add_u32 v9, v48, 2, v49
	v_dual_mov_b32 v102, 0 :: v_dual_add_nc_u32 v1, v125, v1
	v_dual_mov_b32 v104, 0 :: v_dual_add_nc_u32 v3, v124, v3
	v_dual_mov_b32 v105, 0 :: v_dual_add_nc_u32 v10, v121, v4
	s_delay_alu instid0(VALU_DEP_3) | instskip(NEXT) | instid1(VALU_DEP_3)
	v_lshrrev_b32_e32 v5, s9, v1
	v_lshrrev_b32_e32 v12, s9, v3
	v_dual_mov_b32 v175, 0xfeffffff :: v_dual_add_nc_u32 v8, v120, v8
	s_delay_alu instid0(VALU_DEP_4) | instskip(NEXT) | instid1(VALU_DEP_4)
	v_lshrrev_b32_e32 v10, s9, v10
	v_mul_lo_u32 v13, v5, s10
	s_delay_alu instid0(VALU_DEP_4) | instskip(NEXT) | instid1(VALU_DEP_4)
	v_mul_lo_u32 v12, v12, s10
	v_lshrrev_b32_e32 v8, s9, v8
	v_mul_hi_u32 v18, s8, v59
	v_mul_lo_u32 v10, v10, s10
	v_mul_lo_u32 v0, s23, v9
	s_lshl_b32 s2, s23, 4
	v_mul_lo_u32 v8, v8, s10
	v_sub_nc_u32_e32 v13, v125, v13
	v_sub_nc_u32_e32 v12, v124, v12
	v_mov_b32_e32 v103, 0
	s_cmp_lg_u64 s[68:69], 0
	v_mov_b32_e32 v110, 0
	v_mul_lo_u32 v56, v13, s22
	v_add_nc_u32_e32 v13, v119, v14
	v_mul_hi_u32 v14, s8, v116
	v_mul_lo_u32 v57, v12, s22
	v_dual_mov_b32 v171, 0xfeffffff :: v_dual_add_nc_u32 v12, v117, v15
	s_delay_alu instid0(VALU_DEP_4) | instskip(SKIP_2) | instid1(VALU_DEP_4)
	v_lshrrev_b32_e32 v13, s9, v13
	v_mul_hi_u32 v15, s8, v115
	v_sub_nc_u32_e32 v10, v121, v10
	v_lshrrev_b32_e32 v12, s9, v12
	v_dual_mov_b32 v167, 0xfeffffff :: v_dual_add_nc_u32 v14, v116, v14
	v_mul_lo_u32 v13, v13, s10
	s_delay_alu instid0(VALU_DEP_4)
	v_mul_lo_u32 v108, v10, s22
	v_sub_nc_u32_e32 v8, v120, v8
	v_mul_lo_u32 v10, v12, s10
	v_lshrrev_b32_e32 v12, s9, v14
	v_dual_mov_b32 v151, 0xfeffffff :: v_dual_add_nc_u32 v14, v115, v15
	v_mul_hi_u32 v15, s8, v113
	v_mul_lo_u32 v129, v8, s22
	v_sub_nc_u32_e32 v8, v119, v13
	v_mul_lo_u32 v12, v12, s10
	v_lshrrev_b32_e32 v13, s9, v14
	v_mul_hi_u32 v14, s8, v112
	v_sub_nc_u32_e32 v10, v117, v10
	v_mul_lo_u32 v130, v8, s22
	v_dual_mov_b32 v114, 0 :: v_dual_add_nc_u32 v15, v113, v15
	v_mul_lo_u32 v13, v13, s10
	v_sub_nc_u32_e32 v8, v116, v12
	v_mul_lo_u32 v131, v10, s22
	s_delay_alu instid0(VALU_DEP_4)
	v_lshrrev_b32_e32 v10, s9, v15
	v_dual_mov_b32 v177, 0 :: v_dual_add_nc_u32 v12, v112, v14
	v_dual_mov_b32 v173, 0 :: v_dual_add_nc_u32 v14, v63, v17
	v_mul_lo_u32 v132, v8, s22
	v_sub_nc_u32_e32 v8, v115, v13
	v_mul_lo_u32 v10, v10, s10
	s_delay_alu instid0(VALU_DEP_4)
	v_lshrrev_b32_e32 v13, s9, v14
	v_mul_hi_u32 v14, s8, v62
	v_mul_hi_u32 v15, s8, v61
	v_mul_lo_u32 v133, v8, s22
	v_mul_hi_u32 v17, s8, v60
	v_lshrrev_b32_e32 v12, s9, v12
	v_mov_b32_e32 v118, 0
	v_sub_nc_u32_e32 v8, v113, v10
	v_mul_lo_u32 v10, v13, s10
	v_add_nc_u32_e32 v13, v62, v14
	v_dual_mov_b32 v169, 0 :: v_dual_add_nc_u32 v14, v61, v15
	v_mul_lo_u32 v12, v12, s10
	v_dual_mov_b32 v122, 0 :: v_dual_add_nc_u32 v15, v60, v17
	s_delay_alu instid0(VALU_DEP_4) | instskip(SKIP_3) | instid1(VALU_DEP_4)
	v_lshrrev_b32_e32 v13, s9, v13
	v_dual_mov_b32 v126, 0 :: v_dual_add_nc_u32 v17, v59, v18
	v_lshrrev_b32_e32 v14, s9, v14
	v_add_nc_u32_e32 v2, s2, v0
	v_mul_lo_u32 v13, v13, s10
	v_sub_nc_u32_e32 v10, v63, v10
	v_lshrrev_b32_e32 v17, s9, v17
	v_mul_lo_u32 v14, v14, s10
	v_mul_lo_u32 v134, v8, s22
	;; [unrolled: 1-line block ×3, first 2 shown]
	v_dual_mov_b32 v107, 0 :: v_dual_add_nc_u32 v4, s2, v2
	v_sub_nc_u32_e32 v12, v112, v12
	v_mul_lo_u32 v136, v10, s22
	v_sub_nc_u32_e32 v10, v62, v13
	v_lshrrev_b32_e32 v15, s9, v15
	v_mul_lo_u32 v17, v17, s10
	v_dual_mov_b32 v111, 0 :: v_dual_add_nc_u32 v6, s2, v4
	s_cselect_b32 s7, -1, 0
	s_lshl_b32 s2, s13, 4
	v_mul_lo_u32 v135, v12, s22
	v_sub_nc_u32_e32 v12, v61, v14
	v_mul_lo_u32 v137, v10, s22
	v_dual_mov_b32 v165, 0 :: v_dual_add_nc_u32 v10, s2, v8
	v_mul_lo_u32 v15, v15, s10
	v_dual_mov_b32 v179, 0xfeffffff :: v_dual_and_b32 v16, 28, v99
	v_sub_nc_u32_e32 v14, v59, v17
	v_mul_lo_u32 v138, v12, s22
	v_dual_mov_b32 v163, 0 :: v_dual_add_nc_u32 v12, s2, v10
	s_delay_alu instid0(VALU_DEP_4) | instskip(SKIP_2) | instid1(VALU_DEP_4)
	v_dual_mov_b32 v100, 0 :: v_dual_lshlrev_b32 v11, 2, v16
	v_sub_nc_u32_e32 v13, v60, v15
	v_mul_lo_u32 v140, v14, s22
	v_dual_mov_b32 v159, 0 :: v_dual_add_nc_u32 v14, s2, v12
	s_delay_alu instid0(VALU_DEP_4)
	v_mad_u32_u24 v51, 0x90, v9, v11
	v_ashrrev_i32_e32 v1, 31, v0
	v_ashrrev_i32_e32 v3, 31, v2
	;; [unrolled: 1-line block ×4, first 2 shown]
	v_mul_lo_u32 v139, v13, s22
	v_lshl_or_b32 v141, v9, 7, v11
	v_ashrrev_i32_e32 v9, 31, v8
	v_ashrrev_i32_e32 v11, 31, v10
	;; [unrolled: 1-line block ×4, first 2 shown]
	v_dual_mov_b32 v180, 0xfeffffff :: v_dual_lshlrev_b32 v17, 4, v93
	v_dual_mov_b32 v161, 0 :: v_dual_add_nc_u32 v142, 0x2400, v98
	v_mul_lo_u32 v55, v123, s22
	v_lshlrev_b64 v[32:33], 2, v[0:1]
	v_lshlrev_b64 v[34:35], 2, v[2:3]
	;; [unrolled: 1-line block ×8, first 2 shown]
	v_dual_mov_b32 v101, 0 :: v_dual_add_nc_u32 v50, 0x4400, v98
	v_dual_mov_b32 v109, 0 :: v_dual_add_nc_u32 v52, 0x900, v51
	v_dual_mov_b32 v106, 0 :: v_dual_add_nc_u32 v53, 0x1200, v51
	v_dual_mov_b32 v127, 0 :: v_dual_add_nc_u32 v54, 0x1b00, v51
	v_dual_mov_b32 v178, 0 :: v_dual_add_nc_u32 v143, 0x800, v141
	v_dual_mov_b32 v157, 0 :: v_dual_add_nc_u32 v144, 0x1000, v141
	v_dual_mov_b32 v174, 0 :: v_dual_add_nc_u32 v145, 0x1800, v141
	s_add_u32 s2, s0, 0xd0
	v_dual_mov_b32 v155, 0 :: v_dual_lshlrev_b32 v146, 2, v16
	v_dual_mov_b32 v176, 0xfeffffff :: v_dual_add_nc_u32 v147, v142, v17
	v_mbcnt_lo_u32_b32 v148, -1, 0
	v_dual_mov_b32 v172, 0xfeffffff :: v_dual_mov_b32 v153, 0
	v_dual_mov_b32 v168, 0xfeffffff :: v_dual_mov_b32 v149, 0
	v_mov_b32_e32 v164, 0xfeffffff
	v_mov_b32_e32 v162, 0xfeffffff
	;; [unrolled: 1-line block ×10, first 2 shown]
	s_addc_u32 s3, s1, 0
	s_add_u32 s18, s68, 64
	s_addc_u32 s19, s69, 0
.LBB52_8:                               ; =>This Inner Loop Header: Depth=1
	s_mul_hi_i32 s21, s12, s23
	s_mul_i32 s20, s12, s23
	v_dual_mov_b32 v201, 0 :: v_dual_mov_b32 v198, 0
	s_lshl_b64 s[20:21], s[20:21], 2
	v_dual_mov_b32 v197, 0 :: v_dual_mov_b32 v190, 0
	s_add_u32 s20, s4, s20
	s_addc_u32 s21, s5, s21
	v_add_co_u32 v0, vcc_lo, s20, v32
	v_add_co_ci_u32_e32 v1, vcc_lo, s21, v33, vcc_lo
	v_dual_mov_b32 v195, 0 :: v_dual_mov_b32 v188, 0
	s_delay_alu instid0(VALU_DEP_3) | instskip(NEXT) | instid1(VALU_DEP_3)
	v_add_co_u32 v0, vcc_lo, v0, v146
	v_add_co_ci_u32_e32 v1, vcc_lo, 0, v1, vcc_lo
	v_dual_mov_b32 v193, 0 :: v_dual_mov_b32 v186, 0
	v_dual_mov_b32 v191, 0 :: v_dual_mov_b32 v184, 0
	global_load_b128 v[0:3], v[0:1], off
	v_dual_mov_b32 v189, 0 :: v_dual_mov_b32 v182, 0
	v_dual_mov_b32 v187, 0 :: v_dual_mov_b32 v206, 0
	v_mov_b32_e32 v185, 0
	v_mov_b32_e32 v183, 0
	v_dual_mov_b32 v181, 0 :: v_dual_mov_b32 v200, 0
	v_dual_mov_b32 v199, 0 :: v_dual_mov_b32 v192, 0
	v_mov_b32_e32 v194, 0
	v_mov_b32_e32 v196, 0
	s_waitcnt vmcnt(0)
	ds_store_b128 v51, v[0:3]
	v_add_co_u32 v0, vcc_lo, s20, v34
	v_add_co_ci_u32_e32 v1, vcc_lo, s21, v35, vcc_lo
	s_delay_alu instid0(VALU_DEP_2) | instskip(NEXT) | instid1(VALU_DEP_2)
	v_add_co_u32 v0, vcc_lo, v0, v146
	v_add_co_ci_u32_e32 v1, vcc_lo, 0, v1, vcc_lo
	global_load_b128 v[0:3], v[0:1], off
	s_waitcnt vmcnt(0)
	ds_store_b128 v52, v[0:3]
	v_add_co_u32 v0, vcc_lo, s20, v36
	v_add_co_ci_u32_e32 v1, vcc_lo, s21, v37, vcc_lo
	s_delay_alu instid0(VALU_DEP_2) | instskip(NEXT) | instid1(VALU_DEP_2)
	v_add_co_u32 v0, vcc_lo, v0, v146
	v_add_co_ci_u32_e32 v1, vcc_lo, 0, v1, vcc_lo
	global_load_b128 v[0:3], v[0:1], off
	s_waitcnt vmcnt(0)
	ds_store_b128 v53, v[0:3]
	v_add_co_u32 v0, vcc_lo, s20, v38
	v_add_co_ci_u32_e32 v1, vcc_lo, s21, v39, vcc_lo
	s_delay_alu instid0(VALU_DEP_2) | instskip(NEXT) | instid1(VALU_DEP_2)
	v_add_co_u32 v0, vcc_lo, v0, v146
	v_add_co_ci_u32_e32 v1, vcc_lo, 0, v1, vcc_lo
	s_and_not1_b32 vcc_lo, exec_lo, s7
	global_load_b128 v[0:3], v[0:1], off
	s_waitcnt vmcnt(0)
	ds_store_b128 v54, v[0:3]
	s_waitcnt lgkmcnt(0)
	s_barrier
	buffer_gl0_inv
	ds_load_b128 v[202:205], v128
	ds_load_b128 v[0:3], v128 offset:4608
	ds_load_b128 v[207:210], v50
	ds_load_b128 v[211:214], v50 offset:128
	ds_load_b128 v[215:218], v50 offset:256
	;; [unrolled: 1-line block ×15, first 2 shown]
	s_waitcnt lgkmcnt(15)
	;;#ASMSTART
	v_dot2_f32_f16 v201, v202, v207, v201
	;;#ASMEND
	;;#ASMSTART
	v_dot2_f32_f16 v201, v203, v208, v201
	;;#ASMEND
	;;#ASMSTART
	v_dot2_f32_f16 v201, v204, v209, v201
	;;#ASMEND
	;;#ASMSTART
	v_dot2_f32_f16 v201, v205, v210, v201
	;;#ASMEND
	s_waitcnt lgkmcnt(14)
	;;#ASMSTART
	v_dot2_f32_f16 v198, v202, v211, v198
	;;#ASMEND
	;;#ASMSTART
	v_dot2_f32_f16 v198, v203, v212, v198
	;;#ASMEND
	;;#ASMSTART
	v_dot2_f32_f16 v198, v204, v213, v198
	;;#ASMEND
	;;#ASMSTART
	v_dot2_f32_f16 v198, v205, v214, v198
	;;#ASMEND
	;; [unrolled: 13-line block ×16, first 2 shown]
	;;#ASMSTART
	v_dot2_f32_f16 v206, v0, v207, v206
	;;#ASMEND
	;;#ASMSTART
	v_dot2_f32_f16 v206, v1, v208, v206
	;;#ASMEND
	;;#ASMSTART
	v_dot2_f32_f16 v206, v2, v209, v206
	;;#ASMEND
	v_mov_b32_e32 v205, 0
	;;#ASMSTART
	v_dot2_f32_f16 v206, v3, v210, v206
	;;#ASMEND
	;;#ASMSTART
	v_dot2_f32_f16 v205, v0, v211, v205
	;;#ASMEND
	;;#ASMSTART
	v_dot2_f32_f16 v205, v1, v212, v205
	;;#ASMEND
	;;#ASMSTART
	v_dot2_f32_f16 v205, v2, v213, v205
	;;#ASMEND
	v_mov_b32_e32 v204, 0
	;;#ASMSTART
	v_dot2_f32_f16 v205, v3, v214, v205
	;;#ASMEND
	;; [unrolled: 13-line block ×4, first 2 shown]
	;;#ASMSTART
	v_dot2_f32_f16 v202, v0, v223, v202
	;;#ASMEND
	;;#ASMSTART
	v_dot2_f32_f16 v202, v1, v224, v202
	;;#ASMEND
	;; [unrolled: 3-line block ×23, first 2 shown]
	v_mov_b32_e32 v28, 0
	;;#ASMSTART
	v_dot2_f32_f16 v192, v3, v31, v192
	;;#ASMEND
	;;#ASMSTART
	v_dot2_f32_f16 v28, v0, v24, v28
	;;#ASMEND
	;;#ASMSTART
	v_dot2_f32_f16 v28, v1, v25, v28
	;;#ASMEND
	;;#ASMSTART
	v_dot2_f32_f16 v28, v2, v26, v28
	;;#ASMEND
	v_mov_b32_e32 v24, 0
	;;#ASMSTART
	v_dot2_f32_f16 v28, v3, v27, v28
	;;#ASMEND
	;;#ASMSTART
	v_dot2_f32_f16 v24, v0, v20, v24
	;;#ASMEND
	;;#ASMSTART
	v_dot2_f32_f16 v24, v1, v21, v24
	;;#ASMEND
	;;#ASMSTART
	v_dot2_f32_f16 v24, v2, v22, v24
	;;#ASMEND
	;; [unrolled: 13-line block ×6, first 2 shown]
	;;#ASMSTART
	v_dot2_f32_f16 v8, v3, v7, v8
	;;#ASMEND
	ds_load_b128 v[0:3], v128 offset:16
	ds_load_b128 v[4:7], v128 offset:4624
	;; [unrolled: 1-line block ×18, first 2 shown]
	s_waitcnt lgkmcnt(15)
	;;#ASMSTART
	v_dot2_f32_f16 v201, v0, v207, v201
	;;#ASMEND
	;;#ASMSTART
	v_dot2_f32_f16 v201, v1, v208, v201
	;;#ASMEND
	;;#ASMSTART
	v_dot2_f32_f16 v201, v2, v209, v201
	;;#ASMEND
	;;#ASMSTART
	v_dot2_f32_f16 v201, v3, v210, v201
	;;#ASMEND
	s_waitcnt lgkmcnt(14)
	;;#ASMSTART
	v_dot2_f32_f16 v198, v0, v211, v198
	;;#ASMEND
	;;#ASMSTART
	v_dot2_f32_f16 v198, v1, v212, v198
	;;#ASMEND
	;;#ASMSTART
	v_dot2_f32_f16 v198, v2, v213, v198
	;;#ASMEND
	;;#ASMSTART
	v_dot2_f32_f16 v198, v3, v214, v198
	;;#ASMEND
	;; [unrolled: 13-line block ×16, first 2 shown]
	;;#ASMSTART
	v_dot2_f32_f16 v206, v4, v207, v206
	;;#ASMEND
	;;#ASMSTART
	v_dot2_f32_f16 v206, v5, v208, v206
	;;#ASMEND
	;;#ASMSTART
	v_dot2_f32_f16 v206, v6, v209, v206
	;;#ASMEND
	;;#ASMSTART
	v_dot2_f32_f16 v206, v7, v210, v206
	;;#ASMEND
	;;#ASMSTART
	v_dot2_f32_f16 v205, v4, v211, v205
	;;#ASMEND
	;;#ASMSTART
	v_dot2_f32_f16 v205, v5, v212, v205
	;;#ASMEND
	;;#ASMSTART
	v_dot2_f32_f16 v205, v6, v213, v205
	;;#ASMEND
	;;#ASMSTART
	v_dot2_f32_f16 v205, v7, v214, v205
	;;#ASMEND
	;;#ASMSTART
	v_dot2_f32_f16 v204, v4, v215, v204
	;;#ASMEND
	;;#ASMSTART
	v_dot2_f32_f16 v204, v5, v216, v204
	;;#ASMEND
	;;#ASMSTART
	v_dot2_f32_f16 v204, v6, v217, v204
	;;#ASMEND
	;;#ASMSTART
	v_dot2_f32_f16 v204, v7, v218, v204
	;;#ASMEND
	;;#ASMSTART
	v_dot2_f32_f16 v203, v4, v219, v203
	;;#ASMEND
	;;#ASMSTART
	v_dot2_f32_f16 v203, v5, v220, v203
	;;#ASMEND
	;;#ASMSTART
	v_dot2_f32_f16 v203, v6, v221, v203
	;;#ASMEND
	;;#ASMSTART
	v_dot2_f32_f16 v203, v7, v222, v203
	;;#ASMEND
	;;#ASMSTART
	v_dot2_f32_f16 v202, v4, v223, v202
	;;#ASMEND
	;;#ASMSTART
	v_dot2_f32_f16 v202, v5, v224, v202
	;;#ASMEND
	;;#ASMSTART
	v_dot2_f32_f16 v202, v6, v225, v202
	;;#ASMEND
	;;#ASMSTART
	v_dot2_f32_f16 v202, v7, v226, v202
	;;#ASMEND
	;;#ASMSTART
	v_dot2_f32_f16 v200, v4, v227, v200
	;;#ASMEND
	;;#ASMSTART
	v_dot2_f32_f16 v200, v5, v228, v200
	;;#ASMEND
	;;#ASMSTART
	v_dot2_f32_f16 v200, v6, v229, v200
	;;#ASMEND
	;;#ASMSTART
	v_dot2_f32_f16 v200, v7, v230, v200
	;;#ASMEND
	;;#ASMSTART
	v_dot2_f32_f16 v199, v4, v231, v199
	;;#ASMEND
	;;#ASMSTART
	v_dot2_f32_f16 v199, v5, v232, v199
	;;#ASMEND
	;;#ASMSTART
	v_dot2_f32_f16 v199, v6, v233, v199
	;;#ASMEND
	;;#ASMSTART
	v_dot2_f32_f16 v199, v7, v234, v199
	;;#ASMEND
	;;#ASMSTART
	v_dot2_f32_f16 v196, v4, v235, v196
	;;#ASMEND
	;;#ASMSTART
	v_dot2_f32_f16 v196, v5, v236, v196
	;;#ASMEND
	;;#ASMSTART
	v_dot2_f32_f16 v196, v6, v237, v196
	;;#ASMEND
	;;#ASMSTART
	v_dot2_f32_f16 v196, v7, v238, v196
	;;#ASMEND
	;;#ASMSTART
	v_dot2_f32_f16 v194, v4, v239, v194
	;;#ASMEND
	;;#ASMSTART
	v_dot2_f32_f16 v194, v5, v240, v194
	;;#ASMEND
	;;#ASMSTART
	v_dot2_f32_f16 v194, v6, v241, v194
	;;#ASMEND
	;;#ASMSTART
	v_dot2_f32_f16 v194, v7, v242, v194
	;;#ASMEND
	;;#ASMSTART
	v_dot2_f32_f16 v192, v4, v243, v192
	;;#ASMEND
	;;#ASMSTART
	v_dot2_f32_f16 v192, v5, v244, v192
	;;#ASMEND
	;;#ASMSTART
	v_dot2_f32_f16 v192, v6, v245, v192
	;;#ASMEND
	;;#ASMSTART
	v_dot2_f32_f16 v192, v7, v246, v192
	;;#ASMEND
	;;#ASMSTART
	v_dot2_f32_f16 v28, v4, v247, v28
	;;#ASMEND
	;;#ASMSTART
	v_dot2_f32_f16 v28, v5, v248, v28
	;;#ASMEND
	;;#ASMSTART
	v_dot2_f32_f16 v28, v6, v249, v28
	;;#ASMEND
	;;#ASMSTART
	v_dot2_f32_f16 v28, v7, v250, v28
	;;#ASMEND
	;;#ASMSTART
	v_dot2_f32_f16 v24, v4, v251, v24
	;;#ASMEND
	;;#ASMSTART
	v_dot2_f32_f16 v24, v5, v252, v24
	;;#ASMEND
	;;#ASMSTART
	v_dot2_f32_f16 v24, v6, v253, v24
	;;#ASMEND
	;;#ASMSTART
	v_dot2_f32_f16 v24, v7, v254, v24
	;;#ASMEND
	;;#ASMSTART
	v_dot2_f32_f16 v20, v4, v64, v20
	;;#ASMEND
	;;#ASMSTART
	v_dot2_f32_f16 v20, v5, v65, v20
	;;#ASMEND
	;;#ASMSTART
	v_dot2_f32_f16 v20, v6, v66, v20
	;;#ASMEND
	;;#ASMSTART
	v_dot2_f32_f16 v20, v7, v67, v20
	;;#ASMEND
	;;#ASMSTART
	v_dot2_f32_f16 v16, v4, v68, v16
	;;#ASMEND
	;;#ASMSTART
	v_dot2_f32_f16 v16, v5, v69, v16
	;;#ASMEND
	;;#ASMSTART
	v_dot2_f32_f16 v16, v6, v70, v16
	;;#ASMEND
	;;#ASMSTART
	v_dot2_f32_f16 v16, v7, v71, v16
	;;#ASMEND
	;;#ASMSTART
	v_dot2_f32_f16 v12, v4, v72, v12
	;;#ASMEND
	;;#ASMSTART
	v_dot2_f32_f16 v12, v5, v73, v12
	;;#ASMEND
	;;#ASMSTART
	v_dot2_f32_f16 v12, v6, v74, v12
	;;#ASMEND
	;;#ASMSTART
	v_dot2_f32_f16 v12, v7, v75, v12
	;;#ASMEND
	;;#ASMSTART
	v_dot2_f32_f16 v8, v4, v76, v8
	;;#ASMEND
	;;#ASMSTART
	v_dot2_f32_f16 v8, v5, v77, v8
	;;#ASMEND
	;;#ASMSTART
	v_dot2_f32_f16 v8, v6, v78, v8
	;;#ASMEND
	;;#ASMSTART
	v_dot2_f32_f16 v8, v7, v79, v8
	;;#ASMEND
	ds_load_b128 v[0:3], v128 offset:32
	ds_load_b128 v[4:7], v128 offset:4640
	;; [unrolled: 1-line block ×18, first 2 shown]
	s_waitcnt lgkmcnt(15)
	;;#ASMSTART
	v_dot2_f32_f16 v201, v0, v64, v201
	;;#ASMEND
	;;#ASMSTART
	v_dot2_f32_f16 v201, v1, v65, v201
	;;#ASMEND
	;;#ASMSTART
	v_dot2_f32_f16 v201, v2, v66, v201
	;;#ASMEND
	;;#ASMSTART
	v_dot2_f32_f16 v201, v3, v67, v201
	;;#ASMEND
	s_waitcnt lgkmcnt(14)
	;;#ASMSTART
	v_dot2_f32_f16 v198, v0, v68, v198
	;;#ASMEND
	;;#ASMSTART
	v_dot2_f32_f16 v198, v1, v69, v198
	;;#ASMEND
	;;#ASMSTART
	v_dot2_f32_f16 v198, v2, v70, v198
	;;#ASMEND
	;;#ASMSTART
	v_dot2_f32_f16 v198, v3, v71, v198
	;;#ASMEND
	;; [unrolled: 13-line block ×16, first 2 shown]
	;;#ASMSTART
	v_dot2_f32_f16 v206, v4, v64, v206
	;;#ASMEND
	;;#ASMSTART
	v_dot2_f32_f16 v206, v5, v65, v206
	;;#ASMEND
	;; [unrolled: 3-line block ×64, first 2 shown]
	ds_load_b128 v[0:3], v128 offset:48
	ds_load_b128 v[4:7], v128 offset:4656
	;; [unrolled: 1-line block ×18, first 2 shown]
	s_waitcnt lgkmcnt(15)
	;;#ASMSTART
	v_dot2_f32_f16 v201, v0, v64, v201
	;;#ASMEND
	;;#ASMSTART
	v_dot2_f32_f16 v201, v1, v65, v201
	;;#ASMEND
	;;#ASMSTART
	v_dot2_f32_f16 v201, v2, v66, v201
	;;#ASMEND
	;;#ASMSTART
	v_dot2_f32_f16 v201, v3, v67, v201
	;;#ASMEND
	s_waitcnt lgkmcnt(14)
	;;#ASMSTART
	v_dot2_f32_f16 v198, v0, v68, v198
	;;#ASMEND
	;;#ASMSTART
	v_dot2_f32_f16 v198, v1, v69, v198
	;;#ASMEND
	;;#ASMSTART
	v_dot2_f32_f16 v198, v2, v70, v198
	;;#ASMEND
	;;#ASMSTART
	v_dot2_f32_f16 v198, v3, v71, v198
	;;#ASMEND
	;; [unrolled: 13-line block ×16, first 2 shown]
	;;#ASMSTART
	v_dot2_f32_f16 v206, v4, v64, v206
	;;#ASMEND
	;;#ASMSTART
	v_dot2_f32_f16 v206, v5, v65, v206
	;;#ASMEND
	;; [unrolled: 3-line block ×64, first 2 shown]
	ds_load_b128 v[0:3], v128 offset:64
	ds_load_b128 v[4:7], v128 offset:4672
	;; [unrolled: 1-line block ×18, first 2 shown]
	s_waitcnt lgkmcnt(15)
	;;#ASMSTART
	v_dot2_f32_f16 v201, v0, v64, v201
	;;#ASMEND
	;;#ASMSTART
	v_dot2_f32_f16 v201, v1, v65, v201
	;;#ASMEND
	;;#ASMSTART
	v_dot2_f32_f16 v201, v2, v66, v201
	;;#ASMEND
	;;#ASMSTART
	v_dot2_f32_f16 v201, v3, v67, v201
	;;#ASMEND
	s_waitcnt lgkmcnt(14)
	;;#ASMSTART
	v_dot2_f32_f16 v198, v0, v68, v198
	;;#ASMEND
	;;#ASMSTART
	v_dot2_f32_f16 v198, v1, v69, v198
	;;#ASMEND
	;;#ASMSTART
	v_dot2_f32_f16 v198, v2, v70, v198
	;;#ASMEND
	;;#ASMSTART
	v_dot2_f32_f16 v198, v3, v71, v198
	;;#ASMEND
	;; [unrolled: 13-line block ×16, first 2 shown]
	;;#ASMSTART
	v_dot2_f32_f16 v206, v4, v64, v206
	;;#ASMEND
	;;#ASMSTART
	v_dot2_f32_f16 v206, v5, v65, v206
	;;#ASMEND
	;; [unrolled: 3-line block ×64, first 2 shown]
	ds_load_b128 v[0:3], v128 offset:80
	ds_load_b128 v[4:7], v128 offset:4688
	;; [unrolled: 1-line block ×18, first 2 shown]
	s_waitcnt lgkmcnt(15)
	;;#ASMSTART
	v_dot2_f32_f16 v201, v0, v64, v201
	;;#ASMEND
	;;#ASMSTART
	v_dot2_f32_f16 v201, v1, v65, v201
	;;#ASMEND
	;;#ASMSTART
	v_dot2_f32_f16 v201, v2, v66, v201
	;;#ASMEND
	;;#ASMSTART
	v_dot2_f32_f16 v201, v3, v67, v201
	;;#ASMEND
	s_waitcnt lgkmcnt(14)
	;;#ASMSTART
	v_dot2_f32_f16 v198, v0, v68, v198
	;;#ASMEND
	;;#ASMSTART
	v_dot2_f32_f16 v198, v1, v69, v198
	;;#ASMEND
	;;#ASMSTART
	v_dot2_f32_f16 v198, v2, v70, v198
	;;#ASMEND
	;;#ASMSTART
	v_dot2_f32_f16 v198, v3, v71, v198
	;;#ASMEND
	;; [unrolled: 13-line block ×16, first 2 shown]
	;;#ASMSTART
	v_dot2_f32_f16 v206, v4, v64, v206
	;;#ASMEND
	;;#ASMSTART
	v_dot2_f32_f16 v206, v5, v65, v206
	;;#ASMEND
	;; [unrolled: 3-line block ×64, first 2 shown]
	ds_load_b128 v[0:3], v128 offset:96
	ds_load_b128 v[4:7], v128 offset:4704
	;; [unrolled: 1-line block ×18, first 2 shown]
	s_waitcnt lgkmcnt(15)
	;;#ASMSTART
	v_dot2_f32_f16 v201, v0, v64, v201
	;;#ASMEND
	;;#ASMSTART
	v_dot2_f32_f16 v201, v1, v65, v201
	;;#ASMEND
	;;#ASMSTART
	v_dot2_f32_f16 v201, v2, v66, v201
	;;#ASMEND
	;;#ASMSTART
	v_dot2_f32_f16 v201, v3, v67, v201
	;;#ASMEND
	s_waitcnt lgkmcnt(14)
	;;#ASMSTART
	v_dot2_f32_f16 v198, v0, v68, v198
	;;#ASMEND
	;;#ASMSTART
	v_dot2_f32_f16 v198, v1, v69, v198
	;;#ASMEND
	;;#ASMSTART
	v_dot2_f32_f16 v198, v2, v70, v198
	;;#ASMEND
	;;#ASMSTART
	v_dot2_f32_f16 v198, v3, v71, v198
	;;#ASMEND
	;; [unrolled: 13-line block ×16, first 2 shown]
	;;#ASMSTART
	v_dot2_f32_f16 v206, v4, v64, v206
	;;#ASMEND
	;;#ASMSTART
	v_dot2_f32_f16 v206, v5, v65, v206
	;;#ASMEND
	;; [unrolled: 3-line block ×64, first 2 shown]
	ds_load_b128 v[0:3], v128 offset:112
	ds_load_b128 v[4:7], v128 offset:4720
	;; [unrolled: 1-line block ×18, first 2 shown]
	s_waitcnt lgkmcnt(15)
	;;#ASMSTART
	v_dot2_f32_f16 v201, v0, v64, v201
	;;#ASMEND
	;;#ASMSTART
	v_dot2_f32_f16 v201, v1, v65, v201
	;;#ASMEND
	;;#ASMSTART
	v_dot2_f32_f16 v201, v2, v66, v201
	;;#ASMEND
	;;#ASMSTART
	v_dot2_f32_f16 v201, v3, v67, v201
	;;#ASMEND
	s_waitcnt lgkmcnt(14)
	;;#ASMSTART
	v_dot2_f32_f16 v198, v0, v68, v198
	;;#ASMEND
	;;#ASMSTART
	v_dot2_f32_f16 v198, v1, v69, v198
	;;#ASMEND
	;;#ASMSTART
	v_dot2_f32_f16 v198, v2, v70, v198
	;;#ASMEND
	;;#ASMSTART
	v_dot2_f32_f16 v198, v3, v71, v198
	;;#ASMEND
	;; [unrolled: 13-line block ×16, first 2 shown]
	v_mov_b32_e32 v3, 0
	;;#ASMSTART
	v_dot2_f32_f16 v206, v4, v64, v206
	;;#ASMEND
	;;#ASMSTART
	v_dot2_f32_f16 v206, v5, v65, v206
	;;#ASMEND
	;; [unrolled: 3-line block ×45, first 2 shown]
	v_add_nc_u32_e32 v2, s12, v93
	;;#ASMSTART
	v_dot2_f32_f16 v24, v5, v236, v24
	;;#ASMEND
	;;#ASMSTART
	v_dot2_f32_f16 v24, v6, v237, v24
	;;#ASMEND
	;; [unrolled: 3-line block ×6, first 2 shown]
	v_add_nc_u32_e32 v0, v2, v55
	;;#ASMSTART
	v_dot2_f32_f16 v20, v7, v242, v20
	;;#ASMEND
	;;#ASMSTART
	v_dot2_f32_f16 v16, v4, v243, v16
	;;#ASMEND
	;; [unrolled: 3-line block ×7, first 2 shown]
	v_ashrrev_i32_e32 v1, 31, v0
	;;#ASMSTART
	v_dot2_f32_f16 v12, v6, v249, v12
	;;#ASMEND
	;;#ASMSTART
	v_dot2_f32_f16 v12, v7, v250, v12
	;;#ASMEND
	;; [unrolled: 3-line block ×6, first 2 shown]
	s_cbranch_vccnz .LBB52_10
; %bb.9:                                ;   in Loop: Header=BB52_8 Depth=1
	v_lshlrev_b64 v[3:4], 1, v[0:1]
	s_delay_alu instid0(VALU_DEP_1) | instskip(NEXT) | instid1(VALU_DEP_2)
	v_add_co_u32 v3, vcc_lo, s68, v3
	v_add_co_ci_u32_e32 v4, vcc_lo, s69, v4, vcc_lo
	flat_load_u16 v3, v[3:4]
	s_waitcnt vmcnt(0) lgkmcnt(0)
	v_cvt_f32_f16_e32 v3, v3
	s_delay_alu instid0(VALU_DEP_1)
	v_mul_f32_e32 v3, v58, v3
.LBB52_10:                              ;   in Loop: Header=BB52_8 Depth=1
	v_mov_b32_e32 v6, 0
	v_mov_b32_e32 v4, 0
	s_and_not1_b32 vcc_lo, exec_lo, s7
	s_cbranch_vccnz .LBB52_12
; %bb.11:                               ;   in Loop: Header=BB52_8 Depth=1
	v_lshlrev_b64 v[0:1], 1, v[0:1]
	s_delay_alu instid0(VALU_DEP_1) | instskip(NEXT) | instid1(VALU_DEP_2)
	v_add_co_u32 v0, vcc_lo, s18, v0
	v_add_co_ci_u32_e32 v1, vcc_lo, s19, v1, vcc_lo
	flat_load_u16 v0, v[0:1]
	s_waitcnt vmcnt(0) lgkmcnt(0)
	v_cvt_f32_f16_e32 v0, v0
	s_delay_alu instid0(VALU_DEP_1)
	v_mul_f32_e32 v4, v58, v0
.LBB52_12:                              ;   in Loop: Header=BB52_8 Depth=1
	v_xor_b32_e32 v0, 16, v148
	s_delay_alu instid0(VALU_DEP_2) | instskip(NEXT) | instid1(VALU_DEP_2)
	v_dual_add_f32 v19, v201, v3 :: v_dual_add_f32 v206, v206, v4
	v_cmp_gt_i32_e32 vcc_lo, 32, v0
	s_delay_alu instid0(VALU_DEP_2) | instskip(NEXT) | instid1(VALU_DEP_1)
	v_dual_add_f32 v1, 0x40051340, v19 :: v_dual_cndmask_b32 v0, v148, v0
	v_dual_add_f32 v4, 0x40051340, v206 :: v_dual_lshlrev_b32 v3, 2, v0
	s_delay_alu instid0(VALU_DEP_1)
	v_max3_f32 v0, v179, v1, v4
	v_xor_b32_e32 v4, 8, v148
	ds_bpermute_b32 v1, v3, v0
	v_cmp_gt_i32_e32 vcc_lo, 32, v4
	s_waitcnt lgkmcnt(0)
	v_dual_cndmask_b32 v4, v148, v4 :: v_dual_max_f32 v1, v1, v1
	s_delay_alu instid0(VALU_DEP_1) | instskip(SKIP_1) | instid1(VALU_DEP_1)
	v_lshlrev_b32_e32 v18, 2, v4
	v_xor_b32_e32 v4, 4, v148
	v_cmp_gt_i32_e32 vcc_lo, 32, v4
	v_cndmask_b32_e32 v4, v148, v4, vcc_lo
	s_delay_alu instid0(VALU_DEP_1) | instskip(SKIP_2) | instid1(VALU_DEP_1)
	v_dual_max_f32 v0, v0, v1 :: v_dual_lshlrev_b32 v17, 2, v4
	ds_bpermute_b32 v1, v18, v0
	v_xor_b32_e32 v4, 2, v148
	v_cmp_gt_i32_e32 vcc_lo, 32, v4
	v_cndmask_b32_e32 v4, v148, v4, vcc_lo
	s_delay_alu instid0(VALU_DEP_1) | instskip(SKIP_3) | instid1(VALU_DEP_2)
	v_lshlrev_b32_e32 v5, 2, v4
	v_xor_b32_e32 v4, 1, v148
	s_waitcnt lgkmcnt(0)
	v_max_f32_e32 v1, v1, v1
	v_cmp_gt_i32_e32 vcc_lo, 32, v4
	s_delay_alu instid0(VALU_DEP_2)
	v_max_f32_e32 v0, v0, v1
	v_cndmask_b32_e32 v4, v148, v4, vcc_lo
	s_and_not1_b32 vcc_lo, exec_lo, s7
	ds_bpermute_b32 v1, v17, v0
	s_waitcnt lgkmcnt(0)
	v_max_f32_e32 v1, v1, v1
	s_delay_alu instid0(VALU_DEP_1) | instskip(SKIP_3) | instid1(VALU_DEP_1)
	v_max_f32_e32 v0, v0, v1
	ds_bpermute_b32 v1, v5, v0
	s_waitcnt lgkmcnt(0)
	v_dual_max_f32 v1, v1, v1 :: v_dual_lshlrev_b32 v4, 2, v4
	v_dual_max_f32 v215, v0, v1 :: v_dual_add_nc_u32 v0, v2, v56
	ds_bpermute_b32 v216, v4, v215
	v_ashrrev_i32_e32 v1, 31, v0
	s_cbranch_vccnz .LBB52_14
; %bb.13:                               ;   in Loop: Header=BB52_8 Depth=1
	s_delay_alu instid0(VALU_DEP_1) | instskip(NEXT) | instid1(VALU_DEP_1)
	v_lshlrev_b64 v[6:7], 1, v[0:1]
	v_add_co_u32 v6, vcc_lo, s68, v6
	s_delay_alu instid0(VALU_DEP_2) | instskip(SKIP_3) | instid1(VALU_DEP_1)
	v_add_co_ci_u32_e32 v7, vcc_lo, s69, v7, vcc_lo
	flat_load_u16 v6, v[6:7]
	s_waitcnt vmcnt(0) lgkmcnt(0)
	v_cvt_f32_f16_e32 v6, v6
	v_mul_f32_e32 v6, v58, v6
.LBB52_14:                              ;   in Loop: Header=BB52_8 Depth=1
	v_mov_b32_e32 v7, 0
	v_mov_b32_e32 v9, 0
	s_and_not1_b32 vcc_lo, exec_lo, s7
	s_cbranch_vccnz .LBB52_16
; %bb.15:                               ;   in Loop: Header=BB52_8 Depth=1
	v_lshlrev_b64 v[0:1], 1, v[0:1]
	s_delay_alu instid0(VALU_DEP_1) | instskip(NEXT) | instid1(VALU_DEP_2)
	v_add_co_u32 v0, vcc_lo, s18, v0
	v_add_co_ci_u32_e32 v1, vcc_lo, s19, v1, vcc_lo
	flat_load_u16 v0, v[0:1]
	s_waitcnt vmcnt(0) lgkmcnt(0)
	v_cvt_f32_f16_e32 v0, v0
	s_delay_alu instid0(VALU_DEP_1)
	v_mul_f32_e32 v9, v58, v0
.LBB52_16:                              ;   in Loop: Header=BB52_8 Depth=1
	s_delay_alu instid0(VALU_DEP_1) | instskip(SKIP_1) | instid1(VALU_DEP_1)
	v_dual_add_f32 v211, v198, v6 :: v_dual_add_f32 v212, v205, v9
	s_and_not1_b32 vcc_lo, exec_lo, s7
	v_dual_add_f32 v0, 0x40051340, v211 :: v_dual_add_f32 v1, 0x40051340, v212
	s_delay_alu instid0(VALU_DEP_1) | instskip(SKIP_3) | instid1(VALU_DEP_1)
	v_max3_f32 v0, v180, v0, v1
	ds_bpermute_b32 v1, v3, v0
	s_waitcnt lgkmcnt(0)
	v_max_f32_e32 v1, v1, v1
	v_max_f32_e32 v0, v0, v1
	ds_bpermute_b32 v1, v18, v0
	s_waitcnt lgkmcnt(0)
	v_max_f32_e32 v1, v1, v1
	s_delay_alu instid0(VALU_DEP_1) | instskip(SKIP_3) | instid1(VALU_DEP_1)
	v_max_f32_e32 v0, v0, v1
	ds_bpermute_b32 v1, v17, v0
	s_waitcnt lgkmcnt(0)
	v_max_f32_e32 v1, v1, v1
	v_max_f32_e32 v0, v0, v1
	ds_bpermute_b32 v1, v5, v0
	s_waitcnt lgkmcnt(0)
	v_max_f32_e32 v1, v1, v1
	s_delay_alu instid0(VALU_DEP_1)
	v_max_f32_e32 v220, v0, v1
	v_add_nc_u32_e32 v0, v2, v57
	ds_bpermute_b32 v221, v4, v220
	v_ashrrev_i32_e32 v1, 31, v0
	s_cbranch_vccnz .LBB52_18
; %bb.17:                               ;   in Loop: Header=BB52_8 Depth=1
	s_delay_alu instid0(VALU_DEP_1) | instskip(NEXT) | instid1(VALU_DEP_1)
	v_lshlrev_b64 v[6:7], 1, v[0:1]
	v_add_co_u32 v6, vcc_lo, s68, v6
	s_delay_alu instid0(VALU_DEP_2) | instskip(SKIP_3) | instid1(VALU_DEP_1)
	v_add_co_ci_u32_e32 v7, vcc_lo, s69, v7, vcc_lo
	flat_load_u16 v6, v[6:7]
	s_waitcnt vmcnt(0) lgkmcnt(0)
	v_cvt_f32_f16_e32 v6, v6
	v_mul_f32_e32 v7, v58, v6
.LBB52_18:                              ;   in Loop: Header=BB52_8 Depth=1
	v_dual_mov_b32 v6, 0 :: v_dual_mov_b32 v9, 0
	s_and_not1_b32 vcc_lo, exec_lo, s7
	s_cbranch_vccnz .LBB52_20
; %bb.19:                               ;   in Loop: Header=BB52_8 Depth=1
	v_lshlrev_b64 v[0:1], 1, v[0:1]
	s_delay_alu instid0(VALU_DEP_1) | instskip(NEXT) | instid1(VALU_DEP_2)
	v_add_co_u32 v0, vcc_lo, s18, v0
	v_add_co_ci_u32_e32 v1, vcc_lo, s19, v1, vcc_lo
	flat_load_u16 v0, v[0:1]
	s_waitcnt vmcnt(0) lgkmcnt(0)
	v_cvt_f32_f16_e32 v0, v0
	s_delay_alu instid0(VALU_DEP_1)
	v_mul_f32_e32 v9, v58, v0
.LBB52_20:                              ;   in Loop: Header=BB52_8 Depth=1
	s_delay_alu instid0(VALU_DEP_1) | instskip(SKIP_1) | instid1(VALU_DEP_1)
	v_dual_add_f32 v213, v197, v7 :: v_dual_add_f32 v214, v204, v9
	s_and_not1_b32 vcc_lo, exec_lo, s7
	v_dual_add_f32 v0, 0x40051340, v213 :: v_dual_add_f32 v1, 0x40051340, v214
	s_delay_alu instid0(VALU_DEP_1) | instskip(SKIP_3) | instid1(VALU_DEP_1)
	v_max3_f32 v0, v176, v0, v1
	ds_bpermute_b32 v1, v3, v0
	s_waitcnt lgkmcnt(0)
	v_max_f32_e32 v1, v1, v1
	v_max_f32_e32 v0, v0, v1
	ds_bpermute_b32 v1, v18, v0
	s_waitcnt lgkmcnt(0)
	v_max_f32_e32 v1, v1, v1
	s_delay_alu instid0(VALU_DEP_1) | instskip(SKIP_3) | instid1(VALU_DEP_1)
	v_max_f32_e32 v0, v0, v1
	ds_bpermute_b32 v1, v17, v0
	s_waitcnt lgkmcnt(0)
	v_max_f32_e32 v1, v1, v1
	v_max_f32_e32 v0, v0, v1
	ds_bpermute_b32 v1, v5, v0
	s_waitcnt lgkmcnt(0)
	v_max_f32_e32 v1, v1, v1
	s_delay_alu instid0(VALU_DEP_1)
	v_dual_max_f32 v217, v0, v1 :: v_dual_add_nc_u32 v0, v2, v108
	ds_bpermute_b32 v218, v4, v217
	v_ashrrev_i32_e32 v1, 31, v0
	s_cbranch_vccnz .LBB52_22
; %bb.21:                               ;   in Loop: Header=BB52_8 Depth=1
	s_delay_alu instid0(VALU_DEP_1) | instskip(NEXT) | instid1(VALU_DEP_1)
	v_lshlrev_b64 v[6:7], 1, v[0:1]
	v_add_co_u32 v6, vcc_lo, s68, v6
	s_delay_alu instid0(VALU_DEP_2) | instskip(SKIP_3) | instid1(VALU_DEP_1)
	v_add_co_ci_u32_e32 v7, vcc_lo, s69, v7, vcc_lo
	flat_load_u16 v6, v[6:7]
	s_waitcnt vmcnt(0) lgkmcnt(0)
	v_cvt_f32_f16_e32 v6, v6
	v_mul_f32_e32 v6, v58, v6
.LBB52_22:                              ;   in Loop: Header=BB52_8 Depth=1
	v_mov_b32_e32 v7, 0
	v_mov_b32_e32 v9, 0
	s_and_not1_b32 vcc_lo, exec_lo, s7
	s_cbranch_vccnz .LBB52_24
; %bb.23:                               ;   in Loop: Header=BB52_8 Depth=1
	v_lshlrev_b64 v[0:1], 1, v[0:1]
	s_delay_alu instid0(VALU_DEP_1) | instskip(NEXT) | instid1(VALU_DEP_2)
	v_add_co_u32 v0, vcc_lo, s18, v0
	v_add_co_ci_u32_e32 v1, vcc_lo, s19, v1, vcc_lo
	flat_load_u16 v0, v[0:1]
	s_waitcnt vmcnt(0) lgkmcnt(0)
	v_cvt_f32_f16_e32 v0, v0
	s_delay_alu instid0(VALU_DEP_1)
	v_mul_f32_e32 v9, v58, v0
.LBB52_24:                              ;   in Loop: Header=BB52_8 Depth=1
	v_add_f32_e32 v219, v195, v6
	s_delay_alu instid0(VALU_DEP_2) | instskip(SKIP_1) | instid1(VALU_DEP_1)
	v_add_f32_e32 v204, v203, v9
	s_and_not1_b32 vcc_lo, exec_lo, s7
	v_dual_add_f32 v0, 0x40051340, v219 :: v_dual_add_f32 v1, 0x40051340, v204
	s_delay_alu instid0(VALU_DEP_1) | instskip(SKIP_3) | instid1(VALU_DEP_1)
	v_max3_f32 v0, v175, v0, v1
	ds_bpermute_b32 v1, v3, v0
	s_waitcnt lgkmcnt(0)
	v_max_f32_e32 v1, v1, v1
	v_max_f32_e32 v0, v0, v1
	ds_bpermute_b32 v1, v18, v0
	s_waitcnt lgkmcnt(0)
	v_max_f32_e32 v1, v1, v1
	s_delay_alu instid0(VALU_DEP_1) | instskip(SKIP_3) | instid1(VALU_DEP_1)
	v_max_f32_e32 v0, v0, v1
	ds_bpermute_b32 v1, v17, v0
	s_waitcnt lgkmcnt(0)
	v_max_f32_e32 v1, v1, v1
	v_max_f32_e32 v0, v0, v1
	ds_bpermute_b32 v1, v5, v0
	s_waitcnt lgkmcnt(0)
	v_max_f32_e32 v1, v1, v1
	s_delay_alu instid0(VALU_DEP_1)
	v_max_f32_e32 v222, v0, v1
	v_add_nc_u32_e32 v0, v2, v129
	ds_bpermute_b32 v223, v4, v222
	v_ashrrev_i32_e32 v1, 31, v0
	s_cbranch_vccnz .LBB52_26
; %bb.25:                               ;   in Loop: Header=BB52_8 Depth=1
	s_delay_alu instid0(VALU_DEP_1) | instskip(NEXT) | instid1(VALU_DEP_1)
	v_lshlrev_b64 v[6:7], 1, v[0:1]
	v_add_co_u32 v6, vcc_lo, s68, v6
	s_delay_alu instid0(VALU_DEP_2) | instskip(SKIP_3) | instid1(VALU_DEP_1)
	v_add_co_ci_u32_e32 v7, vcc_lo, s69, v7, vcc_lo
	flat_load_u16 v6, v[6:7]
	s_waitcnt vmcnt(0) lgkmcnt(0)
	v_cvt_f32_f16_e32 v6, v6
	v_mul_f32_e32 v7, v58, v6
.LBB52_26:                              ;   in Loop: Header=BB52_8 Depth=1
	v_dual_mov_b32 v6, 0 :: v_dual_mov_b32 v9, 0
	s_and_not1_b32 vcc_lo, exec_lo, s7
	s_cbranch_vccnz .LBB52_28
; %bb.27:                               ;   in Loop: Header=BB52_8 Depth=1
	v_lshlrev_b64 v[0:1], 1, v[0:1]
	s_delay_alu instid0(VALU_DEP_1) | instskip(NEXT) | instid1(VALU_DEP_2)
	v_add_co_u32 v0, vcc_lo, s18, v0
	v_add_co_ci_u32_e32 v1, vcc_lo, s19, v1, vcc_lo
	flat_load_u16 v0, v[0:1]
	s_waitcnt vmcnt(0) lgkmcnt(0)
	v_cvt_f32_f16_e32 v0, v0
	s_delay_alu instid0(VALU_DEP_1)
	v_mul_f32_e32 v9, v58, v0
.LBB52_28:                              ;   in Loop: Header=BB52_8 Depth=1
	s_delay_alu instid0(VALU_DEP_2) | instskip(NEXT) | instid1(VALU_DEP_2)
	v_add_f32_e32 v21, v193, v7
	v_add_f32_e32 v201, v202, v9
	s_and_not1_b32 vcc_lo, exec_lo, s7
	s_delay_alu instid0(VALU_DEP_2) | instskip(NEXT) | instid1(VALU_DEP_2)
	v_add_f32_e32 v0, 0x40051340, v21
	v_add_f32_e32 v1, 0x40051340, v201
	s_delay_alu instid0(VALU_DEP_1) | instskip(SKIP_3) | instid1(VALU_DEP_1)
	v_max3_f32 v0, v172, v0, v1
	ds_bpermute_b32 v1, v3, v0
	s_waitcnt lgkmcnt(0)
	v_max_f32_e32 v1, v1, v1
	v_max_f32_e32 v0, v0, v1
	ds_bpermute_b32 v1, v18, v0
	s_waitcnt lgkmcnt(0)
	v_max_f32_e32 v1, v1, v1
	s_delay_alu instid0(VALU_DEP_1) | instskip(SKIP_3) | instid1(VALU_DEP_1)
	v_max_f32_e32 v0, v0, v1
	ds_bpermute_b32 v1, v17, v0
	s_waitcnt lgkmcnt(0)
	v_max_f32_e32 v1, v1, v1
	v_max_f32_e32 v0, v0, v1
	ds_bpermute_b32 v1, v5, v0
	s_waitcnt lgkmcnt(0)
	v_max_f32_e32 v1, v1, v1
	s_delay_alu instid0(VALU_DEP_1)
	v_dual_max_f32 v205, v0, v1 :: v_dual_add_nc_u32 v0, v2, v130
	ds_bpermute_b32 v207, v4, v205
	v_ashrrev_i32_e32 v1, 31, v0
	s_cbranch_vccnz .LBB52_30
; %bb.29:                               ;   in Loop: Header=BB52_8 Depth=1
	s_delay_alu instid0(VALU_DEP_1) | instskip(NEXT) | instid1(VALU_DEP_1)
	v_lshlrev_b64 v[6:7], 1, v[0:1]
	v_add_co_u32 v6, vcc_lo, s68, v6
	s_delay_alu instid0(VALU_DEP_2) | instskip(SKIP_3) | instid1(VALU_DEP_1)
	v_add_co_ci_u32_e32 v7, vcc_lo, s69, v7, vcc_lo
	flat_load_u16 v6, v[6:7]
	s_waitcnt vmcnt(0) lgkmcnt(0)
	v_cvt_f32_f16_e32 v6, v6
	v_mul_f32_e32 v6, v58, v6
.LBB52_30:                              ;   in Loop: Header=BB52_8 Depth=1
	v_mov_b32_e32 v7, 0
	v_mov_b32_e32 v9, 0
	s_and_not1_b32 vcc_lo, exec_lo, s7
	s_cbranch_vccnz .LBB52_32
; %bb.31:                               ;   in Loop: Header=BB52_8 Depth=1
	v_lshlrev_b64 v[0:1], 1, v[0:1]
	s_delay_alu instid0(VALU_DEP_1) | instskip(NEXT) | instid1(VALU_DEP_2)
	v_add_co_u32 v0, vcc_lo, s18, v0
	v_add_co_ci_u32_e32 v1, vcc_lo, s19, v1, vcc_lo
	flat_load_u16 v0, v[0:1]
	s_waitcnt vmcnt(0) lgkmcnt(0)
	v_cvt_f32_f16_e32 v0, v0
	s_delay_alu instid0(VALU_DEP_1)
	v_mul_f32_e32 v9, v58, v0
.LBB52_32:                              ;   in Loop: Header=BB52_8 Depth=1
	v_add_f32_e32 v208, v191, v6
	s_delay_alu instid0(VALU_DEP_2) | instskip(SKIP_1) | instid1(VALU_DEP_1)
	v_add_f32_e32 v6, v200, v9
	s_and_not1_b32 vcc_lo, exec_lo, s7
	v_dual_add_f32 v0, 0x40051340, v208 :: v_dual_add_f32 v1, 0x40051340, v6
	s_delay_alu instid0(VALU_DEP_1) | instskip(SKIP_3) | instid1(VALU_DEP_1)
	v_max3_f32 v0, v171, v0, v1
	ds_bpermute_b32 v1, v3, v0
	s_waitcnt lgkmcnt(0)
	v_max_f32_e32 v1, v1, v1
	v_max_f32_e32 v0, v0, v1
	ds_bpermute_b32 v1, v18, v0
	s_waitcnt lgkmcnt(0)
	v_max_f32_e32 v1, v1, v1
	s_delay_alu instid0(VALU_DEP_1) | instskip(SKIP_3) | instid1(VALU_DEP_1)
	v_max_f32_e32 v0, v0, v1
	ds_bpermute_b32 v1, v17, v0
	s_waitcnt lgkmcnt(0)
	v_max_f32_e32 v1, v1, v1
	v_max_f32_e32 v0, v0, v1
	ds_bpermute_b32 v1, v5, v0
	s_waitcnt lgkmcnt(0)
	v_max_f32_e32 v1, v1, v1
	s_delay_alu instid0(VALU_DEP_1)
	v_dual_max_f32 v209, v0, v1 :: v_dual_add_nc_u32 v0, v2, v131
	ds_bpermute_b32 v210, v4, v209
	v_ashrrev_i32_e32 v1, 31, v0
	s_cbranch_vccnz .LBB52_34
; %bb.33:                               ;   in Loop: Header=BB52_8 Depth=1
	s_delay_alu instid0(VALU_DEP_1) | instskip(NEXT) | instid1(VALU_DEP_1)
	v_lshlrev_b64 v[9:10], 1, v[0:1]
	v_add_co_u32 v9, vcc_lo, s68, v9
	s_delay_alu instid0(VALU_DEP_2) | instskip(SKIP_3) | instid1(VALU_DEP_1)
	v_add_co_ci_u32_e32 v10, vcc_lo, s69, v10, vcc_lo
	flat_load_u16 v7, v[9:10]
	s_waitcnt vmcnt(0) lgkmcnt(0)
	v_cvt_f32_f16_e32 v7, v7
	v_mul_f32_e32 v7, v58, v7
.LBB52_34:                              ;   in Loop: Header=BB52_8 Depth=1
	v_dual_mov_b32 v9, 0 :: v_dual_mov_b32 v10, 0
	s_and_not1_b32 vcc_lo, exec_lo, s7
	s_cbranch_vccnz .LBB52_36
; %bb.35:                               ;   in Loop: Header=BB52_8 Depth=1
	v_lshlrev_b64 v[0:1], 1, v[0:1]
	s_delay_alu instid0(VALU_DEP_1) | instskip(NEXT) | instid1(VALU_DEP_2)
	v_add_co_u32 v0, vcc_lo, s18, v0
	v_add_co_ci_u32_e32 v1, vcc_lo, s19, v1, vcc_lo
	flat_load_u16 v0, v[0:1]
	s_waitcnt vmcnt(0) lgkmcnt(0)
	v_cvt_f32_f16_e32 v0, v0
	s_delay_alu instid0(VALU_DEP_1)
	v_mul_f32_e32 v10, v58, v0
.LBB52_36:                              ;   in Loop: Header=BB52_8 Depth=1
	s_delay_alu instid0(VALU_DEP_2) | instskip(NEXT) | instid1(VALU_DEP_2)
	v_add_f32_e32 v197, v190, v7
	v_add_f32_e32 v7, v199, v10
	s_and_not1_b32 vcc_lo, exec_lo, s7
	s_delay_alu instid0(VALU_DEP_1) | instskip(NEXT) | instid1(VALU_DEP_1)
	v_dual_add_f32 v0, 0x40051340, v197 :: v_dual_add_f32 v1, 0x40051340, v7
	v_max3_f32 v0, v168, v0, v1
	ds_bpermute_b32 v1, v3, v0
	s_waitcnt lgkmcnt(0)
	v_max_f32_e32 v1, v1, v1
	s_delay_alu instid0(VALU_DEP_1) | instskip(SKIP_3) | instid1(VALU_DEP_1)
	v_max_f32_e32 v0, v0, v1
	ds_bpermute_b32 v1, v18, v0
	s_waitcnt lgkmcnt(0)
	v_max_f32_e32 v1, v1, v1
	v_max_f32_e32 v0, v0, v1
	ds_bpermute_b32 v1, v17, v0
	s_waitcnt lgkmcnt(0)
	v_max_f32_e32 v1, v1, v1
	s_delay_alu instid0(VALU_DEP_1) | instskip(SKIP_3) | instid1(VALU_DEP_1)
	v_max_f32_e32 v0, v0, v1
	ds_bpermute_b32 v1, v5, v0
	s_waitcnt lgkmcnt(0)
	v_max_f32_e32 v1, v1, v1
	v_max_f32_e32 v198, v0, v1
	v_add_nc_u32_e32 v0, v2, v132
	ds_bpermute_b32 v199, v4, v198
	v_ashrrev_i32_e32 v1, 31, v0
	s_cbranch_vccnz .LBB52_38
; %bb.37:                               ;   in Loop: Header=BB52_8 Depth=1
	s_delay_alu instid0(VALU_DEP_1) | instskip(NEXT) | instid1(VALU_DEP_1)
	v_lshlrev_b64 v[9:10], 1, v[0:1]
	v_add_co_u32 v9, vcc_lo, s68, v9
	s_delay_alu instid0(VALU_DEP_2) | instskip(SKIP_3) | instid1(VALU_DEP_1)
	v_add_co_ci_u32_e32 v10, vcc_lo, s69, v10, vcc_lo
	flat_load_u16 v9, v[9:10]
	s_waitcnt vmcnt(0) lgkmcnt(0)
	v_cvt_f32_f16_e32 v9, v9
	v_mul_f32_e32 v9, v58, v9
.LBB52_38:                              ;   in Loop: Header=BB52_8 Depth=1
	v_dual_mov_b32 v10, 0 :: v_dual_mov_b32 v11, 0
	s_and_not1_b32 vcc_lo, exec_lo, s7
	s_cbranch_vccnz .LBB52_40
; %bb.39:                               ;   in Loop: Header=BB52_8 Depth=1
	v_lshlrev_b64 v[0:1], 1, v[0:1]
	s_delay_alu instid0(VALU_DEP_1) | instskip(NEXT) | instid1(VALU_DEP_2)
	v_add_co_u32 v0, vcc_lo, s18, v0
	v_add_co_ci_u32_e32 v1, vcc_lo, s19, v1, vcc_lo
	flat_load_u16 v0, v[0:1]
	s_waitcnt vmcnt(0) lgkmcnt(0)
	v_cvt_f32_f16_e32 v0, v0
	s_delay_alu instid0(VALU_DEP_1)
	v_mul_f32_e32 v11, v58, v0
.LBB52_40:                              ;   in Loop: Header=BB52_8 Depth=1
	s_delay_alu instid0(VALU_DEP_1) | instskip(SKIP_2) | instid1(VALU_DEP_1)
	v_add_f32_e32 v22, v196, v11
	v_add_f32_e32 v200, v189, v9
	s_and_not1_b32 vcc_lo, exec_lo, s7
	v_dual_add_f32 v1, 0x40051340, v22 :: v_dual_add_f32 v0, 0x40051340, v200
	s_delay_alu instid0(VALU_DEP_1) | instskip(SKIP_3) | instid1(VALU_DEP_1)
	v_max3_f32 v0, v167, v0, v1
	ds_bpermute_b32 v1, v3, v0
	s_waitcnt lgkmcnt(0)
	v_max_f32_e32 v1, v1, v1
	v_max_f32_e32 v0, v0, v1
	ds_bpermute_b32 v1, v18, v0
	s_waitcnt lgkmcnt(0)
	v_max_f32_e32 v1, v1, v1
	s_delay_alu instid0(VALU_DEP_1) | instskip(SKIP_3) | instid1(VALU_DEP_1)
	v_max_f32_e32 v0, v0, v1
	ds_bpermute_b32 v1, v17, v0
	s_waitcnt lgkmcnt(0)
	v_max_f32_e32 v1, v1, v1
	v_max_f32_e32 v0, v0, v1
	ds_bpermute_b32 v1, v5, v0
	s_waitcnt lgkmcnt(0)
	v_max_f32_e32 v1, v1, v1
	s_delay_alu instid0(VALU_DEP_1)
	v_max_f32_e32 v202, v0, v1
	v_add_nc_u32_e32 v0, v2, v133
	ds_bpermute_b32 v203, v4, v202
	v_ashrrev_i32_e32 v1, 31, v0
	s_cbranch_vccnz .LBB52_42
; %bb.41:                               ;   in Loop: Header=BB52_8 Depth=1
	s_delay_alu instid0(VALU_DEP_1) | instskip(NEXT) | instid1(VALU_DEP_1)
	v_lshlrev_b64 v[9:10], 1, v[0:1]
	v_add_co_u32 v9, vcc_lo, s68, v9
	s_delay_alu instid0(VALU_DEP_2) | instskip(SKIP_3) | instid1(VALU_DEP_1)
	v_add_co_ci_u32_e32 v10, vcc_lo, s69, v10, vcc_lo
	flat_load_u16 v9, v[9:10]
	s_waitcnt vmcnt(0) lgkmcnt(0)
	v_cvt_f32_f16_e32 v9, v9
	v_mul_f32_e32 v10, v58, v9
.LBB52_42:                              ;   in Loop: Header=BB52_8 Depth=1
	v_mov_b32_e32 v11, 0
	v_mov_b32_e32 v9, 0
	s_and_not1_b32 vcc_lo, exec_lo, s7
	s_cbranch_vccnz .LBB52_44
; %bb.43:                               ;   in Loop: Header=BB52_8 Depth=1
	v_lshlrev_b64 v[0:1], 1, v[0:1]
	s_delay_alu instid0(VALU_DEP_1) | instskip(NEXT) | instid1(VALU_DEP_2)
	v_add_co_u32 v0, vcc_lo, s18, v0
	v_add_co_ci_u32_e32 v1, vcc_lo, s19, v1, vcc_lo
	flat_load_u16 v0, v[0:1]
	s_waitcnt vmcnt(0) lgkmcnt(0)
	v_cvt_f32_f16_e32 v0, v0
	s_delay_alu instid0(VALU_DEP_1)
	v_mul_f32_e32 v9, v58, v0
.LBB52_44:                              ;   in Loop: Header=BB52_8 Depth=1
	v_add_f32_e32 v193, v188, v10
	s_delay_alu instid0(VALU_DEP_2) | instskip(SKIP_1) | instid1(VALU_DEP_2)
	v_add_f32_e32 v9, v194, v9
	s_and_not1_b32 vcc_lo, exec_lo, s7
	v_add_f32_e32 v0, 0x40051340, v193
	s_delay_alu instid0(VALU_DEP_2) | instskip(NEXT) | instid1(VALU_DEP_1)
	v_add_f32_e32 v1, 0x40051340, v9
	v_max3_f32 v0, v164, v0, v1
	ds_bpermute_b32 v1, v3, v0
	s_waitcnt lgkmcnt(0)
	v_max_f32_e32 v1, v1, v1
	s_delay_alu instid0(VALU_DEP_1) | instskip(SKIP_3) | instid1(VALU_DEP_1)
	v_max_f32_e32 v0, v0, v1
	ds_bpermute_b32 v1, v18, v0
	s_waitcnt lgkmcnt(0)
	v_max_f32_e32 v1, v1, v1
	v_max_f32_e32 v0, v0, v1
	ds_bpermute_b32 v1, v17, v0
	s_waitcnt lgkmcnt(0)
	v_max_f32_e32 v1, v1, v1
	s_delay_alu instid0(VALU_DEP_1) | instskip(SKIP_3) | instid1(VALU_DEP_1)
	v_max_f32_e32 v0, v0, v1
	ds_bpermute_b32 v1, v5, v0
	s_waitcnt lgkmcnt(0)
	v_max_f32_e32 v1, v1, v1
	v_dual_max_f32 v23, v0, v1 :: v_dual_add_nc_u32 v0, v2, v134
	ds_bpermute_b32 v194, v4, v23
	v_ashrrev_i32_e32 v1, 31, v0
	s_cbranch_vccnz .LBB52_46
; %bb.45:                               ;   in Loop: Header=BB52_8 Depth=1
	s_delay_alu instid0(VALU_DEP_1) | instskip(NEXT) | instid1(VALU_DEP_1)
	v_lshlrev_b64 v[10:11], 1, v[0:1]
	v_add_co_u32 v10, vcc_lo, s68, v10
	s_delay_alu instid0(VALU_DEP_2) | instskip(SKIP_3) | instid1(VALU_DEP_1)
	v_add_co_ci_u32_e32 v11, vcc_lo, s69, v11, vcc_lo
	flat_load_u16 v10, v[10:11]
	s_waitcnt vmcnt(0) lgkmcnt(0)
	v_cvt_f32_f16_e32 v10, v10
	v_mul_f32_e32 v11, v58, v10
.LBB52_46:                              ;   in Loop: Header=BB52_8 Depth=1
	v_dual_mov_b32 v10, 0 :: v_dual_mov_b32 v13, 0
	s_and_not1_b32 vcc_lo, exec_lo, s7
	s_cbranch_vccnz .LBB52_48
; %bb.47:                               ;   in Loop: Header=BB52_8 Depth=1
	v_lshlrev_b64 v[0:1], 1, v[0:1]
	s_delay_alu instid0(VALU_DEP_1) | instskip(NEXT) | instid1(VALU_DEP_2)
	v_add_co_u32 v0, vcc_lo, s18, v0
	v_add_co_ci_u32_e32 v1, vcc_lo, s19, v1, vcc_lo
	flat_load_u16 v0, v[0:1]
	s_waitcnt vmcnt(0) lgkmcnt(0)
	v_cvt_f32_f16_e32 v0, v0
	s_delay_alu instid0(VALU_DEP_1)
	v_mul_f32_e32 v13, v58, v0
.LBB52_48:                              ;   in Loop: Header=BB52_8 Depth=1
	s_delay_alu instid0(VALU_DEP_2) | instskip(NEXT) | instid1(VALU_DEP_2)
	v_add_f32_e32 v195, v187, v11
	v_add_f32_e32 v191, v192, v13
	s_and_not1_b32 vcc_lo, exec_lo, s7
	s_delay_alu instid0(VALU_DEP_2) | instskip(NEXT) | instid1(VALU_DEP_2)
	v_add_f32_e32 v0, 0x40051340, v195
	v_add_f32_e32 v1, 0x40051340, v191
	s_delay_alu instid0(VALU_DEP_1) | instskip(SKIP_3) | instid1(VALU_DEP_1)
	v_max3_f32 v0, v162, v0, v1
	ds_bpermute_b32 v1, v3, v0
	s_waitcnt lgkmcnt(0)
	v_max_f32_e32 v1, v1, v1
	v_max_f32_e32 v0, v0, v1
	ds_bpermute_b32 v1, v18, v0
	s_waitcnt lgkmcnt(0)
	v_max_f32_e32 v1, v1, v1
	s_delay_alu instid0(VALU_DEP_1) | instskip(SKIP_3) | instid1(VALU_DEP_1)
	v_max_f32_e32 v0, v0, v1
	ds_bpermute_b32 v1, v17, v0
	s_waitcnt lgkmcnt(0)
	v_max_f32_e32 v1, v1, v1
	v_max_f32_e32 v0, v0, v1
	ds_bpermute_b32 v1, v5, v0
	s_waitcnt lgkmcnt(0)
	v_max_f32_e32 v1, v1, v1
	s_delay_alu instid0(VALU_DEP_1)
	v_max_f32_e32 v192, v0, v1
	v_add_nc_u32_e32 v0, v2, v135
	ds_bpermute_b32 v196, v4, v192
	v_ashrrev_i32_e32 v1, 31, v0
	s_cbranch_vccnz .LBB52_50
; %bb.49:                               ;   in Loop: Header=BB52_8 Depth=1
	s_delay_alu instid0(VALU_DEP_1) | instskip(NEXT) | instid1(VALU_DEP_1)
	v_lshlrev_b64 v[10:11], 1, v[0:1]
	v_add_co_u32 v10, vcc_lo, s68, v10
	s_delay_alu instid0(VALU_DEP_2) | instskip(SKIP_3) | instid1(VALU_DEP_1)
	v_add_co_ci_u32_e32 v11, vcc_lo, s69, v11, vcc_lo
	flat_load_u16 v10, v[10:11]
	s_waitcnt vmcnt(0) lgkmcnt(0)
	v_cvt_f32_f16_e32 v10, v10
	v_mul_f32_e32 v10, v58, v10
.LBB52_50:                              ;   in Loop: Header=BB52_8 Depth=1
	v_dual_mov_b32 v14, 0 :: v_dual_mov_b32 v11, 0
	s_and_not1_b32 vcc_lo, exec_lo, s7
	s_cbranch_vccnz .LBB52_52
; %bb.51:                               ;   in Loop: Header=BB52_8 Depth=1
	v_lshlrev_b64 v[0:1], 1, v[0:1]
	s_delay_alu instid0(VALU_DEP_1) | instskip(NEXT) | instid1(VALU_DEP_2)
	v_add_co_u32 v0, vcc_lo, s18, v0
	v_add_co_ci_u32_e32 v1, vcc_lo, s19, v1, vcc_lo
	flat_load_u16 v0, v[0:1]
	s_waitcnt vmcnt(0) lgkmcnt(0)
	v_cvt_f32_f16_e32 v0, v0
	s_delay_alu instid0(VALU_DEP_1)
	v_mul_f32_e32 v11, v58, v0
.LBB52_52:                              ;   in Loop: Header=BB52_8 Depth=1
	s_delay_alu instid0(VALU_DEP_2) | instskip(NEXT) | instid1(VALU_DEP_2)
	v_add_f32_e32 v13, v186, v10
	v_add_f32_e32 v11, v28, v11
	s_and_not1_b32 vcc_lo, exec_lo, s7
	s_delay_alu instid0(VALU_DEP_1) | instskip(NEXT) | instid1(VALU_DEP_1)
	v_dual_add_f32 v0, 0x40051340, v13 :: v_dual_add_f32 v1, 0x40051340, v11
	v_max3_f32 v0, v160, v0, v1
	ds_bpermute_b32 v1, v3, v0
	s_waitcnt lgkmcnt(0)
	v_max_f32_e32 v1, v1, v1
	s_delay_alu instid0(VALU_DEP_1) | instskip(SKIP_3) | instid1(VALU_DEP_1)
	v_max_f32_e32 v0, v0, v1
	ds_bpermute_b32 v1, v18, v0
	s_waitcnt lgkmcnt(0)
	v_max_f32_e32 v1, v1, v1
	v_max_f32_e32 v0, v0, v1
	ds_bpermute_b32 v1, v17, v0
	s_waitcnt lgkmcnt(0)
	v_max_f32_e32 v1, v1, v1
	s_delay_alu instid0(VALU_DEP_1) | instskip(SKIP_3) | instid1(VALU_DEP_1)
	v_max_f32_e32 v0, v0, v1
	ds_bpermute_b32 v1, v5, v0
	s_waitcnt lgkmcnt(0)
	v_max_f32_e32 v1, v1, v1
	v_max_f32_e32 v10, v0, v1
	v_add_nc_u32_e32 v0, v2, v136
	ds_bpermute_b32 v25, v4, v10
	v_ashrrev_i32_e32 v1, 31, v0
	s_cbranch_vccnz .LBB52_54
; %bb.53:                               ;   in Loop: Header=BB52_8 Depth=1
	s_delay_alu instid0(VALU_DEP_1) | instskip(NEXT) | instid1(VALU_DEP_1)
	v_lshlrev_b64 v[14:15], 1, v[0:1]
	v_add_co_u32 v14, vcc_lo, s68, v14
	s_delay_alu instid0(VALU_DEP_2) | instskip(SKIP_3) | instid1(VALU_DEP_1)
	v_add_co_ci_u32_e32 v15, vcc_lo, s69, v15, vcc_lo
	flat_load_u16 v14, v[14:15]
	s_waitcnt vmcnt(0) lgkmcnt(0)
	v_cvt_f32_f16_e32 v14, v14
	v_mul_f32_e32 v14, v58, v14
.LBB52_54:                              ;   in Loop: Header=BB52_8 Depth=1
	v_mov_b32_e32 v27, 0
	v_mov_b32_e32 v15, 0
	s_and_not1_b32 vcc_lo, exec_lo, s7
	s_cbranch_vccnz .LBB52_56
; %bb.55:                               ;   in Loop: Header=BB52_8 Depth=1
	v_lshlrev_b64 v[0:1], 1, v[0:1]
	s_delay_alu instid0(VALU_DEP_1) | instskip(NEXT) | instid1(VALU_DEP_2)
	v_add_co_u32 v0, vcc_lo, s18, v0
	v_add_co_ci_u32_e32 v1, vcc_lo, s19, v1, vcc_lo
	flat_load_u16 v0, v[0:1]
	s_waitcnt vmcnt(0) lgkmcnt(0)
	v_cvt_f32_f16_e32 v0, v0
	s_delay_alu instid0(VALU_DEP_1)
	v_mul_f32_e32 v15, v58, v0
.LBB52_56:                              ;   in Loop: Header=BB52_8 Depth=1
	s_delay_alu instid0(VALU_DEP_1) | instskip(SKIP_1) | instid1(VALU_DEP_1)
	v_dual_add_f32 v26, v185, v14 :: v_dual_add_f32 v15, v24, v15
	s_and_not1_b32 vcc_lo, exec_lo, s7
	v_dual_add_f32 v0, 0x40051340, v26 :: v_dual_add_f32 v1, 0x40051340, v15
	s_delay_alu instid0(VALU_DEP_1) | instskip(SKIP_3) | instid1(VALU_DEP_1)
	v_max3_f32 v0, v158, v0, v1
	ds_bpermute_b32 v1, v3, v0
	s_waitcnt lgkmcnt(0)
	v_max_f32_e32 v1, v1, v1
	v_max_f32_e32 v0, v0, v1
	ds_bpermute_b32 v1, v18, v0
	s_waitcnt lgkmcnt(0)
	v_max_f32_e32 v1, v1, v1
	s_delay_alu instid0(VALU_DEP_1) | instskip(SKIP_3) | instid1(VALU_DEP_1)
	v_max_f32_e32 v0, v0, v1
	ds_bpermute_b32 v1, v17, v0
	s_waitcnt lgkmcnt(0)
	v_max_f32_e32 v1, v1, v1
	v_max_f32_e32 v0, v0, v1
	ds_bpermute_b32 v1, v5, v0
	s_waitcnt lgkmcnt(0)
	v_max_f32_e32 v1, v1, v1
	s_delay_alu instid0(VALU_DEP_1)
	v_max_f32_e32 v185, v0, v1
	v_add_nc_u32_e32 v0, v2, v137
	ds_bpermute_b32 v186, v4, v185
	v_ashrrev_i32_e32 v1, 31, v0
	s_cbranch_vccnz .LBB52_58
; %bb.57:                               ;   in Loop: Header=BB52_8 Depth=1
	s_delay_alu instid0(VALU_DEP_1) | instskip(NEXT) | instid1(VALU_DEP_1)
	v_lshlrev_b64 v[27:28], 1, v[0:1]
	v_add_co_u32 v27, vcc_lo, s68, v27
	s_delay_alu instid0(VALU_DEP_2) | instskip(SKIP_3) | instid1(VALU_DEP_1)
	v_add_co_ci_u32_e32 v28, vcc_lo, s69, v28, vcc_lo
	flat_load_u16 v14, v[27:28]
	s_waitcnt vmcnt(0) lgkmcnt(0)
	v_cvt_f32_f16_e32 v14, v14
	v_mul_f32_e32 v27, v58, v14
.LBB52_58:                              ;   in Loop: Header=BB52_8 Depth=1
	v_mov_b32_e32 v24, 0
	v_mov_b32_e32 v28, 0
	s_and_not1_b32 vcc_lo, exec_lo, s7
	s_cbranch_vccnz .LBB52_60
; %bb.59:                               ;   in Loop: Header=BB52_8 Depth=1
	v_lshlrev_b64 v[0:1], 1, v[0:1]
	s_delay_alu instid0(VALU_DEP_1) | instskip(NEXT) | instid1(VALU_DEP_2)
	v_add_co_u32 v0, vcc_lo, s18, v0
	v_add_co_ci_u32_e32 v1, vcc_lo, s19, v1, vcc_lo
	flat_load_u16 v0, v[0:1]
	s_waitcnt vmcnt(0) lgkmcnt(0)
	v_cvt_f32_f16_e32 v0, v0
	s_delay_alu instid0(VALU_DEP_1)
	v_mul_f32_e32 v28, v58, v0
.LBB52_60:                              ;   in Loop: Header=BB52_8 Depth=1
	v_add_f32_e32 v14, v184, v27
	s_delay_alu instid0(VALU_DEP_2) | instskip(SKIP_1) | instid1(VALU_DEP_1)
	v_add_f32_e32 v27, v20, v28
	s_and_not1_b32 vcc_lo, exec_lo, s7
	v_dual_add_f32 v0, 0x40051340, v14 :: v_dual_add_f32 v1, 0x40051340, v27
	s_delay_alu instid0(VALU_DEP_1) | instskip(SKIP_3) | instid1(VALU_DEP_1)
	v_max3_f32 v0, v156, v0, v1
	ds_bpermute_b32 v1, v3, v0
	s_waitcnt lgkmcnt(0)
	v_max_f32_e32 v1, v1, v1
	v_max_f32_e32 v0, v0, v1
	ds_bpermute_b32 v1, v18, v0
	s_waitcnt lgkmcnt(0)
	v_max_f32_e32 v1, v1, v1
	s_delay_alu instid0(VALU_DEP_1) | instskip(SKIP_3) | instid1(VALU_DEP_1)
	v_max_f32_e32 v0, v0, v1
	ds_bpermute_b32 v1, v17, v0
	s_waitcnt lgkmcnt(0)
	v_max_f32_e32 v1, v1, v1
	v_max_f32_e32 v0, v0, v1
	ds_bpermute_b32 v1, v5, v0
	s_waitcnt lgkmcnt(0)
	v_max_f32_e32 v1, v1, v1
	s_delay_alu instid0(VALU_DEP_1)
	v_dual_max_f32 v29, v0, v1 :: v_dual_add_nc_u32 v0, v2, v138
	ds_bpermute_b32 v31, v4, v29
	v_ashrrev_i32_e32 v1, 31, v0
	s_cbranch_vccnz .LBB52_62
; %bb.61:                               ;   in Loop: Header=BB52_8 Depth=1
	s_delay_alu instid0(VALU_DEP_1) | instskip(NEXT) | instid1(VALU_DEP_1)
	v_lshlrev_b64 v[64:65], 1, v[0:1]
	v_add_co_u32 v64, vcc_lo, s68, v64
	s_delay_alu instid0(VALU_DEP_2) | instskip(SKIP_3) | instid1(VALU_DEP_1)
	v_add_co_ci_u32_e32 v65, vcc_lo, s69, v65, vcc_lo
	flat_load_u16 v20, v[64:65]
	s_waitcnt vmcnt(0) lgkmcnt(0)
	v_cvt_f32_f16_e32 v20, v20
	v_mul_f32_e32 v24, v58, v20
.LBB52_62:                              ;   in Loop: Header=BB52_8 Depth=1
	v_mov_b32_e32 v20, 0
	v_mov_b32_e32 v28, 0
	s_and_not1_b32 vcc_lo, exec_lo, s7
	s_cbranch_vccnz .LBB52_64
; %bb.63:                               ;   in Loop: Header=BB52_8 Depth=1
	v_lshlrev_b64 v[0:1], 1, v[0:1]
	s_delay_alu instid0(VALU_DEP_1) | instskip(NEXT) | instid1(VALU_DEP_2)
	v_add_co_u32 v0, vcc_lo, s18, v0
	v_add_co_ci_u32_e32 v1, vcc_lo, s19, v1, vcc_lo
	flat_load_u16 v0, v[0:1]
	s_waitcnt vmcnt(0) lgkmcnt(0)
	v_cvt_f32_f16_e32 v0, v0
	s_delay_alu instid0(VALU_DEP_1)
	v_mul_f32_e32 v28, v58, v0
.LBB52_64:                              ;   in Loop: Header=BB52_8 Depth=1
	v_add_f32_e32 v183, v183, v24
	s_delay_alu instid0(VALU_DEP_2) | instskip(SKIP_1) | instid1(VALU_DEP_1)
	v_add_f32_e32 v28, v16, v28
	s_and_not1_b32 vcc_lo, exec_lo, s7
	v_dual_add_f32 v0, 0x40051340, v183 :: v_dual_add_f32 v1, 0x40051340, v28
	s_delay_alu instid0(VALU_DEP_1) | instskip(SKIP_3) | instid1(VALU_DEP_1)
	v_max3_f32 v0, v154, v0, v1
	ds_bpermute_b32 v1, v3, v0
	s_waitcnt lgkmcnt(0)
	v_max_f32_e32 v1, v1, v1
	v_max_f32_e32 v0, v0, v1
	ds_bpermute_b32 v1, v18, v0
	s_waitcnt lgkmcnt(0)
	v_max_f32_e32 v1, v1, v1
	s_delay_alu instid0(VALU_DEP_1) | instskip(SKIP_3) | instid1(VALU_DEP_1)
	v_max_f32_e32 v0, v0, v1
	ds_bpermute_b32 v1, v17, v0
	s_waitcnt lgkmcnt(0)
	v_max_f32_e32 v1, v1, v1
	v_max_f32_e32 v0, v0, v1
	ds_bpermute_b32 v1, v5, v0
	s_waitcnt lgkmcnt(0)
	v_max_f32_e32 v1, v1, v1
	s_delay_alu instid0(VALU_DEP_1)
	v_max_f32_e32 v188, v0, v1
	v_add_nc_u32_e32 v0, v2, v139
	ds_bpermute_b32 v189, v4, v188
	v_ashrrev_i32_e32 v1, 31, v0
	s_cbranch_vccnz .LBB52_66
; %bb.65:                               ;   in Loop: Header=BB52_8 Depth=1
	s_delay_alu instid0(VALU_DEP_1) | instskip(NEXT) | instid1(VALU_DEP_1)
	v_lshlrev_b64 v[64:65], 1, v[0:1]
	v_add_co_u32 v64, vcc_lo, s68, v64
	s_delay_alu instid0(VALU_DEP_2) | instskip(SKIP_3) | instid1(VALU_DEP_1)
	v_add_co_ci_u32_e32 v65, vcc_lo, s69, v65, vcc_lo
	flat_load_u16 v16, v[64:65]
	s_waitcnt vmcnt(0) lgkmcnt(0)
	v_cvt_f32_f16_e32 v16, v16
	v_mul_f32_e32 v20, v58, v16
.LBB52_66:                              ;   in Loop: Header=BB52_8 Depth=1
	v_mov_b32_e32 v16, 0
	v_mov_b32_e32 v24, 0
	s_and_not1_b32 vcc_lo, exec_lo, s7
	s_cbranch_vccnz .LBB52_68
; %bb.67:                               ;   in Loop: Header=BB52_8 Depth=1
	v_lshlrev_b64 v[0:1], 1, v[0:1]
	s_delay_alu instid0(VALU_DEP_1) | instskip(NEXT) | instid1(VALU_DEP_2)
	v_add_co_u32 v0, vcc_lo, s18, v0
	v_add_co_ci_u32_e32 v1, vcc_lo, s19, v1, vcc_lo
	flat_load_u16 v0, v[0:1]
	s_waitcnt vmcnt(0) lgkmcnt(0)
	v_cvt_f32_f16_e32 v0, v0
	s_delay_alu instid0(VALU_DEP_1)
	v_mul_f32_e32 v24, v58, v0
.LBB52_68:                              ;   in Loop: Header=BB52_8 Depth=1
	v_add_f32_e32 v30, v182, v20
	s_delay_alu instid0(VALU_DEP_2) | instskip(SKIP_1) | instid1(VALU_DEP_1)
	v_add_f32_e32 v182, v12, v24
	s_and_not1_b32 vcc_lo, exec_lo, s7
	v_add_f32_e32 v1, 0x40051340, v182
	s_delay_alu instid0(VALU_DEP_3) | instskip(NEXT) | instid1(VALU_DEP_1)
	v_add_f32_e32 v0, 0x40051340, v30
	v_max3_f32 v0, v152, v0, v1
	ds_bpermute_b32 v1, v3, v0
	s_waitcnt lgkmcnt(0)
	v_max_f32_e32 v1, v1, v1
	s_delay_alu instid0(VALU_DEP_1) | instskip(SKIP_3) | instid1(VALU_DEP_1)
	v_max_f32_e32 v0, v0, v1
	ds_bpermute_b32 v1, v18, v0
	s_waitcnt lgkmcnt(0)
	v_max_f32_e32 v1, v1, v1
	v_max_f32_e32 v0, v0, v1
	ds_bpermute_b32 v1, v17, v0
	s_waitcnt lgkmcnt(0)
	v_max_f32_e32 v1, v1, v1
	s_delay_alu instid0(VALU_DEP_1) | instskip(SKIP_3) | instid1(VALU_DEP_1)
	v_max_f32_e32 v0, v0, v1
	ds_bpermute_b32 v1, v5, v0
	s_waitcnt lgkmcnt(0)
	v_max_f32_e32 v1, v1, v1
	v_max_f32_e32 v184, v0, v1
	v_add_nc_u32_e32 v0, v2, v140
	ds_bpermute_b32 v187, v4, v184
	v_ashrrev_i32_e32 v1, 31, v0
	s_cbranch_vccnz .LBB52_70
; %bb.69:                               ;   in Loop: Header=BB52_8 Depth=1
	s_delay_alu instid0(VALU_DEP_1) | instskip(NEXT) | instid1(VALU_DEP_1)
	v_lshlrev_b64 v[64:65], 1, v[0:1]
	v_add_co_u32 v64, vcc_lo, s68, v64
	s_delay_alu instid0(VALU_DEP_2) | instskip(SKIP_3) | instid1(VALU_DEP_1)
	v_add_co_ci_u32_e32 v65, vcc_lo, s69, v65, vcc_lo
	flat_load_u16 v2, v[64:65]
	s_waitcnt vmcnt(0) lgkmcnt(0)
	v_cvt_f32_f16_e32 v2, v2
	v_mul_f32_e32 v16, v58, v2
.LBB52_70:                              ;   in Loop: Header=BB52_8 Depth=1
	s_and_not1_b32 vcc_lo, exec_lo, s7
	s_cbranch_vccnz .LBB52_72
; %bb.71:                               ;   in Loop: Header=BB52_8 Depth=1
	s_delay_alu instid0(VALU_DEP_1) | instskip(NEXT) | instid1(VALU_DEP_1)
	v_lshlrev_b64 v[0:1], 1, v[0:1]
	v_add_co_u32 v0, vcc_lo, s18, v0
	s_delay_alu instid0(VALU_DEP_2) | instskip(SKIP_3) | instid1(VALU_DEP_1)
	v_add_co_ci_u32_e32 v1, vcc_lo, s19, v1, vcc_lo
	flat_load_u16 v0, v[0:1]
	s_waitcnt vmcnt(0) lgkmcnt(0)
	v_cvt_f32_f16_e32 v0, v0
	v_mul_f32_e32 v0, v58, v0
	s_branch .LBB52_73
.LBB52_72:                              ;   in Loop: Header=BB52_8 Depth=1
	v_mov_b32_e32 v0, 0
.LBB52_73:                              ;   in Loop: Header=BB52_8 Depth=1
	s_delay_alu instid0(VALU_DEP_2) | instskip(NEXT) | instid1(VALU_DEP_2)
	v_add_f32_e32 v190, v181, v16
	v_add_f32_e32 v181, v8, v0
	v_max_f32_e32 v8, v220, v220
	v_max_f32_e32 v20, v223, v223
	;; [unrolled: 1-line block ×4, first 2 shown]
	v_dual_add_f32 v1, 0x40051340, v181 :: v_dual_add_f32 v0, 0x40051340, v190
	v_max_f32_e32 v66, v217, v217
	v_max_f32_e32 v12, v216, v216
	s_waitcnt lgkmcnt(0)
	s_barrier
	v_max3_f32 v16, v151, v0, v1
	buffer_gl0_inv
	v_max_f32_e32 v10, v10, v10
	s_mul_hi_i32 s21, s12, s13
	s_mul_i32 s20, s12, s13
	ds_bpermute_b32 v65, v3, v16
	v_dual_max_f32 v64, v218, v218 :: v_dual_max_f32 v3, v24, v20
	v_dual_max_f32 v0, v215, v215 :: v_dual_max_f32 v1, v8, v2
	s_lshl_b64 s[20:21], s[20:21], 2
	v_max_f32_e32 v23, v23, v23
	s_add_u32 s20, s16, s20
	s_addc_u32 s21, s17, s21
	v_max_f32_e32 v25, v25, v25
	v_max_f32_e32 v29, v29, v29
	s_delay_alu instid0(VALU_DEP_2) | instskip(SKIP_1) | instid1(VALU_DEP_1)
	v_dual_max_f32 v31, v31, v31 :: v_dual_max_f32 v10, v10, v25
	s_waitcnt lgkmcnt(0)
	v_dual_sub_f32 v160, v160, v10 :: v_dual_max_f32 v65, v65, v65
	v_max_f32_e32 v2, v66, v64
	v_sub_f32_e32 v64, v212, v1
	s_delay_alu instid0(VALU_DEP_1) | instskip(NEXT) | instid1(VALU_DEP_1)
	v_dual_sub_f32 v20, v211, v1 :: v_dual_mul_f32 v73, 0x3fb8aa3b, v64
	v_fma_f32 v211, 0x3fb8aa3b, v64, -v73
	v_rndne_f32_e32 v212, v73
	s_delay_alu instid0(VALU_DEP_1) | instskip(NEXT) | instid1(VALU_DEP_3)
	v_sub_f32_e32 v73, v73, v212
	v_fmac_f32_e32 v211, 0x32a5705f, v64
	s_delay_alu instid0(VALU_DEP_1) | instskip(NEXT) | instid1(VALU_DEP_1)
	v_dual_mul_f32 v70, 0x3fb8aa3b, v20 :: v_dual_add_f32 v73, v73, v211
	v_fma_f32 v77, 0x3fb8aa3b, v20, -v70
	v_sub_f32_e32 v24, v180, v1
	s_delay_alu instid0(VALU_DEP_3) | instskip(NEXT) | instid1(VALU_DEP_2)
	v_exp_f32_e32 v73, v73
	v_dual_fmac_f32 v77, 0x32a5705f, v20 :: v_dual_sub_f32 v66, v214, v2
	s_delay_alu instid0(VALU_DEP_1) | instskip(NEXT) | instid1(VALU_DEP_1)
	v_dual_max_f32 v0, v0, v12 :: v_dual_mul_f32 v75, 0x3fb8aa3b, v66
	v_sub_f32_e32 v19, v19, v0
	s_delay_alu instid0(VALU_DEP_2) | instskip(NEXT) | instid1(VALU_DEP_2)
	v_rndne_f32_e32 v216, v75
	v_mul_f32_e32 v71, 0x3fb8aa3b, v19
	s_delay_alu instid0(VALU_DEP_1) | instskip(SKIP_2) | instid1(VALU_DEP_3)
	v_fma_f32 v79, 0x3fb8aa3b, v19, -v71
	v_sub_f32_e32 v8, v179, v0
	v_rndne_f32_e32 v179, v71
	v_dual_sub_f32 v12, v206, v0 :: v_dual_fmac_f32 v79, 0x32a5705f, v19
	s_delay_alu instid0(VALU_DEP_2) | instskip(NEXT) | instid1(VALU_DEP_2)
	v_dual_mul_f32 v72, 0x3fb8aa3b, v8 :: v_dual_sub_f32 v71, v71, v179
	v_mul_f32_e32 v69, 0x3fb8aa3b, v12
	v_cmp_ngt_f32_e32 vcc_lo, 0xc2ce8ed0, v12
	v_cvt_i32_f32_e32 v179, v179
	s_delay_alu instid0(VALU_DEP_4) | instskip(SKIP_4) | instid1(VALU_DEP_4)
	v_fma_f32 v180, 0x3fb8aa3b, v8, -v72
	v_add_f32_e32 v71, v71, v79
	v_fma_f32 v76, 0x3fb8aa3b, v12, -v69
	v_rndne_f32_e32 v78, v70
	v_rndne_f32_e32 v206, v72
	v_exp_f32_e32 v71, v71
	s_delay_alu instid0(VALU_DEP_3) | instskip(SKIP_4) | instid1(VALU_DEP_3)
	v_fmac_f32_e32 v76, 0x32a5705f, v12
	v_max_f32_e32 v16, v16, v65
	v_rndne_f32_e32 v65, v69
	v_sub_f32_e32 v72, v72, v206
	v_cvt_i32_f32_e32 v206, v206
	v_sub_f32_e32 v69, v69, v65
	v_cvt_i32_f32_e32 v65, v65
	v_sub_f32_e32 v67, v213, v2
	s_delay_alu instid0(VALU_DEP_3)
	v_add_f32_e32 v69, v69, v76
	ds_bpermute_b32 v18, v18, v16
	v_exp_f32_e32 v69, v69
	s_waitcnt_depctr 0xfff
	v_ldexp_f32 v65, v69, v65
	s_waitcnt lgkmcnt(0)
	s_delay_alu instid0(VALU_DEP_1) | instskip(SKIP_1) | instid1(VALU_DEP_2)
	v_dual_cndmask_b32 v65, 0, v65 :: v_dual_max_f32 v18, v18, v18
	v_cmp_ngt_f32_e32 vcc_lo, 0xc2ce8ed0, v20
	v_max_f32_e32 v16, v16, v18
	ds_bpermute_b32 v17, v17, v16
	s_waitcnt lgkmcnt(0)
	v_dual_mul_f32 v74, 0x3fb8aa3b, v24 :: v_dual_max_f32 v17, v17, v17
	v_sub_f32_e32 v70, v70, v78
	v_cvt_i32_f32_e32 v78, v78
	s_delay_alu instid0(VALU_DEP_3) | instskip(SKIP_1) | instid1(VALU_DEP_2)
	v_fma_f32 v213, 0x3fb8aa3b, v24, -v74
	v_rndne_f32_e32 v214, v74
	v_dual_add_f32 v70, v70, v77 :: v_dual_fmac_f32 v213, 0x32a5705f, v24
	v_fma_f32 v215, 0x3fb8aa3b, v66, -v75
	s_delay_alu instid0(VALU_DEP_3) | instskip(NEXT) | instid1(VALU_DEP_3)
	v_sub_f32_e32 v18, v74, v214
	v_exp_f32_e32 v70, v70
	v_sub_f32_e32 v74, v75, v216
	v_cvt_i32_f32_e32 v75, v212
	v_dual_sub_f32 v68, v219, v3 :: v_dual_fmac_f32 v215, 0x32a5705f, v66
	v_add_f32_e32 v18, v18, v213
	v_cvt_i32_f32_e32 v76, v214
	s_waitcnt_depctr 0xfff
	v_ldexp_f32 v69, v70, v78
	v_ldexp_f32 v70, v71, v179
	v_fmac_f32_e32 v180, 0x32a5705f, v8
	v_exp_f32_e32 v18, v18
	s_delay_alu instid0(VALU_DEP_1) | instskip(NEXT) | instid1(VALU_DEP_1)
	v_add_f32_e32 v72, v72, v180
	v_exp_f32_e32 v72, v72
	s_waitcnt_depctr 0xfff
	v_ldexp_f32 v18, v18, v76
	v_ldexp_f32 v71, v72, v206
	;; [unrolled: 1-line block ×3, first 2 shown]
	v_max_f32_e32 v73, v16, v17
	v_cndmask_b32_e32 v16, 0, v69, vcc_lo
	v_cmp_ngt_f32_e32 vcc_lo, 0xc2ce8ed0, v19
	ds_bpermute_b32 v5, v5, v73
	v_cndmask_b32_e32 v17, 0, v70, vcc_lo
	v_cmp_ngt_f32_e32 vcc_lo, 0xc2ce8ed0, v8
	v_cndmask_b32_e32 v69, 0, v71, vcc_lo
	v_cmp_ngt_f32_e32 vcc_lo, 0xc2ce8ed0, v64
	;; [unrolled: 2-line block ×3, first 2 shown]
	v_cndmask_b32_e32 v18, 0, v18, vcc_lo
	v_cmp_nlt_f32_e32 vcc_lo, 0x42b17218, v12
	s_waitcnt lgkmcnt(0)
	v_max_f32_e32 v5, v5, v5
	v_cndmask_b32_e32 v12, 0x7f800000, v65, vcc_lo
	v_cmp_nlt_f32_e32 vcc_lo, 0x42b17218, v20
	s_delay_alu instid0(VALU_DEP_3) | instskip(SKIP_1) | instid1(VALU_DEP_2)
	v_dual_max_f32 v179, v73, v5 :: v_dual_cndmask_b32 v20, 0x7f800000, v16
	v_cmp_nlt_f32_e32 vcc_lo, 0x42b17218, v19
	v_cvt_f16_f32_e64 v180, v20
	v_cndmask_b32_e32 v17, 0x7f800000, v17, vcc_lo
	v_cmp_nlt_f32_e32 vcc_lo, 0x42b17218, v8
	s_delay_alu instid0(VALU_DEP_2) | instskip(SKIP_3) | instid1(VALU_DEP_3)
	v_add_f32_e32 v16, v17, v12
	v_cndmask_b32_e32 v8, 0x7f800000, v69, vcc_lo
	v_cmp_nlt_f32_e32 vcc_lo, 0x42b17218, v64
	v_cvt_f16_f32_e64 v206, v17
	v_cvt_f16_f32_e32 v64, v8
	v_cndmask_b32_e32 v19, 0x7f800000, v70, vcc_lo
	v_cmp_nlt_f32_e32 vcc_lo, 0x42b17218, v24
	v_cvt_i32_f32_e32 v70, v216
	s_delay_alu instid0(VALU_DEP_4) | instskip(NEXT) | instid1(VALU_DEP_4)
	v_pk_mul_f16 v127, v64, v127 op_sel_hi:[0,1]
	v_dual_add_f32 v17, v20, v19 :: v_dual_cndmask_b32 v18, 0x7f800000, v18
	v_cmp_ngt_f32_e32 vcc_lo, 0xc2ce8ed0, v66
	v_add_f32_e32 v74, v74, v215
	v_cvt_f16_f32_e32 v24, v19
	v_sub_f32_e32 v19, v176, v2
	v_fmac_f32_e32 v17, v178, v18
	v_cvt_f16_f32_e32 v5, v18
	v_exp_f32_e32 v18, v74
	s_delay_alu instid0(VALU_DEP_1) | instskip(SKIP_3) | instid1(VALU_DEP_2)
	v_pk_mul_f16 v126, v5, v126 op_sel_hi:[0,1]
	s_waitcnt_depctr 0xfff
	v_ldexp_f32 v5, v18, v70
	v_mul_f32_e32 v18, 0x3fb8aa3b, v19
	v_dual_sub_f32 v70, v204, v3 :: v_dual_cndmask_b32 v5, 0, v5
	v_cmp_nlt_f32_e32 vcc_lo, 0x42b17218, v66
	s_delay_alu instid0(VALU_DEP_2) | instskip(SKIP_4) | instid1(VALU_DEP_3)
	v_dual_cndmask_b32 v5, 0x7f800000, v5 :: v_dual_fmac_f32 v16, v177, v8
	ds_bpermute_b32 v177, v4, v179
	v_mul_f32_e32 v4, 0x3fb8aa3b, v67
	v_mul_f32_e32 v8, 0x3fb8aa3b, v68
	v_cmp_ngt_f32_e32 vcc_lo, 0xc2ce8ed0, v67
	v_fma_f32 v20, 0x3fb8aa3b, v67, -v4
	v_rndne_f32_e32 v64, v4
	s_delay_alu instid0(VALU_DEP_4) | instskip(SKIP_1) | instid1(VALU_DEP_4)
	v_fma_f32 v65, 0x3fb8aa3b, v68, -v8
	v_rndne_f32_e32 v69, v8
	v_fmac_f32_e32 v20, 0x32a5705f, v67
	s_delay_alu instid0(VALU_DEP_4) | instskip(SKIP_2) | instid1(VALU_DEP_3)
	v_sub_f32_e32 v4, v4, v64
	v_cvt_i32_f32_e32 v64, v64
	v_fmac_f32_e32 v65, 0x32a5705f, v68
	v_add_f32_e32 v4, v4, v20
	v_fma_f32 v20, 0x3fb8aa3b, v19, -v18
	s_delay_alu instid0(VALU_DEP_2) | instskip(NEXT) | instid1(VALU_DEP_1)
	v_exp_f32_e32 v4, v4
	v_fmac_f32_e32 v20, 0x32a5705f, v19
	s_waitcnt_depctr 0xfff
	v_ldexp_f32 v4, v4, v64
	s_delay_alu instid0(VALU_DEP_1) | instskip(SKIP_3) | instid1(VALU_DEP_2)
	v_cndmask_b32_e32 v4, 0, v4, vcc_lo
	v_cmp_nlt_f32_e32 vcc_lo, 0x42b17218, v67
	v_sub_f32_e32 v8, v8, v69
	v_cvt_i32_f32_e32 v69, v69
	v_dual_cndmask_b32 v67, 0x7f800000, v4 :: v_dual_add_f32 v8, v8, v65
	v_rndne_f32_e32 v65, v18
	v_cmp_ngt_f32_e32 vcc_lo, 0xc2ce8ed0, v68
	s_delay_alu instid0(VALU_DEP_3) | instskip(NEXT) | instid1(VALU_DEP_4)
	v_cvt_f16_f32_e32 v73, v67
	v_exp_f32_e32 v8, v8
	s_delay_alu instid0(VALU_DEP_3) | instskip(SKIP_1) | instid1(VALU_DEP_2)
	v_sub_f32_e32 v18, v18, v65
	v_cvt_i32_f32_e32 v4, v65
	v_dual_sub_f32 v65, v175, v3 :: v_dual_add_f32 v18, v18, v20
	v_mul_f32_e32 v20, 0x3fb8aa3b, v70
	s_waitcnt_depctr 0xfff
	v_ldexp_f32 v8, v8, v69
	v_exp_f32_e32 v18, v18
	v_fma_f32 v64, 0x3fb8aa3b, v70, -v20
	v_rndne_f32_e32 v66, v20
	s_delay_alu instid0(VALU_DEP_3) | instskip(SKIP_1) | instid1(VALU_DEP_4)
	v_cndmask_b32_e32 v8, 0, v8, vcc_lo
	v_cmp_ngt_f32_e32 vcc_lo, 0xc2ce8ed0, v19
	v_fmac_f32_e32 v64, 0x32a5705f, v70
	s_delay_alu instid0(VALU_DEP_4) | instskip(NEXT) | instid1(TRANS32_DEP_1)
	v_sub_f32_e32 v20, v20, v66
	v_ldexp_f32 v4, v18, v4
	v_add_f32_e32 v18, v67, v5
	s_delay_alu instid0(VALU_DEP_3) | instskip(SKIP_1) | instid1(VALU_DEP_4)
	v_add_f32_e32 v20, v20, v64
	v_mul_f32_e32 v64, 0x3fb8aa3b, v65
	v_cndmask_b32_e32 v4, 0, v4, vcc_lo
	v_cmp_nlt_f32_e32 vcc_lo, 0x42b17218, v19
	s_delay_alu instid0(VALU_DEP_4) | instskip(NEXT) | instid1(VALU_DEP_3)
	v_exp_f32_e32 v20, v20
	v_fma_f32 v69, 0x3fb8aa3b, v65, -v64
	v_rndne_f32_e32 v71, v64
	v_cvt_i32_f32_e32 v19, v66
	v_cndmask_b32_e32 v4, 0x7f800000, v4, vcc_lo
	v_cmp_nlt_f32_e32 vcc_lo, 0x42b17218, v68
	s_delay_alu instid0(VALU_DEP_4) | instskip(SKIP_1) | instid1(VALU_DEP_4)
	v_dual_fmac_f32 v69, 0x32a5705f, v65 :: v_dual_sub_f32 v64, v64, v71
	v_cvt_f16_f32_e32 v68, v5
	v_fmac_f32_e32 v18, v174, v4
	v_cndmask_b32_e32 v8, 0x7f800000, v8, vcc_lo
	v_ldexp_f32 v5, v20, v19
	v_dual_add_f32 v19, v64, v69 :: v_dual_max_f32 v20, v207, v207
	v_max_f32_e32 v64, v205, v205
	v_cmp_ngt_f32_e32 vcc_lo, 0xc2ce8ed0, v70
	v_cvt_f16_f32_e32 v66, v4
	s_delay_alu instid0(VALU_DEP_4) | instskip(NEXT) | instid1(VALU_DEP_3)
	v_exp_f32_e32 v19, v19
	v_dual_max_f32 v69, v209, v209 :: v_dual_max_f32 v4, v64, v20
	v_cndmask_b32_e32 v5, 0, v5, vcc_lo
	v_cmp_nlt_f32_e32 vcc_lo, 0x42b17218, v70
	v_pk_mul_f16 v122, v66, v122 op_sel_hi:[0,1]
	v_max_f32_e32 v66, v210, v210
	v_sub_f32_e32 v64, v201, v4
	v_cvt_f16_f32_e32 v70, v8
	v_cndmask_b32_e32 v20, 0x7f800000, v5, vcc_lo
	v_cvt_i32_f32_e32 v5, v71
	v_cmp_ngt_f32_e32 vcc_lo, 0xc2ce8ed0, v65
	v_mul_f32_e32 v72, 0x3fb8aa3b, v64
	v_sub_f32_e32 v21, v21, v4
	v_cvt_f16_f32_e32 v74, v20
	v_ldexp_f32 v71, v19, v5
	v_max_f32_e32 v5, v69, v66
	v_add_f32_e32 v19, v8, v20
	v_fma_f32 v66, 0x3fb8aa3b, v64, -v72
	v_rndne_f32_e32 v69, v72
	s_delay_alu instid0(VALU_DEP_4) | instskip(SKIP_1) | instid1(VALU_DEP_3)
	v_dual_cndmask_b32 v8, 0, v71 :: v_dual_sub_f32 v71, v208, v5
	v_cmp_nlt_f32_e32 vcc_lo, 0x42b17218, v65
	v_dual_fmac_f32 v66, 0x32a5705f, v64 :: v_dual_sub_f32 v65, v72, v69
	v_cvt_i32_f32_e32 v69, v69
	s_delay_alu instid0(VALU_DEP_4)
	v_mul_f32_e32 v72, 0x3fb8aa3b, v71
	v_cndmask_b32_e32 v8, 0x7f800000, v8, vcc_lo
	v_cmp_ngt_f32_e32 vcc_lo, 0xc2ce8ed0, v64
	v_add_f32_e32 v20, v65, v66
	v_cvt_f16_f32_e32 v12, v12
	v_fma_f32 v65, 0x3fb8aa3b, v71, -v72
	v_rndne_f32_e32 v66, v72
	v_fmac_f32_e32 v19, v173, v8
	v_cvt_f16_f32_e32 v8, v8
	v_exp_f32_e32 v20, v20
	v_fmac_f32_e32 v65, 0x32a5705f, v71
	v_dual_sub_f32 v67, v72, v66 :: v_dual_mul_f32 v72, 0x3fb8aa3b, v21
	s_delay_alu instid0(VALU_DEP_3) | instskip(SKIP_2) | instid1(VALU_DEP_4)
	v_pk_mul_f16 v118, v8, v118 op_sel_hi:[0,1]
	v_sub_f32_e32 v8, v172, v4
	v_cvt_i32_f32_e32 v66, v66
	v_add_f32_e32 v65, v67, v65
	v_fma_f32 v67, 0x3fb8aa3b, v21, -v72
	v_rndne_f32_e32 v75, v72
	v_mul_f32_e32 v76, 0x3fb8aa3b, v8
	v_ldexp_f32 v20, v20, v69
	v_exp_f32_e32 v65, v65
	v_fmac_f32_e32 v67, 0x32a5705f, v21
	v_sub_f32_e32 v69, v72, v75
	v_fma_f32 v72, 0x3fb8aa3b, v8, -v76
	v_rndne_f32_e32 v77, v76
	v_cndmask_b32_e32 v20, 0, v20, vcc_lo
	v_cmp_nlt_f32_e32 vcc_lo, 0x42b17218, v64
	s_delay_alu instid0(VALU_DEP_4) | instskip(NEXT) | instid1(VALU_DEP_3)
	v_dual_add_f32 v67, v69, v67 :: v_dual_fmac_f32 v72, 0x32a5705f, v8
	v_dual_sub_f32 v69, v76, v77 :: v_dual_cndmask_b32 v64, 0x7f800000, v20
	s_delay_alu instid0(TRANS32_DEP_1) | instskip(NEXT) | instid1(VALU_DEP_3)
	v_ldexp_f32 v20, v65, v66
	v_exp_f32_e32 v65, v67
	v_cmp_ngt_f32_e32 vcc_lo, 0xc2ce8ed0, v71
	s_delay_alu instid0(VALU_DEP_3)
	v_dual_add_f32 v66, v69, v72 :: v_dual_sub_f32 v67, v6, v5
	v_cvt_f16_f32_e32 v76, v64
	v_cndmask_b32_e32 v6, 0, v20, vcc_lo
	v_cvt_i32_f32_e32 v20, v75
	v_cmp_nlt_f32_e32 vcc_lo, 0x42b17218, v71
	v_exp_f32_e32 v66, v66
	v_mul_f32_e32 v69, 0x3fb8aa3b, v67
	v_cndmask_b32_e32 v71, 0x7f800000, v6, vcc_lo
	v_ldexp_f32 v6, v65, v20
	v_cmp_ngt_f32_e32 vcc_lo, 0xc2ce8ed0, v21
	v_cvt_i32_f32_e32 v20, v77
	v_sub_f32_e32 v65, v171, v5
	v_fma_f32 v72, 0x3fb8aa3b, v67, -v69
	v_rndne_f32_e32 v75, v69
	v_cndmask_b32_e32 v6, 0, v6, vcc_lo
	v_cmp_nlt_f32_e32 vcc_lo, 0x42b17218, v21
	v_ldexp_f32 v20, v66, v20
	v_fmac_f32_e32 v72, 0x32a5705f, v67
	v_dual_sub_f32 v66, v69, v75 :: v_dual_mul_f32 v69, 0x3fb8aa3b, v65
	v_cndmask_b32_e32 v21, 0x7f800000, v6, vcc_lo
	v_cmp_ngt_f32_e32 vcc_lo, 0xc2ce8ed0, v8
	v_cvt_i32_f32_e32 v75, v75
	v_dual_max_f32 v77, v198, v198 :: v_dual_cndmask_b32 v6, 0, v20
	v_add_f32_e32 v20, v66, v72
	v_fma_f32 v66, 0x3fb8aa3b, v65, -v69
	v_rndne_f32_e32 v72, v69
	v_cmp_nlt_f32_e32 vcc_lo, 0x42b17218, v8
	s_delay_alu instid0(VALU_DEP_4) | instskip(NEXT) | instid1(VALU_DEP_2)
	v_exp_f32_e32 v8, v20
	v_dual_fmac_f32 v66, 0x32a5705f, v65 :: v_dual_sub_f32 v69, v69, v72
	v_cndmask_b32_e32 v6, 0x7f800000, v6, vcc_lo
	v_add_f32_e32 v20, v21, v64
	v_cmp_ngt_f32_e32 vcc_lo, 0xc2ce8ed0, v67
	s_delay_alu instid0(VALU_DEP_4) | instskip(NEXT) | instid1(VALU_DEP_4)
	v_add_f32_e32 v66, v69, v66
	v_cvt_f16_f32_e32 v64, v6
	s_delay_alu instid0(VALU_DEP_4) | instskip(NEXT) | instid1(TRANS32_DEP_1)
	v_dual_max_f32 v69, v199, v199 :: v_dual_fmac_f32 v20, v170, v6
	v_ldexp_f32 v8, v8, v75
	v_cvt_f16_f32_e32 v75, v21
	s_delay_alu instid0(VALU_DEP_4)
	v_pk_mul_f16 v114, v64, v114 op_sel_hi:[0,1]
	v_exp_f32_e32 v64, v66
	v_max_f32_e32 v6, v77, v69
	v_cndmask_b32_e32 v8, 0, v8, vcc_lo
	v_cvt_i32_f32_e32 v69, v72
	v_cmp_nlt_f32_e32 vcc_lo, 0x42b17218, v67
	v_max_f32_e32 v67, v202, v202
	v_sub_f32_e32 v72, v7, v6
	v_cvt_f16_f32_e32 v66, v71
	v_sub_f32_e32 v168, v168, v6
	v_cndmask_b32_e32 v8, 0x7f800000, v8, vcc_lo
	v_ldexp_f32 v7, v64, v69
	v_dual_mul_f32 v21, 0x3fb8aa3b, v72 :: v_dual_max_f32 v64, v203, v203
	v_cmp_ngt_f32_e32 vcc_lo, 0xc2ce8ed0, v65
	v_mul_f32_e32 v171, 0x3fb8aa3b, v168
	v_pack_b32_f16 v66, v75, v66
	s_delay_alu instid0(VALU_DEP_4)
	v_fma_f32 v77, 0x3fb8aa3b, v72, -v21
	v_rndne_f32_e32 v78, v21
	v_cndmask_b32_e32 v69, 0, v7, vcc_lo
	v_max_f32_e32 v7, v67, v64
	v_cmp_nlt_f32_e32 vcc_lo, 0x42b17218, v65
	v_fmac_f32_e32 v77, 0x32a5705f, v72
	v_sub_f32_e32 v65, v21, v78
	v_add_f32_e32 v21, v71, v8
	v_dual_sub_f32 v67, v200, v7 :: v_dual_cndmask_b32 v64, 0x7f800000, v69
	v_cvt_f16_f32_e32 v69, v8
	s_delay_alu instid0(VALU_DEP_4) | instskip(SKIP_1) | instid1(VALU_DEP_4)
	v_add_f32_e32 v65, v65, v77
	v_cvt_i32_f32_e32 v78, v78
	v_mul_f32_e32 v71, 0x3fb8aa3b, v67
	v_cvt_f16_f32_e32 v8, v64
	v_fmac_f32_e32 v21, v169, v64
	v_sub_f32_e32 v64, v197, v6
	v_cmp_ngt_f32_e32 vcc_lo, 0xc2ce8ed0, v72
	v_rndne_f32_e32 v77, v71
	v_pk_mul_f16 v111, v8, v111 op_sel_hi:[0,1]
	v_exp_f32_e32 v8, v65
	v_fma_f32 v65, 0x3fb8aa3b, v67, -v71
	v_mul_f32_e32 v79, 0x3fb8aa3b, v64
	v_sub_f32_e32 v71, v71, v77
	v_cvt_i32_f32_e32 v77, v77
	s_delay_alu instid0(VALU_DEP_4) | instskip(NEXT) | instid1(VALU_DEP_4)
	v_fmac_f32_e32 v65, 0x32a5705f, v67
	v_fma_f32 v169, 0x3fb8aa3b, v64, -v79
	v_rndne_f32_e32 v170, v79
	s_delay_alu instid0(TRANS32_DEP_1) | instskip(NEXT) | instid1(VALU_DEP_4)
	v_ldexp_f32 v8, v8, v78
	v_add_f32_e32 v65, v71, v65
	s_delay_alu instid0(VALU_DEP_4) | instskip(NEXT) | instid1(VALU_DEP_4)
	v_fmac_f32_e32 v169, 0x32a5705f, v64
	v_sub_f32_e32 v71, v79, v170
	v_fma_f32 v78, 0x3fb8aa3b, v168, -v171
	v_rndne_f32_e32 v79, v171
	v_exp_f32_e32 v65, v65
	s_delay_alu instid0(VALU_DEP_3) | instskip(NEXT) | instid1(VALU_DEP_2)
	v_dual_cndmask_b32 v8, 0, v8 :: v_dual_add_f32 v71, v71, v169
	v_dual_fmac_f32 v78, 0x32a5705f, v168 :: v_dual_sub_f32 v169, v171, v79
	v_cmp_nlt_f32_e32 vcc_lo, 0x42b17218, v72
	s_delay_alu instid0(VALU_DEP_3) | instskip(NEXT) | instid1(VALU_DEP_2)
	v_exp_f32_e32 v71, v71
	v_add_f32_e32 v72, v169, v78
	v_sub_f32_e32 v78, v22, v7
	v_cndmask_b32_e32 v8, 0x7f800000, v8, vcc_lo
	s_delay_alu instid0(TRANS32_DEP_2)
	v_ldexp_f32 v22, v65, v77
	v_cvt_i32_f32_e32 v65, v170
	v_sub_f32_e32 v77, v167, v7
	v_exp_f32_e32 v72, v72
	v_mul_f32_e32 v167, 0x3fb8aa3b, v78
	v_cmp_ngt_f32_e32 vcc_lo, 0xc2ce8ed0, v67
	v_ldexp_f32 v65, v71, v65
	v_mul_f32_e32 v169, 0x3fb8aa3b, v77
	v_cvt_i32_f32_e32 v71, v79
	v_fma_f32 v79, 0x3fb8aa3b, v78, -v167
	v_cndmask_b32_e32 v22, 0, v22, vcc_lo
	v_rndne_f32_e32 v170, v167
	v_cmp_ngt_f32_e32 vcc_lo, 0xc2ce8ed0, v64
	v_fma_f32 v171, 0x3fb8aa3b, v77, -v169
	v_rndne_f32_e32 v172, v169
	v_ldexp_f32 v71, v72, v71
	v_fmac_f32_e32 v79, 0x32a5705f, v78
	v_dual_sub_f32 v72, v167, v170 :: v_dual_cndmask_b32 v65, 0, v65
	v_cmp_ngt_f32_e32 vcc_lo, 0xc2ce8ed0, v168
	v_fmac_f32_e32 v171, 0x32a5705f, v77
	s_delay_alu instid0(VALU_DEP_3) | instskip(SKIP_3) | instid1(VALU_DEP_4)
	v_dual_sub_f32 v167, v169, v172 :: v_dual_add_f32 v72, v72, v79
	v_cvt_f16_f32_e64 v169, v8
	v_cndmask_b32_e32 v71, 0, v71, vcc_lo
	v_cmp_nlt_f32_e32 vcc_lo, 0x42b17218, v64
	v_add_f32_e32 v79, v167, v171
	v_cvt_i32_f32_e32 v167, v172
	v_cndmask_b32_e32 v64, 0x7f800000, v65, vcc_lo
	v_exp_f32_e32 v65, v72
	v_cmp_nlt_f32_e32 vcc_lo, 0x42b17218, v168
	v_exp_f32_e32 v72, v79
	v_cvt_i32_f32_e32 v79, v170
	v_cndmask_b32_e32 v71, 0x7f800000, v71, vcc_lo
	v_cmp_nlt_f32_e32 vcc_lo, 0x42b17218, v67
	s_delay_alu instid0(VALU_DEP_2) | instskip(SKIP_1) | instid1(TRANS32_DEP_2)
	v_cvt_f16_f32_e64 v168, v71
	v_dual_cndmask_b32 v67, 0x7f800000, v22 :: v_dual_add_f32 v22, v64, v8
	v_ldexp_f32 v8, v65, v79
	v_cmp_ngt_f32_e32 vcc_lo, 0xc2ce8ed0, v78
	s_delay_alu instid0(TRANS32_DEP_1)
	v_ldexp_f32 v65, v72, v167
	v_cvt_f16_f32_e32 v64, v64
	v_fmac_f32_e32 v22, v166, v71
	v_dual_max_f32 v71, v194, v194 :: v_dual_cndmask_b32 v8, 0, v8
	v_cmp_ngt_f32_e32 vcc_lo, 0xc2ce8ed0, v77
	v_pk_mul_f16 v110, v168, v110 op_sel_hi:[0,1]
	v_cndmask_b32_e32 v65, 0, v65, vcc_lo
	v_cmp_nlt_f32_e32 vcc_lo, 0x42b17218, v78
	v_max_f32_e32 v78, v192, v192
	v_cndmask_b32_e32 v72, 0x7f800000, v8, vcc_lo
	v_max_f32_e32 v8, v23, v71
	v_cmp_nlt_f32_e32 vcc_lo, 0x42b17218, v77
	v_cvt_f16_f32_e32 v71, v67
	s_delay_alu instid0(VALU_DEP_4) | instskip(NEXT) | instid1(VALU_DEP_4)
	v_add_f32_e32 v23, v67, v72
	v_sub_f32_e32 v77, v9, v8
	v_max_f32_e32 v9, v196, v196
	v_cndmask_b32_e32 v65, 0x7f800000, v65, vcc_lo
	v_cvt_f16_f32_e32 v72, v72
	s_delay_alu instid0(VALU_DEP_4) | instskip(NEXT) | instid1(VALU_DEP_4)
	v_mul_f32_e32 v79, 0x3fb8aa3b, v77
	v_max_f32_e32 v9, v78, v9
	s_delay_alu instid0(VALU_DEP_4)
	v_fmac_f32_e32 v23, v165, v65
	v_cvt_f16_f32_e32 v67, v65
	v_pack_b32_f16 v65, v73, v70
	v_fma_f32 v75, 0x3fb8aa3b, v77, -v79
	v_rndne_f32_e32 v78, v79
	v_sub_f32_e32 v165, v195, v9
	v_pk_mul_f16 v109, v67, v109 op_sel_hi:[0,1]
	v_pack_b32_f16 v67, v64, v71
	v_fmac_f32_e32 v75, 0x32a5705f, v77
	v_sub_f32_e32 v73, v79, v78
	v_mul_f32_e32 v79, 0x3fb8aa3b, v165
	v_pack_b32_f16 v71, v169, v72
	v_pack_b32_f16 v70, v76, v69
	;; [unrolled: 1-line block ×3, first 2 shown]
	v_add_f32_e32 v72, v73, v75
	v_fma_f32 v73, 0x3fb8aa3b, v165, -v79
	v_rndne_f32_e32 v74, v79
	v_sub_f32_e32 v75, v193, v8
	v_pack_b32_f16 v64, v206, v180
	v_pack_b32_f16 v68, v12, v24
	v_exp_f32_e32 v12, v72
	v_dual_fmac_f32 v73, 0x32a5705f, v165 :: v_dual_sub_f32 v24, v79, v74
	v_mul_f32_e32 v72, 0x3fb8aa3b, v75
	ds_store_b128 v147, v[64:67]
	ds_store_b128 v147, v[68:71] offset:512
	v_sub_f32_e32 v64, v164, v8
	v_cvt_i32_f32_e32 v65, v78
	v_add_f32_e32 v24, v24, v73
	v_fma_f32 v66, 0x3fb8aa3b, v75, -v72
	v_rndne_f32_e32 v67, v72
	v_mul_f32_e32 v68, 0x3fb8aa3b, v64
	v_ldexp_f32 v12, v12, v65
	v_exp_f32_e32 v24, v24
	v_fmac_f32_e32 v66, 0x32a5705f, v75
	v_sub_f32_e32 v65, v72, v67
	v_cmp_ngt_f32_e32 vcc_lo, 0xc2ce8ed0, v77
	v_fma_f32 v69, 0x3fb8aa3b, v64, -v68
	v_rndne_f32_e32 v70, v68
	v_cvt_i32_f32_e32 v71, v74
	v_dual_add_f32 v65, v65, v66 :: v_dual_cndmask_b32 v12, 0, v12
	v_cmp_nlt_f32_e32 vcc_lo, 0x42b17218, v77
	s_delay_alu instid0(VALU_DEP_4) | instskip(NEXT) | instid1(VALU_DEP_4)
	v_dual_fmac_f32 v69, 0x32a5705f, v64 :: v_dual_sub_f32 v66, v68, v70
	v_ldexp_f32 v24, v24, v71
	s_delay_alu instid0(VALU_DEP_4)
	v_exp_f32_e32 v65, v65
	v_cndmask_b32_e32 v12, 0x7f800000, v12, vcc_lo
	v_cmp_ngt_f32_e32 vcc_lo, 0xc2ce8ed0, v165
	v_sub_f32_e32 v164, v191, v9
	v_add_f32_e32 v66, v66, v69
	v_cvt_i32_f32_e32 v67, v67
	v_cvt_i32_f32_e32 v69, v70
	v_cndmask_b32_e32 v24, 0, v24, vcc_lo
	v_cmp_nlt_f32_e32 vcc_lo, 0x42b17218, v165
	v_mul_f32_e32 v68, 0x3fb8aa3b, v164
	v_exp_f32_e32 v66, v66
	v_sub_f32_e32 v166, v162, v9
	v_cvt_f16_f32_e64 v162, v12
	v_cndmask_b32_e32 v165, 0x7f800000, v24, vcc_lo
	v_ldexp_f32 v24, v65, v67
	v_cmp_ngt_f32_e32 vcc_lo, 0xc2ce8ed0, v75
	v_fma_f32 v65, 0x3fb8aa3b, v164, -v68
	v_rndne_f32_e32 v67, v68
	s_delay_alu instid0(VALU_DEP_4) | instskip(SKIP_1) | instid1(VALU_DEP_3)
	v_cndmask_b32_e32 v24, 0, v24, vcc_lo
	v_cmp_nlt_f32_e32 vcc_lo, 0x42b17218, v75
	v_dual_fmac_f32 v65, 0x32a5705f, v164 :: v_dual_sub_f32 v68, v68, v67
	v_ldexp_f32 v66, v66, v69
	s_delay_alu instid0(VALU_DEP_4) | instskip(SKIP_1) | instid1(VALU_DEP_4)
	v_cndmask_b32_e32 v167, 0x7f800000, v24, vcc_lo
	v_cmp_ngt_f32_e32 vcc_lo, 0xc2ce8ed0, v64
	v_dual_add_f32 v65, v68, v65 :: v_dual_mul_f32 v68, 0x3fb8aa3b, v166
	s_delay_alu instid0(VALU_DEP_3) | instskip(SKIP_2) | instid1(VALU_DEP_4)
	v_add_f32_e32 v24, v167, v12
	v_cndmask_b32_e32 v66, 0, v66, vcc_lo
	v_cmp_nlt_f32_e32 vcc_lo, 0x42b17218, v64
	v_exp_f32_e32 v65, v65
	v_rndne_f32_e32 v168, v68
	v_cvt_i32_f32_e32 v12, v67
	v_cvt_f16_f32_e64 v167, v167
	v_cndmask_b32_e32 v64, 0x7f800000, v66, vcc_lo
	v_fma_f32 v66, 0x3fb8aa3b, v166, -v68
	v_sub_f32_e32 v67, v68, v168
	v_cvt_i32_f32_e32 v25, v168
	v_max_f32_e32 v168, v185, v185
	v_fmac_f32_e32 v24, v163, v64
	v_fmac_f32_e32 v66, 0x32a5705f, v166
	v_cvt_f16_f32_e64 v163, v64
	v_add_co_u32 v64, vcc_lo, s20, v40
	v_ldexp_f32 v12, v65, v12
	v_add_co_ci_u32_e32 v65, vcc_lo, s21, v41, vcc_lo
	v_add_f32_e32 v169, v67, v66
	v_add_co_u32 v66, vcc_lo, s20, v42
	v_add_co_ci_u32_e32 v67, vcc_lo, s21, v43, vcc_lo
	v_add_co_u32 v64, vcc_lo, v64, v146
	v_add_co_ci_u32_e32 v65, vcc_lo, 0, v65, vcc_lo
	s_delay_alu instid0(VALU_DEP_4) | instskip(NEXT) | instid1(VALU_DEP_4)
	v_add_co_u32 v68, vcc_lo, v66, v146
	v_add_co_ci_u32_e32 v69, vcc_lo, 0, v67, vcc_lo
	v_add_co_u32 v66, vcc_lo, s20, v44
	v_add_co_ci_u32_e32 v67, vcc_lo, s21, v45, vcc_lo
	;; [unrolled: 2-line block ×3, first 2 shown]
	s_delay_alu instid0(VALU_DEP_4) | instskip(NEXT) | instid1(VALU_DEP_4)
	v_add_co_u32 v72, vcc_lo, v66, v146
	v_add_co_ci_u32_e32 v73, vcc_lo, 0, v67, vcc_lo
	s_delay_alu instid0(VALU_DEP_4) | instskip(NEXT) | instid1(VALU_DEP_4)
	v_add_co_u32 v76, vcc_lo, v70, v146
	v_add_co_ci_u32_e32 v77, vcc_lo, 0, v71, vcc_lo
	v_cmp_ngt_f32_e32 vcc_lo, 0xc2ce8ed0, v164
	v_pk_mul_f16 v163, v163, v107 op_sel_hi:[0,1]
	v_exp_f32_e32 v107, v169
	v_cvt_f16_f32_e64 v169, v165
	s_clause 0x3
	global_load_b128 v[64:67], v[64:65], off
	global_load_b128 v[68:71], v[68:69], off
	;; [unrolled: 1-line block ×4, first 2 shown]
	v_cndmask_b32_e32 v12, 0, v12, vcc_lo
	v_cmp_nlt_f32_e32 vcc_lo, 0x42b17218, v164
	v_sub_f32_e32 v164, v11, v10
	s_delay_alu instid0(VALU_DEP_3) | instskip(SKIP_1) | instid1(VALU_DEP_2)
	v_dual_max_f32 v11, v186, v186 :: v_dual_cndmask_b32 v12, 0x7f800000, v12
	v_ldexp_f32 v107, v107, v25
	v_dual_max_f32 v11, v168, v11 :: v_dual_mul_f32 v170, 0x3fb8aa3b, v164
	s_delay_alu instid0(VALU_DEP_3) | instskip(NEXT) | instid1(VALU_DEP_2)
	v_add_f32_e32 v25, v165, v12
	v_sub_f32_e32 v15, v15, v11
	v_cmp_ngt_f32_e32 vcc_lo, 0xc2ce8ed0, v166
	s_delay_alu instid0(VALU_DEP_4)
	v_fma_f32 v165, 0x3fb8aa3b, v164, -v170
	v_rndne_f32_e32 v168, v170
	v_sub_f32_e32 v171, v26, v11
	v_sub_f32_e32 v158, v158, v11
	v_cndmask_b32_e32 v107, 0, v107, vcc_lo
	v_cmp_nlt_f32_e32 vcc_lo, 0x42b17218, v166
	v_fmac_f32_e32 v165, 0x32a5705f, v164
	v_mul_f32_e32 v166, 0x3fb8aa3b, v171
	s_delay_alu instid0(VALU_DEP_4) | instskip(SKIP_3) | instid1(VALU_DEP_4)
	v_dual_cndmask_b32 v26, 0x7f800000, v107 :: v_dual_sub_f32 v107, v170, v168
	v_cvt_f16_f32_e64 v170, v12
	v_sub_f32_e32 v12, v13, v10
	v_cvt_i32_f32_e32 v168, v168
	v_fmac_f32_e32 v25, v161, v26
	v_add_f32_e32 v13, v107, v165
	v_fma_f32 v107, 0x3fb8aa3b, v171, -v166
	v_rndne_f32_e32 v161, v166
	v_mul_f32_e32 v165, 0x3fb8aa3b, v12
	v_cvt_f16_f32_e32 v26, v26
	v_exp_f32_e32 v13, v13
	s_delay_alu instid0(VALU_DEP_3) | instskip(NEXT) | instid1(VALU_DEP_3)
	v_dual_fmac_f32 v107, 0x32a5705f, v171 :: v_dual_sub_f32 v166, v166, v161
	v_fma_f32 v172, 0x3fb8aa3b, v12, -v165
	v_rndne_f32_e32 v173, v165
	v_pk_mul_f16 v174, v26, v106 op_sel_hi:[0,1]
	v_cmp_ngt_f32_e32 vcc_lo, 0xc2ce8ed0, v164
	s_delay_alu instid0(VALU_DEP_4) | instskip(NEXT) | instid1(VALU_DEP_4)
	v_dual_add_f32 v107, v166, v107 :: v_dual_fmac_f32 v172, 0x32a5705f, v12
	v_dual_sub_f32 v165, v165, v173 :: v_dual_mul_f32 v166, 0x3fb8aa3b, v160
	s_delay_alu instid0(TRANS32_DEP_1) | instskip(NEXT) | instid1(VALU_DEP_3)
	v_ldexp_f32 v13, v13, v168
	v_exp_f32_e32 v26, v107
	v_cvt_i32_f32_e32 v161, v161
	s_delay_alu instid0(VALU_DEP_3)
	v_add_f32_e32 v106, v165, v172
	v_fma_f32 v107, 0x3fb8aa3b, v160, -v166
	v_rndne_f32_e32 v165, v166
	v_cndmask_b32_e32 v13, 0, v13, vcc_lo
	v_cmp_nlt_f32_e32 vcc_lo, 0x42b17218, v164
	v_exp_f32_e32 v106, v106
	s_delay_alu instid0(VALU_DEP_3) | instskip(NEXT) | instid1(TRANS32_DEP_2)
	v_dual_fmac_f32 v107, 0x32a5705f, v160 :: v_dual_sub_f32 v166, v166, v165
	v_ldexp_f32 v26, v26, v161
	v_cndmask_b32_e32 v13, 0x7f800000, v13, vcc_lo
	v_cmp_ngt_f32_e32 vcc_lo, 0xc2ce8ed0, v171
	v_cvt_i32_f32_e32 v168, v173
	v_add_f32_e32 v107, v166, v107
	v_cvt_i32_f32_e32 v164, v165
	v_cndmask_b32_e32 v161, 0, v26, vcc_lo
	s_delay_alu instid0(TRANS32_DEP_1) | instid1(VALU_DEP_4)
	v_ldexp_f32 v106, v106, v168
	s_delay_alu instid0(VALU_DEP_4) | instskip(SKIP_2) | instid1(VALU_DEP_2)
	v_exp_f32_e32 v26, v107
	v_mul_f32_e32 v107, 0x3fb8aa3b, v15
	v_cmp_ngt_f32_e32 vcc_lo, 0xc2ce8ed0, v12
	v_fma_f32 v165, 0x3fb8aa3b, v15, -v107
	v_rndne_f32_e32 v166, v107
	v_cndmask_b32_e32 v106, 0, v106, vcc_lo
	v_cmp_nlt_f32_e32 vcc_lo, 0x42b17218, v12
	s_delay_alu instid0(TRANS32_DEP_1)
	v_ldexp_f32 v12, v26, v164
	v_fmac_f32_e32 v165, 0x32a5705f, v15
	v_sub_f32_e32 v107, v107, v166
	v_mul_f32_e32 v164, 0x3fb8aa3b, v158
	v_cndmask_b32_e32 v106, 0x7f800000, v106, vcc_lo
	v_cmp_ngt_f32_e32 vcc_lo, 0xc2ce8ed0, v160
	s_delay_alu instid0(VALU_DEP_4) | instskip(NEXT) | instid1(VALU_DEP_4)
	v_add_f32_e32 v107, v107, v165
	v_rndne_f32_e32 v168, v164
	s_delay_alu instid0(VALU_DEP_4)
	v_add_f32_e32 v26, v106, v13
	v_cndmask_b32_e32 v12, 0, v12, vcc_lo
	v_cmp_nlt_f32_e32 vcc_lo, 0x42b17218, v160
	v_exp_f32_e32 v107, v107
	v_fma_f32 v165, 0x3fb8aa3b, v158, -v164
	v_sub_f32_e32 v160, v164, v168
	v_cvt_i32_f32_e32 v164, v166
	v_cndmask_b32_e32 v12, 0x7f800000, v12, vcc_lo
	v_cmp_nlt_f32_e32 vcc_lo, 0x42b17218, v171
	v_fmac_f32_e32 v165, 0x32a5705f, v158
	v_cvt_f16_f32_e64 v166, v13
	s_delay_alu instid0(VALU_DEP_4) | instskip(SKIP_4) | instid1(VALU_DEP_4)
	v_dual_fmac_f32 v26, v159, v12 :: v_dual_cndmask_b32 v161, 0x7f800000, v161
	v_cvt_f16_f32_e32 v12, v12
	v_ldexp_f32 v107, v107, v164
	v_cmp_ngt_f32_e32 vcc_lo, 0xc2ce8ed0, v15
	v_add_f32_e32 v13, v160, v165
	v_pk_mul_f16 v159, v12, v105 op_sel_hi:[0,1]
	v_max_f32_e32 v12, v29, v31
	v_cndmask_b32_e32 v107, 0, v107, vcc_lo
	v_cmp_nlt_f32_e32 vcc_lo, 0x42b17218, v15
	v_cvt_f16_f32_e64 v31, v161
	v_exp_f32_e32 v13, v13
	v_sub_f32_e32 v105, v27, v12
	v_cvt_i32_f32_e32 v29, v168
	v_cndmask_b32_e32 v15, 0x7f800000, v107, vcc_lo
	v_cmp_ngt_f32_e32 vcc_lo, 0xc2ce8ed0, v158
	v_cvt_f16_f32_e32 v107, v106
	s_delay_alu instid0(VALU_DEP_3) | instskip(SKIP_2) | instid1(TRANS32_DEP_1)
	v_dual_sub_f32 v14, v14, v12 :: v_dual_add_f32 v27, v161, v15
	v_cvt_f16_f32_e64 v160, v15
	v_mul_f32_e32 v15, 0x3fb8aa3b, v105
	v_ldexp_f32 v13, v13, v29
	v_max_f32_e32 v29, v189, v189
	s_delay_alu instid0(VALU_DEP_3) | instskip(SKIP_1) | instid1(VALU_DEP_4)
	v_fma_f32 v161, 0x3fb8aa3b, v105, -v15
	v_rndne_f32_e32 v164, v15
	v_cndmask_b32_e32 v13, 0, v13, vcc_lo
	v_cmp_nlt_f32_e32 vcc_lo, 0x42b17218, v158
	s_delay_alu instid0(VALU_DEP_4) | instskip(NEXT) | instid1(VALU_DEP_4)
	v_fmac_f32_e32 v161, 0x32a5705f, v105
	v_sub_f32_e32 v15, v15, v164
	v_cvt_i32_f32_e32 v164, v164
	v_cndmask_b32_e32 v158, 0x7f800000, v13, vcc_lo
	v_cmp_ngt_f32_e32 vcc_lo, 0xc2ce8ed0, v105
	s_delay_alu instid0(VALU_DEP_4) | instskip(NEXT) | instid1(VALU_DEP_3)
	v_add_f32_e32 v15, v15, v161
	v_fmac_f32_e32 v27, v157, v158
	s_delay_alu instid0(VALU_DEP_2) | instskip(SKIP_2) | instid1(VALU_DEP_1)
	v_exp_f32_e32 v15, v15
	s_waitcnt_depctr 0xfff
	v_ldexp_f32 v15, v15, v164
	v_dual_max_f32 v164, v184, v184 :: v_dual_cndmask_b32 v15, 0, v15
	v_cmp_nlt_f32_e32 vcc_lo, 0x42b17218, v105
	s_delay_alu instid0(VALU_DEP_2) | instskip(NEXT) | instid1(VALU_DEP_1)
	v_dual_max_f32 v106, v188, v188 :: v_dual_cndmask_b32 v15, 0x7f800000, v15
	v_max_f32_e32 v13, v106, v29
	v_mul_f32_e32 v29, 0x3fb8aa3b, v14
	v_cmp_ngt_f32_e32 vcc_lo, 0xc2ce8ed0, v14
	s_delay_alu instid0(VALU_DEP_3) | instskip(NEXT) | instid1(VALU_DEP_3)
	v_sub_f32_e32 v157, v183, v13
	v_rndne_f32_e32 v161, v29
	s_delay_alu instid0(VALU_DEP_2) | instskip(NEXT) | instid1(VALU_DEP_1)
	v_mul_f32_e32 v165, 0x3fb8aa3b, v157
	v_fma_f32 v171, 0x3fb8aa3b, v157, -v165
	v_rndne_f32_e32 v172, v165
	s_delay_alu instid0(VALU_DEP_2) | instskip(NEXT) | instid1(VALU_DEP_2)
	v_fmac_f32_e32 v171, 0x32a5705f, v157
	v_sub_f32_e32 v165, v165, v172
	v_cvt_f16_f32_e64 v106, v158
	v_fma_f32 v158, 0x3fb8aa3b, v14, -v29
	v_cvt_i32_f32_e32 v105, v172
	v_sub_f32_e32 v29, v29, v161
	s_delay_alu instid0(VALU_DEP_4) | instskip(SKIP_3) | instid1(VALU_DEP_3)
	v_pk_mul_f16 v175, v106, v104 op_sel_hi:[0,1]
	v_add_f32_e32 v104, v165, v171
	v_cvt_i32_f32_e32 v106, v161
	v_sub_f32_e32 v161, v28, v13
	v_exp_f32_e32 v104, v104
	s_waitcnt_depctr 0xfff
	v_ldexp_f32 v28, v104, v105
	v_fmac_f32_e32 v158, 0x32a5705f, v14
	s_delay_alu instid0(VALU_DEP_1) | instskip(NEXT) | instid1(VALU_DEP_1)
	v_dual_mul_f32 v104, 0x3fb8aa3b, v161 :: v_dual_add_f32 v29, v29, v158
	v_exp_f32_e32 v29, v29
	s_waitcnt_depctr 0xfff
	v_ldexp_f32 v29, v29, v106
	s_delay_alu instid0(VALU_DEP_1) | instskip(SKIP_1) | instid1(VALU_DEP_2)
	v_cndmask_b32_e32 v29, 0, v29, vcc_lo
	v_cmp_nlt_f32_e32 vcc_lo, 0x42b17218, v14
	v_cndmask_b32_e32 v29, 0x7f800000, v29, vcc_lo
	v_cmp_ngt_f32_e32 vcc_lo, 0xc2ce8ed0, v157
	v_cndmask_b32_e32 v105, 0, v28, vcc_lo
	v_sub_f32_e32 v156, v156, v12
	s_delay_alu instid0(VALU_DEP_4) | instskip(NEXT) | instid1(VALU_DEP_2)
	v_add_f32_e32 v28, v29, v15
	v_mul_f32_e32 v168, 0x3fb8aa3b, v156
	v_cmp_ngt_f32_e32 vcc_lo, 0xc2ce8ed0, v156
	s_delay_alu instid0(VALU_DEP_2) | instskip(SKIP_1) | instid1(VALU_DEP_2)
	v_fma_f32 v158, 0x3fb8aa3b, v156, -v168
	v_rndne_f32_e32 v173, v168
	v_fmac_f32_e32 v158, 0x32a5705f, v156
	s_delay_alu instid0(VALU_DEP_2) | instskip(NEXT) | instid1(VALU_DEP_1)
	v_sub_f32_e32 v168, v168, v173
	v_add_f32_e32 v158, v168, v158
	s_delay_alu instid0(VALU_DEP_1)
	v_exp_f32_e32 v106, v158
	v_cvt_i32_f32_e32 v158, v173
	s_waitcnt_depctr 0xfff
	v_ldexp_f32 v14, v106, v158
	v_fma_f32 v106, 0x3fb8aa3b, v161, -v104
	v_rndne_f32_e32 v158, v104
	s_delay_alu instid0(VALU_DEP_3) | instskip(SKIP_1) | instid1(VALU_DEP_3)
	v_cndmask_b32_e32 v14, 0, v14, vcc_lo
	v_cmp_nlt_f32_e32 vcc_lo, 0x42b17218, v156
	v_sub_f32_e32 v104, v104, v158
	v_cvt_i32_f32_e32 v158, v158
	s_delay_alu instid0(VALU_DEP_4) | instskip(SKIP_2) | instid1(VALU_DEP_3)
	v_cndmask_b32_e32 v14, 0x7f800000, v14, vcc_lo
	v_cmp_nlt_f32_e32 vcc_lo, 0x42b17218, v157
	v_cvt_f16_f32_e64 v157, v15
	v_fmac_f32_e32 v28, v155, v14
	v_max_f32_e32 v155, v187, v187
	v_cvt_f16_f32_e64 v165, v14
	v_cndmask_b32_e32 v105, 0x7f800000, v105, vcc_lo
	v_cmp_ngt_f32_e32 vcc_lo, 0xc2ce8ed0, v161
	s_delay_alu instid0(VALU_DEP_4)
	v_max_f32_e32 v14, v164, v155
	v_fmac_f32_e32 v106, 0x32a5705f, v161
	v_pk_mul_f16 v155, v165, v103 op_sel_hi:[0,1]
	v_cvt_f16_f32_e64 v165, v29
	s_waitcnt lgkmcnt(2)
	v_max_f32_e32 v164, v177, v177
	v_cvt_f16_f32_e32 v103, v105
	v_add_f32_e32 v15, v104, v106
	v_sub_f32_e32 v30, v30, v14
	s_delay_alu instid0(VALU_DEP_2) | instskip(SKIP_3) | instid1(VALU_DEP_2)
	v_exp_f32_e32 v15, v15
	s_waitcnt_depctr 0xfff
	v_ldexp_f32 v29, v15, v158
	v_max_f32_e32 v15, v179, v164
	v_cndmask_b32_e32 v29, 0, v29, vcc_lo
	v_cmp_nlt_f32_e32 vcc_lo, 0x42b17218, v161
	s_delay_alu instid0(VALU_DEP_3) | instskip(NEXT) | instid1(VALU_DEP_3)
	v_sub_f32_e32 v171, v190, v15
	v_cndmask_b32_e32 v161, 0x7f800000, v29, vcc_lo
	s_delay_alu instid0(VALU_DEP_1) | instskip(SKIP_1) | instid1(VALU_DEP_1)
	v_add_f32_e32 v29, v105, v161
	v_sub_f32_e32 v154, v154, v13
	v_mul_f32_e32 v156, 0x3fb8aa3b, v154
	v_cmp_ngt_f32_e32 vcc_lo, 0xc2ce8ed0, v154
	s_delay_alu instid0(VALU_DEP_2) | instskip(SKIP_1) | instid1(VALU_DEP_2)
	v_fma_f32 v104, 0x3fb8aa3b, v154, -v156
	v_rndne_f32_e32 v106, v156
	v_fmac_f32_e32 v104, 0x32a5705f, v154
	s_delay_alu instid0(VALU_DEP_2) | instskip(SKIP_1) | instid1(VALU_DEP_2)
	v_sub_f32_e32 v156, v156, v106
	v_cvt_i32_f32_e32 v106, v106
	v_add_f32_e32 v104, v156, v104
	v_sub_f32_e32 v156, v182, v14
	s_delay_alu instid0(VALU_DEP_2) | instskip(NEXT) | instid1(VALU_DEP_1)
	v_exp_f32_e32 v104, v104
	v_mul_f32_e32 v158, 0x3fb8aa3b, v156
	s_delay_alu instid0(VALU_DEP_1)
	v_fma_f32 v164, 0x3fb8aa3b, v156, -v158
	v_rndne_f32_e32 v168, v158
	s_waitcnt_depctr 0xfff
	v_ldexp_f32 v104, v104, v106
	v_fmac_f32_e32 v164, 0x32a5705f, v156
	v_sub_f32_e32 v106, v158, v168
	v_mul_f32_e32 v158, 0x3fb8aa3b, v171
	s_delay_alu instid0(VALU_DEP_4) | instskip(SKIP_1) | instid1(VALU_DEP_4)
	v_cndmask_b32_e32 v104, 0, v104, vcc_lo
	v_cmp_nlt_f32_e32 vcc_lo, 0x42b17218, v154
	v_add_f32_e32 v105, v106, v164
	s_delay_alu instid0(VALU_DEP_4) | instskip(SKIP_4) | instid1(VALU_DEP_3)
	v_fma_f32 v106, 0x3fb8aa3b, v171, -v158
	v_rndne_f32_e32 v164, v158
	v_mul_f32_e32 v154, 0x3fb8aa3b, v30
	v_cndmask_b32_e32 v172, 0x7f800000, v104, vcc_lo
	v_exp_f32_e32 v104, v105
	v_dual_fmac_f32 v106, 0x32a5705f, v171 :: v_dual_sub_f32 v105, v158, v164
	v_cvt_f16_f32_e64 v158, v161
	s_delay_alu instid0(VALU_DEP_3)
	v_fmac_f32_e32 v29, v153, v172
	v_cvt_i32_f32_e32 v153, v168
	v_sub_f32_e32 v161, v152, v14
	v_add_f32_e32 v105, v105, v106
	v_fma_f32 v106, 0x3fb8aa3b, v30, -v154
	v_rndne_f32_e32 v152, v154
	s_delay_alu instid0(TRANS32_DEP_1)
	v_ldexp_f32 v104, v104, v153
	v_sub_f32_e32 v153, v181, v15
	v_cmp_ngt_f32_e32 vcc_lo, 0xc2ce8ed0, v156
	v_exp_f32_e32 v105, v105
	v_fmac_f32_e32 v106, 0x32a5705f, v30
	v_sub_f32_e32 v154, v154, v152
	v_mul_f32_e32 v168, 0x3fb8aa3b, v153
	v_cndmask_b32_e32 v104, 0, v104, vcc_lo
	v_cmp_nlt_f32_e32 vcc_lo, 0x42b17218, v156
	v_cvt_i32_f32_e32 v164, v164
	v_add_f32_e32 v106, v154, v106
	v_rndne_f32_e32 v154, v168
	v_cvt_i32_f32_e32 v152, v152
	v_cndmask_b32_e32 v156, 0x7f800000, v104, vcc_lo
	v_fma_f32 v104, 0x3fb8aa3b, v153, -v168
	v_ldexp_f32 v105, v105, v164
	v_exp_f32_e32 v106, v106
	v_sub_f32_e32 v168, v168, v154
	v_cmp_ngt_f32_e32 vcc_lo, 0xc2ce8ed0, v171
	v_fmac_f32_e32 v104, 0x32a5705f, v153
	v_mul_f32_e32 v164, 0x3fb8aa3b, v161
	s_delay_alu instid0(VALU_DEP_2) | instskip(SKIP_1) | instid1(TRANS32_DEP_1)
	v_dual_cndmask_b32 v105, 0, v105 :: v_dual_add_f32 v104, v168, v104
	v_cmp_nlt_f32_e32 vcc_lo, 0x42b17218, v171
	v_ldexp_f32 v106, v106, v152
	v_sub_f32_e32 v171, v151, v15
	v_fma_f32 v173, 0x3fb8aa3b, v161, -v164
	v_exp_f32_e32 v104, v104
	v_cndmask_b32_e32 v168, 0x7f800000, v105, vcc_lo
	v_cmp_ngt_f32_e32 vcc_lo, 0xc2ce8ed0, v30
	v_rndne_f32_e32 v105, v164
	v_cvt_i32_f32_e32 v152, v154
	v_mul_f32_e32 v154, 0x3fb8aa3b, v171
	v_dual_fmac_f32 v173, 0x32a5705f, v161 :: v_dual_cndmask_b32 v106, 0, v106
	v_cmp_nlt_f32_e32 vcc_lo, 0x42b17218, v30
	v_sub_f32_e32 v151, v164, v105
	s_delay_alu instid0(TRANS32_DEP_1)
	v_ldexp_f32 v104, v104, v152
	v_rndne_f32_e32 v152, v154
	v_cvt_i32_f32_e32 v105, v105
	v_cndmask_b32_e32 v30, 0x7f800000, v106, vcc_lo
	v_fma_f32 v106, 0x3fb8aa3b, v171, -v154
	v_cmp_ngt_f32_e32 vcc_lo, 0xc2ce8ed0, v153
	v_dual_add_f32 v151, v151, v173 :: v_dual_sub_f32 v154, v154, v152
	v_cvt_i32_f32_e32 v178, v152
	s_delay_alu instid0(VALU_DEP_4)
	v_fmac_f32_e32 v106, 0x32a5705f, v171
	v_cndmask_b32_e32 v104, 0, v104, vcc_lo
	v_cmp_nlt_f32_e32 vcc_lo, 0x42b17218, v153
	v_exp_f32_e32 v151, v151
	v_cvt_f16_f32_e64 v153, v30
	v_cvt_f16_f32_e64 v164, v156
	v_pack_b32_f16 v152, v166, v160
	v_dual_cndmask_b32 v173, 0x7f800000, v104 :: v_dual_add_f32 v104, v154, v106
	v_cvt_f16_f32_e64 v106, v168
	v_cmp_ngt_f32_e32 vcc_lo, 0xc2ce8ed0, v161
	v_add_f32_e32 v30, v30, v156
	s_delay_alu instid0(VALU_DEP_4) | instskip(NEXT) | instid1(TRANS32_DEP_2)
	v_exp_f32_e32 v177, v104
	v_ldexp_f32 v176, v151, v105
	v_cvt_f16_f32_e64 v151, v173
	v_pack_b32_f16 v106, v153, v106
	v_pack_b32_f16 v105, v165, v103
	;; [unrolled: 1-line block ×4, first 2 shown]
	v_cndmask_b32_e32 v31, 0, v176, vcc_lo
	v_cmp_ngt_f32_e32 vcc_lo, 0xc2ce8ed0, v171
	v_pack_b32_f16 v154, v164, v151
	v_ldexp_f32 v107, v177, v178
	v_pack_b32_f16 v153, v157, v158
	v_pack_b32_f16 v151, v162, v170
	ds_store_b128 v147, v[103:106] offset:1024
	ds_store_b128 v147, v[151:154] offset:1536
	s_waitcnt vmcnt(3)
	ds_store_b128 v141, v[64:67]
	s_waitcnt vmcnt(2)
	ds_store_b128 v143, v[68:71]
	;; [unrolled: 2-line block ×4, first 2 shown]
	v_cndmask_b32_e32 v68, 0, v107, vcc_lo
	v_cmp_nlt_f32_e32 vcc_lo, 0x42b17218, v161
	s_waitcnt lgkmcnt(0)
	s_barrier
	buffer_gl0_inv
	ds_load_2addr_b32 v[151:152], v99 offset1:32
	ds_load_b128 v[64:67], v142
	v_cndmask_b32_e32 v72, 0x7f800000, v31, vcc_lo
	v_cmp_nlt_f32_e32 vcc_lo, 0x42b17218, v171
	v_cvt_f16_f32_e64 v73, v172
	v_add_f32_e32 v31, v168, v173
	s_delay_alu instid0(VALU_DEP_4)
	v_cvt_f16_f32_e32 v75, v72
	v_cndmask_b32_e32 v74, 0x7f800000, v68, vcc_lo
	ds_load_b128 v[68:71], v142 offset:1024
	v_pk_mul_f16 v153, v73, v102 op_sel_hi:[0,1]
	v_fmac_f32_e32 v30, v149, v72
	v_pk_mul_f16 v149, v75, v101 op_sel_hi:[0,1]
	v_cvt_f16_f32_e32 v76, v74
	v_fmac_f32_e32 v31, v150, v74
	s_delay_alu instid0(VALU_DEP_2)
	v_pk_mul_f16 v150, v76, v100 op_sel_hi:[0,1]
	ds_load_b128 v[72:75], v142 offset:16
	ds_load_b128 v[76:79], v142 offset:32
	ds_load_b128 v[100:103], v142 offset:48
	ds_load_b128 v[104:107], v142 offset:1040
	s_waitcnt lgkmcnt(5)
	v_pk_fma_f16 v127, v151, v64, v127 op_sel_hi:[1,0,1]
	v_pk_fma_f16 v64, v151, v64, v126 op_sel:[0,1,0]
	v_pk_fma_f16 v122, v151, v65, v122 op_sel_hi:[1,0,1]
	v_pk_fma_f16 v65, v151, v65, v118 op_sel:[0,1,0]
	;; [unrolled: 2-line block ×4, first 2 shown]
	ds_load_2addr_b32 v[109:110], v99 offset0:64 offset1:96
	s_waitcnt lgkmcnt(5)
	v_pk_fma_f16 v126, v151, v68, v163 op_sel_hi:[1,0,1]
	v_pk_fma_f16 v68, v151, v68, v174 op_sel:[0,1,0]
	v_pk_fma_f16 v154, v151, v69, v159 op_sel_hi:[1,0,1]
	v_pk_fma_f16 v69, v151, v69, v175 op_sel:[0,1,0]
	;; [unrolled: 2-line block ×3, first 2 shown]
	v_pk_fma_f16 v149, v151, v71, v149 op_sel_hi:[1,0,1]
	s_waitcnt lgkmcnt(4)
	v_pk_fma_f16 v127, v152, v72, v127 op_sel_hi:[1,0,1]
	v_pk_fma_f16 v72, v152, v72, v64 op_sel:[0,1,0]
	v_pk_fma_f16 v122, v152, v73, v122 op_sel_hi:[1,0,1]
	v_pk_fma_f16 v73, v152, v73, v65 op_sel:[0,1,0]
	;; [unrolled: 2-line block ×3, first 2 shown]
	ds_load_b128 v[64:67], v142 offset:1056
	v_pk_fma_f16 v71, v151, v71, v150 op_sel:[0,1,0]
	v_pk_fma_f16 v111, v152, v75, v111 op_sel_hi:[1,0,1]
	v_pk_fma_f16 v75, v152, v75, v118 op_sel:[0,1,0]
	s_waitcnt lgkmcnt(2)
	v_pk_fma_f16 v118, v152, v104, v126 op_sel_hi:[1,0,1]
	v_pk_fma_f16 v104, v152, v104, v68 op_sel:[0,1,0]
	v_pk_fma_f16 v126, v152, v105, v154 op_sel_hi:[1,0,1]
	v_pk_fma_f16 v105, v152, v105, v69 op_sel:[0,1,0]
	;; [unrolled: 2-line block ×4, first 2 shown]
	s_waitcnt lgkmcnt(1)
	v_pk_fma_f16 v127, v109, v76, v127 op_sel_hi:[1,0,1]
	v_pk_fma_f16 v76, v109, v76, v72 op_sel:[0,1,0]
	v_pk_fma_f16 v122, v109, v77, v122 op_sel_hi:[1,0,1]
	v_pk_fma_f16 v77, v109, v77, v73 op_sel:[0,1,0]
	;; [unrolled: 2-line block ×4, first 2 shown]
	ds_load_b128 v[68:71], v142 offset:1072
	s_waitcnt lgkmcnt(1)
	v_pk_fma_f16 v151, v109, v64, v104 op_sel:[0,1,0]
	v_pk_fma_f16 v152, v109, v65, v105 op_sel:[0,1,0]
	ds_load_2addr_b32 v[104:105], v99 offset0:128 offset1:160
	ds_load_b128 v[72:75], v142 offset:64
	v_pk_fma_f16 v118, v109, v64, v118 op_sel_hi:[1,0,1]
	v_pk_fma_f16 v126, v109, v65, v126 op_sel_hi:[1,0,1]
	;; [unrolled: 1-line block ×3, first 2 shown]
	v_pk_fma_f16 v106, v109, v66, v106 op_sel:[0,1,0]
	v_pk_fma_f16 v149, v109, v67, v149 op_sel_hi:[1,0,1]
	v_pk_fma_f16 v107, v109, v67, v107 op_sel:[0,1,0]
	v_pk_fma_f16 v109, v110, v100, v127 op_sel_hi:[1,0,1]
	;; [unrolled: 2-line block ×5, first 2 shown]
	ds_load_b128 v[64:67], v142 offset:1088
	v_pk_fma_f16 v79, v110, v103, v79 op_sel:[0,1,0]
	v_add_nc_u32_e32 v153, 0x400, v99
	s_waitcnt lgkmcnt(3)
	v_pk_fma_f16 v103, v110, v68, v118 op_sel_hi:[1,0,1]
	v_pk_fma_f16 v111, v110, v68, v151 op_sel:[0,1,0]
	v_pk_fma_f16 v114, v110, v69, v126 op_sel_hi:[1,0,1]
	v_pk_fma_f16 v118, v110, v69, v152 op_sel:[0,1,0]
	;; [unrolled: 2-line block ×4, first 2 shown]
	ds_load_b128 v[68:71], v142 offset:80
	s_waitcnt lgkmcnt(2)
	v_pk_fma_f16 v109, v104, v72, v109 op_sel_hi:[1,0,1]
	v_pk_fma_f16 v110, v104, v72, v76 op_sel:[0,1,0]
	v_pk_fma_f16 v127, v104, v73, v100 op_sel_hi:[1,0,1]
	v_pk_fma_f16 v149, v104, v73, v77 op_sel:[0,1,0]
	;; [unrolled: 2-line block ×4, first 2 shown]
	ds_load_b128 v[72:75], v142 offset:1104
	s_waitcnt lgkmcnt(2)
	v_pk_fma_f16 v103, v104, v64, v103 op_sel_hi:[1,0,1]
	v_pk_fma_f16 v111, v104, v64, v111 op_sel:[0,1,0]
	v_pk_fma_f16 v114, v104, v65, v114 op_sel_hi:[1,0,1]
	v_pk_fma_f16 v118, v104, v65, v118 op_sel:[0,1,0]
	;; [unrolled: 2-line block ×3, first 2 shown]
	v_pk_fma_f16 v126, v104, v67, v126 op_sel_hi:[1,0,1]
	ds_load_2addr_b32 v[100:101], v99 offset0:192 offset1:224
	ds_load_b128 v[76:79], v142 offset:96
	v_pk_fma_f16 v104, v104, v67, v107 op_sel:[0,1,0]
	ds_load_b128 v[64:67], v142 offset:1120
	s_waitcnt lgkmcnt(4)
	v_pk_fma_f16 v107, v105, v68, v109 op_sel_hi:[1,0,1]
	v_pk_fma_f16 v109, v105, v68, v110 op_sel:[0,1,0]
	v_pk_fma_f16 v110, v105, v69, v127 op_sel_hi:[1,0,1]
	v_pk_fma_f16 v127, v105, v69, v149 op_sel:[0,1,0]
	v_pk_fma_f16 v149, v105, v70, v150 op_sel_hi:[1,0,1]
	v_pk_fma_f16 v150, v105, v70, v151 op_sel:[0,1,0]
	v_pk_fma_f16 v102, v105, v71, v102 op_sel_hi:[1,0,1]
	v_pk_fma_f16 v151, v105, v71, v152 op_sel:[0,1,0]
	ds_load_b128 v[68:71], v142 offset:112
	s_waitcnt lgkmcnt(4)
	v_pk_fma_f16 v103, v105, v72, v103 op_sel_hi:[1,0,1]
	v_pk_fma_f16 v111, v105, v72, v111 op_sel:[0,1,0]
	v_pk_fma_f16 v114, v105, v73, v114 op_sel_hi:[1,0,1]
	v_pk_fma_f16 v118, v105, v73, v118 op_sel:[0,1,0]
	v_pk_fma_f16 v122, v105, v74, v122 op_sel_hi:[1,0,1]
	v_pk_fma_f16 v106, v105, v74, v106 op_sel:[0,1,0]
	v_pk_fma_f16 v126, v105, v75, v126 op_sel_hi:[1,0,1]
	;; [unrolled: 10-line block ×3, first 2 shown]
	v_pk_fma_f16 v151, v100, v79, v151 op_sel:[0,1,0]
	s_waitcnt lgkmcnt(2)
	v_pk_fma_f16 v152, v100, v64, v103 op_sel_hi:[1,0,1]
	v_pk_fma_f16 v111, v100, v64, v111 op_sel:[0,1,0]
	v_pk_fma_f16 v114, v100, v65, v114 op_sel_hi:[1,0,1]
	v_pk_fma_f16 v118, v100, v65, v118 op_sel:[0,1,0]
	;; [unrolled: 2-line block ×3, first 2 shown]
	v_pk_fma_f16 v126, v100, v67, v126 op_sel_hi:[1,0,1]
	ds_load_2addr_b32 v[102:103], v153 offset1:32
	ds_load_b128 v[76:79], v142 offset:128
	v_pk_fma_f16 v100, v100, v67, v104 op_sel:[0,1,0]
	ds_load_b128 v[64:67], v142 offset:1152
	s_waitcnt lgkmcnt(4)
	v_pk_fma_f16 v104, v101, v68, v105 op_sel_hi:[1,0,1]
	v_pk_fma_f16 v105, v101, v68, v107 op_sel:[0,1,0]
	v_pk_fma_f16 v107, v101, v69, v109 op_sel_hi:[1,0,1]
	v_pk_fma_f16 v109, v101, v69, v110 op_sel:[0,1,0]
	v_pk_fma_f16 v110, v101, v70, v127 op_sel_hi:[1,0,1]
	v_pk_fma_f16 v127, v101, v70, v149 op_sel:[0,1,0]
	v_pk_fma_f16 v149, v101, v71, v150 op_sel_hi:[1,0,1]
	v_pk_fma_f16 v150, v101, v71, v151 op_sel:[0,1,0]
	ds_load_b128 v[68:71], v142 offset:144
	s_waitcnt lgkmcnt(4)
	v_pk_fma_f16 v151, v101, v72, v152 op_sel_hi:[1,0,1]
	v_pk_fma_f16 v111, v101, v72, v111 op_sel:[0,1,0]
	v_pk_fma_f16 v114, v101, v73, v114 op_sel_hi:[1,0,1]
	v_pk_fma_f16 v118, v101, v73, v118 op_sel:[0,1,0]
	v_pk_fma_f16 v122, v101, v74, v122 op_sel_hi:[1,0,1]
	v_pk_fma_f16 v106, v101, v74, v106 op_sel:[0,1,0]
	v_pk_fma_f16 v126, v101, v75, v126 op_sel_hi:[1,0,1]
	v_pk_fma_f16 v152, v101, v75, v100 op_sel:[0,1,0]
	ds_load_b128 v[72:75], v142 offset:1168
	s_waitcnt lgkmcnt(3)
	v_pk_fma_f16 v104, v102, v76, v104 op_sel_hi:[1,0,1]
	v_pk_fma_f16 v105, v102, v76, v105 op_sel:[0,1,0]
	v_pk_fma_f16 v107, v102, v77, v107 op_sel_hi:[1,0,1]
	v_pk_fma_f16 v109, v102, v77, v109 op_sel:[0,1,0]
	v_pk_fma_f16 v110, v102, v78, v110 op_sel_hi:[1,0,1]
	v_pk_fma_f16 v127, v102, v78, v127 op_sel:[0,1,0]
	v_pk_fma_f16 v149, v102, v79, v149 op_sel_hi:[1,0,1]
	v_pk_fma_f16 v150, v102, v79, v150 op_sel:[0,1,0]
	s_waitcnt lgkmcnt(2)
	v_pk_fma_f16 v151, v102, v64, v151 op_sel_hi:[1,0,1]
	v_pk_fma_f16 v111, v102, v64, v111 op_sel:[0,1,0]
	v_pk_fma_f16 v114, v102, v65, v114 op_sel_hi:[1,0,1]
	v_pk_fma_f16 v118, v102, v65, v118 op_sel:[0,1,0]
	v_pk_fma_f16 v122, v102, v66, v122 op_sel_hi:[1,0,1]
	v_pk_fma_f16 v106, v102, v66, v106 op_sel:[0,1,0]
	v_pk_fma_f16 v126, v102, v67, v126 op_sel_hi:[1,0,1]
	ds_load_2addr_b32 v[100:101], v153 offset0:64 offset1:96
	ds_load_b128 v[76:79], v142 offset:160
	v_pk_fma_f16 v102, v102, v67, v152 op_sel:[0,1,0]
	ds_load_b128 v[64:67], v142 offset:1184
	s_waitcnt lgkmcnt(4)
	v_pk_fma_f16 v104, v103, v68, v104 op_sel_hi:[1,0,1]
	v_pk_fma_f16 v105, v103, v68, v105 op_sel:[0,1,0]
	v_pk_fma_f16 v107, v103, v69, v107 op_sel_hi:[1,0,1]
	v_pk_fma_f16 v109, v103, v69, v109 op_sel:[0,1,0]
	v_pk_fma_f16 v110, v103, v70, v110 op_sel_hi:[1,0,1]
	v_pk_fma_f16 v127, v103, v70, v127 op_sel:[0,1,0]
	v_pk_fma_f16 v149, v103, v71, v149 op_sel_hi:[1,0,1]
	v_pk_fma_f16 v150, v103, v71, v150 op_sel:[0,1,0]
	ds_load_b128 v[68:71], v142 offset:176
	s_waitcnt lgkmcnt(4)
	v_pk_fma_f16 v151, v103, v72, v151 op_sel_hi:[1,0,1]
	v_pk_fma_f16 v111, v103, v72, v111 op_sel:[0,1,0]
	v_pk_fma_f16 v114, v103, v73, v114 op_sel_hi:[1,0,1]
	v_pk_fma_f16 v118, v103, v73, v118 op_sel:[0,1,0]
	v_pk_fma_f16 v122, v103, v74, v122 op_sel_hi:[1,0,1]
	v_pk_fma_f16 v106, v103, v74, v106 op_sel:[0,1,0]
	v_pk_fma_f16 v126, v103, v75, v126 op_sel_hi:[1,0,1]
	v_pk_fma_f16 v152, v103, v75, v102 op_sel:[0,1,0]
	ds_load_b128 v[72:75], v142 offset:1200
	s_waitcnt lgkmcnt(3)
	v_pk_fma_f16 v104, v100, v76, v104 op_sel_hi:[1,0,1]
	v_pk_fma_f16 v105, v100, v76, v105 op_sel:[0,1,0]
	v_pk_fma_f16 v107, v100, v77, v107 op_sel_hi:[1,0,1]
	v_pk_fma_f16 v109, v100, v77, v109 op_sel:[0,1,0]
	v_pk_fma_f16 v110, v100, v78, v110 op_sel_hi:[1,0,1]
	v_pk_fma_f16 v127, v100, v78, v127 op_sel:[0,1,0]
	v_pk_fma_f16 v149, v100, v79, v149 op_sel_hi:[1,0,1]
	v_pk_fma_f16 v150, v100, v79, v150 op_sel:[0,1,0]
	s_waitcnt lgkmcnt(2)
	v_pk_fma_f16 v151, v100, v64, v151 op_sel_hi:[1,0,1]
	v_pk_fma_f16 v111, v100, v64, v111 op_sel:[0,1,0]
	v_pk_fma_f16 v114, v100, v65, v114 op_sel_hi:[1,0,1]
	v_pk_fma_f16 v118, v100, v65, v118 op_sel:[0,1,0]
	v_pk_fma_f16 v122, v100, v66, v122 op_sel_hi:[1,0,1]
	v_pk_fma_f16 v106, v100, v66, v106 op_sel:[0,1,0]
	v_pk_fma_f16 v126, v100, v67, v126 op_sel_hi:[1,0,1]
	ds_load_2addr_b32 v[102:103], v153 offset0:128 offset1:160
	ds_load_b128 v[76:79], v142 offset:192
	v_pk_fma_f16 v100, v100, v67, v152 op_sel:[0,1,0]
	ds_load_b128 v[64:67], v142 offset:1216
	s_waitcnt lgkmcnt(4)
	v_pk_fma_f16 v104, v101, v68, v104 op_sel_hi:[1,0,1]
	v_pk_fma_f16 v105, v101, v68, v105 op_sel:[0,1,0]
	v_pk_fma_f16 v107, v101, v69, v107 op_sel_hi:[1,0,1]
	v_pk_fma_f16 v109, v101, v69, v109 op_sel:[0,1,0]
	v_pk_fma_f16 v110, v101, v70, v110 op_sel_hi:[1,0,1]
	v_pk_fma_f16 v127, v101, v70, v127 op_sel:[0,1,0]
	v_pk_fma_f16 v149, v101, v71, v149 op_sel_hi:[1,0,1]
	v_pk_fma_f16 v150, v101, v71, v150 op_sel:[0,1,0]
	ds_load_b128 v[68:71], v142 offset:208
	s_waitcnt lgkmcnt(4)
	v_pk_fma_f16 v151, v101, v72, v151 op_sel_hi:[1,0,1]
	v_pk_fma_f16 v111, v101, v72, v111 op_sel:[0,1,0]
	v_pk_fma_f16 v114, v101, v73, v114 op_sel_hi:[1,0,1]
	v_pk_fma_f16 v118, v101, v73, v118 op_sel:[0,1,0]
	v_pk_fma_f16 v122, v101, v74, v122 op_sel_hi:[1,0,1]
	v_pk_fma_f16 v106, v101, v74, v106 op_sel:[0,1,0]
	v_pk_fma_f16 v126, v101, v75, v126 op_sel_hi:[1,0,1]
	v_pk_fma_f16 v152, v101, v75, v100 op_sel:[0,1,0]
	ds_load_b128 v[72:75], v142 offset:1232
	s_waitcnt lgkmcnt(3)
	v_pk_fma_f16 v104, v102, v76, v104 op_sel_hi:[1,0,1]
	v_pk_fma_f16 v105, v102, v76, v105 op_sel:[0,1,0]
	v_pk_fma_f16 v107, v102, v77, v107 op_sel_hi:[1,0,1]
	v_pk_fma_f16 v109, v102, v77, v109 op_sel:[0,1,0]
	v_pk_fma_f16 v110, v102, v78, v110 op_sel_hi:[1,0,1]
	v_pk_fma_f16 v127, v102, v78, v127 op_sel:[0,1,0]
	v_pk_fma_f16 v149, v102, v79, v149 op_sel_hi:[1,0,1]
	v_pk_fma_f16 v150, v102, v79, v150 op_sel:[0,1,0]
	s_waitcnt lgkmcnt(2)
	v_pk_fma_f16 v151, v102, v64, v151 op_sel_hi:[1,0,1]
	v_pk_fma_f16 v111, v102, v64, v111 op_sel:[0,1,0]
	v_pk_fma_f16 v114, v102, v65, v114 op_sel_hi:[1,0,1]
	v_pk_fma_f16 v118, v102, v65, v118 op_sel:[0,1,0]
	v_pk_fma_f16 v122, v102, v66, v122 op_sel_hi:[1,0,1]
	v_pk_fma_f16 v106, v102, v66, v106 op_sel:[0,1,0]
	v_pk_fma_f16 v126, v102, v67, v126 op_sel_hi:[1,0,1]
	ds_load_2addr_b32 v[100:101], v153 offset0:192 offset1:224
	ds_load_b128 v[76:79], v142 offset:224
	v_pk_fma_f16 v102, v102, v67, v152 op_sel:[0,1,0]
	ds_load_b128 v[64:67], v142 offset:1248
	s_waitcnt lgkmcnt(4)
	v_pk_fma_f16 v104, v103, v68, v104 op_sel_hi:[1,0,1]
	v_pk_fma_f16 v105, v103, v68, v105 op_sel:[0,1,0]
	v_pk_fma_f16 v107, v103, v69, v107 op_sel_hi:[1,0,1]
	v_pk_fma_f16 v109, v103, v69, v109 op_sel:[0,1,0]
	;; [unrolled: 2-line block ×4, first 2 shown]
	ds_load_b128 v[68:71], v142 offset:240
	s_waitcnt lgkmcnt(4)
	v_pk_fma_f16 v151, v103, v72, v151 op_sel_hi:[1,0,1]
	v_pk_fma_f16 v111, v103, v72, v111 op_sel:[0,1,0]
	v_pk_fma_f16 v114, v103, v73, v114 op_sel_hi:[1,0,1]
	v_pk_fma_f16 v118, v103, v73, v118 op_sel:[0,1,0]
	;; [unrolled: 2-line block ×4, first 2 shown]
	ds_load_b128 v[72:75], v142 offset:1264
	v_add_nc_u32_e32 v153, 0x800, v99
	s_waitcnt lgkmcnt(3)
	v_pk_fma_f16 v104, v100, v76, v104 op_sel_hi:[1,0,1]
	v_pk_fma_f16 v105, v100, v76, v105 op_sel:[0,1,0]
	v_pk_fma_f16 v107, v100, v77, v107 op_sel_hi:[1,0,1]
	v_pk_fma_f16 v109, v100, v77, v109 op_sel:[0,1,0]
	;; [unrolled: 2-line block ×4, first 2 shown]
	s_waitcnt lgkmcnt(2)
	v_pk_fma_f16 v151, v100, v64, v151 op_sel_hi:[1,0,1]
	v_pk_fma_f16 v111, v100, v64, v111 op_sel:[0,1,0]
	v_pk_fma_f16 v114, v100, v65, v114 op_sel_hi:[1,0,1]
	v_pk_fma_f16 v118, v100, v65, v118 op_sel:[0,1,0]
	;; [unrolled: 2-line block ×3, first 2 shown]
	v_pk_fma_f16 v126, v100, v67, v126 op_sel_hi:[1,0,1]
	ds_load_2addr_b32 v[102:103], v153 offset1:32
	ds_load_b128 v[76:79], v142 offset:256
	v_pk_fma_f16 v100, v100, v67, v152 op_sel:[0,1,0]
	ds_load_b128 v[64:67], v142 offset:1280
	s_waitcnt lgkmcnt(4)
	v_pk_fma_f16 v104, v101, v68, v104 op_sel_hi:[1,0,1]
	v_pk_fma_f16 v105, v101, v68, v105 op_sel:[0,1,0]
	v_pk_fma_f16 v107, v101, v69, v107 op_sel_hi:[1,0,1]
	v_pk_fma_f16 v109, v101, v69, v109 op_sel:[0,1,0]
	v_pk_fma_f16 v110, v101, v70, v110 op_sel_hi:[1,0,1]
	v_pk_fma_f16 v127, v101, v70, v127 op_sel:[0,1,0]
	v_pk_fma_f16 v149, v101, v71, v149 op_sel_hi:[1,0,1]
	v_pk_fma_f16 v150, v101, v71, v150 op_sel:[0,1,0]
	ds_load_b128 v[68:71], v142 offset:272
	s_waitcnt lgkmcnt(4)
	v_pk_fma_f16 v151, v101, v72, v151 op_sel_hi:[1,0,1]
	v_pk_fma_f16 v111, v101, v72, v111 op_sel:[0,1,0]
	v_pk_fma_f16 v114, v101, v73, v114 op_sel_hi:[1,0,1]
	v_pk_fma_f16 v118, v101, v73, v118 op_sel:[0,1,0]
	v_pk_fma_f16 v122, v101, v74, v122 op_sel_hi:[1,0,1]
	v_pk_fma_f16 v106, v101, v74, v106 op_sel:[0,1,0]
	v_pk_fma_f16 v126, v101, v75, v126 op_sel_hi:[1,0,1]
	v_pk_fma_f16 v152, v101, v75, v100 op_sel:[0,1,0]
	ds_load_b128 v[72:75], v142 offset:1296
	s_waitcnt lgkmcnt(3)
	v_pk_fma_f16 v104, v102, v76, v104 op_sel_hi:[1,0,1]
	v_pk_fma_f16 v105, v102, v76, v105 op_sel:[0,1,0]
	v_pk_fma_f16 v107, v102, v77, v107 op_sel_hi:[1,0,1]
	v_pk_fma_f16 v109, v102, v77, v109 op_sel:[0,1,0]
	v_pk_fma_f16 v110, v102, v78, v110 op_sel_hi:[1,0,1]
	v_pk_fma_f16 v127, v102, v78, v127 op_sel:[0,1,0]
	v_pk_fma_f16 v149, v102, v79, v149 op_sel_hi:[1,0,1]
	v_pk_fma_f16 v150, v102, v79, v150 op_sel:[0,1,0]
	s_waitcnt lgkmcnt(2)
	v_pk_fma_f16 v151, v102, v64, v151 op_sel_hi:[1,0,1]
	v_pk_fma_f16 v111, v102, v64, v111 op_sel:[0,1,0]
	v_pk_fma_f16 v114, v102, v65, v114 op_sel_hi:[1,0,1]
	v_pk_fma_f16 v118, v102, v65, v118 op_sel:[0,1,0]
	v_pk_fma_f16 v122, v102, v66, v122 op_sel_hi:[1,0,1]
	v_pk_fma_f16 v106, v102, v66, v106 op_sel:[0,1,0]
	v_pk_fma_f16 v126, v102, v67, v126 op_sel_hi:[1,0,1]
	ds_load_2addr_b32 v[100:101], v153 offset0:64 offset1:96
	ds_load_b128 v[76:79], v142 offset:288
	v_pk_fma_f16 v102, v102, v67, v152 op_sel:[0,1,0]
	ds_load_b128 v[64:67], v142 offset:1312
	s_waitcnt lgkmcnt(4)
	v_pk_fma_f16 v104, v103, v68, v104 op_sel_hi:[1,0,1]
	v_pk_fma_f16 v105, v103, v68, v105 op_sel:[0,1,0]
	v_pk_fma_f16 v107, v103, v69, v107 op_sel_hi:[1,0,1]
	v_pk_fma_f16 v109, v103, v69, v109 op_sel:[0,1,0]
	v_pk_fma_f16 v110, v103, v70, v110 op_sel_hi:[1,0,1]
	v_pk_fma_f16 v127, v103, v70, v127 op_sel:[0,1,0]
	v_pk_fma_f16 v149, v103, v71, v149 op_sel_hi:[1,0,1]
	v_pk_fma_f16 v150, v103, v71, v150 op_sel:[0,1,0]
	ds_load_b128 v[68:71], v142 offset:304
	s_waitcnt lgkmcnt(4)
	v_pk_fma_f16 v151, v103, v72, v151 op_sel_hi:[1,0,1]
	v_pk_fma_f16 v111, v103, v72, v111 op_sel:[0,1,0]
	v_pk_fma_f16 v114, v103, v73, v114 op_sel_hi:[1,0,1]
	v_pk_fma_f16 v118, v103, v73, v118 op_sel:[0,1,0]
	v_pk_fma_f16 v122, v103, v74, v122 op_sel_hi:[1,0,1]
	v_pk_fma_f16 v106, v103, v74, v106 op_sel:[0,1,0]
	v_pk_fma_f16 v126, v103, v75, v126 op_sel_hi:[1,0,1]
	v_pk_fma_f16 v152, v103, v75, v102 op_sel:[0,1,0]
	ds_load_b128 v[72:75], v142 offset:1328
	s_waitcnt lgkmcnt(3)
	v_pk_fma_f16 v104, v100, v76, v104 op_sel_hi:[1,0,1]
	v_pk_fma_f16 v105, v100, v76, v105 op_sel:[0,1,0]
	v_pk_fma_f16 v107, v100, v77, v107 op_sel_hi:[1,0,1]
	v_pk_fma_f16 v109, v100, v77, v109 op_sel:[0,1,0]
	v_pk_fma_f16 v110, v100, v78, v110 op_sel_hi:[1,0,1]
	v_pk_fma_f16 v127, v100, v78, v127 op_sel:[0,1,0]
	v_pk_fma_f16 v149, v100, v79, v149 op_sel_hi:[1,0,1]
	v_pk_fma_f16 v150, v100, v79, v150 op_sel:[0,1,0]
	s_waitcnt lgkmcnt(2)
	v_pk_fma_f16 v151, v100, v64, v151 op_sel_hi:[1,0,1]
	v_pk_fma_f16 v111, v100, v64, v111 op_sel:[0,1,0]
	v_pk_fma_f16 v114, v100, v65, v114 op_sel_hi:[1,0,1]
	v_pk_fma_f16 v118, v100, v65, v118 op_sel:[0,1,0]
	v_pk_fma_f16 v122, v100, v66, v122 op_sel_hi:[1,0,1]
	v_pk_fma_f16 v106, v100, v66, v106 op_sel:[0,1,0]
	v_pk_fma_f16 v126, v100, v67, v126 op_sel_hi:[1,0,1]
	ds_load_2addr_b32 v[102:103], v153 offset0:128 offset1:160
	;; [unrolled: 41-line block ×3, first 2 shown]
	ds_load_b128 v[76:79], v142 offset:352
	v_pk_fma_f16 v102, v102, v67, v152 op_sel:[0,1,0]
	ds_load_b128 v[64:67], v142 offset:1376
	s_waitcnt lgkmcnt(4)
	v_pk_fma_f16 v104, v103, v68, v104 op_sel_hi:[1,0,1]
	v_pk_fma_f16 v105, v103, v68, v105 op_sel:[0,1,0]
	v_pk_fma_f16 v107, v103, v69, v107 op_sel_hi:[1,0,1]
	v_pk_fma_f16 v109, v103, v69, v109 op_sel:[0,1,0]
	;; [unrolled: 2-line block ×4, first 2 shown]
	ds_load_b128 v[68:71], v142 offset:368
	s_waitcnt lgkmcnt(4)
	v_pk_fma_f16 v151, v103, v72, v151 op_sel_hi:[1,0,1]
	v_pk_fma_f16 v111, v103, v72, v111 op_sel:[0,1,0]
	v_pk_fma_f16 v114, v103, v73, v114 op_sel_hi:[1,0,1]
	v_pk_fma_f16 v118, v103, v73, v118 op_sel:[0,1,0]
	;; [unrolled: 2-line block ×4, first 2 shown]
	ds_load_b128 v[72:75], v142 offset:1392
	v_add_nc_u32_e32 v153, 0xc00, v99
	s_waitcnt lgkmcnt(3)
	v_pk_fma_f16 v104, v100, v76, v104 op_sel_hi:[1,0,1]
	v_pk_fma_f16 v105, v100, v76, v105 op_sel:[0,1,0]
	v_pk_fma_f16 v107, v100, v77, v107 op_sel_hi:[1,0,1]
	v_pk_fma_f16 v109, v100, v77, v109 op_sel:[0,1,0]
	;; [unrolled: 2-line block ×4, first 2 shown]
	s_waitcnt lgkmcnt(2)
	v_pk_fma_f16 v151, v100, v64, v151 op_sel_hi:[1,0,1]
	v_pk_fma_f16 v111, v100, v64, v111 op_sel:[0,1,0]
	v_pk_fma_f16 v114, v100, v65, v114 op_sel_hi:[1,0,1]
	v_pk_fma_f16 v118, v100, v65, v118 op_sel:[0,1,0]
	;; [unrolled: 2-line block ×3, first 2 shown]
	v_pk_fma_f16 v126, v100, v67, v126 op_sel_hi:[1,0,1]
	ds_load_2addr_b32 v[102:103], v153 offset1:32
	ds_load_b128 v[76:79], v142 offset:384
	v_pk_fma_f16 v100, v100, v67, v152 op_sel:[0,1,0]
	ds_load_b128 v[64:67], v142 offset:1408
	s_waitcnt lgkmcnt(4)
	v_pk_fma_f16 v104, v101, v68, v104 op_sel_hi:[1,0,1]
	v_pk_fma_f16 v105, v101, v68, v105 op_sel:[0,1,0]
	v_pk_fma_f16 v107, v101, v69, v107 op_sel_hi:[1,0,1]
	v_pk_fma_f16 v109, v101, v69, v109 op_sel:[0,1,0]
	v_pk_fma_f16 v110, v101, v70, v110 op_sel_hi:[1,0,1]
	v_pk_fma_f16 v127, v101, v70, v127 op_sel:[0,1,0]
	v_pk_fma_f16 v149, v101, v71, v149 op_sel_hi:[1,0,1]
	v_pk_fma_f16 v150, v101, v71, v150 op_sel:[0,1,0]
	ds_load_b128 v[68:71], v142 offset:400
	s_waitcnt lgkmcnt(4)
	v_pk_fma_f16 v151, v101, v72, v151 op_sel_hi:[1,0,1]
	v_pk_fma_f16 v111, v101, v72, v111 op_sel:[0,1,0]
	v_pk_fma_f16 v114, v101, v73, v114 op_sel_hi:[1,0,1]
	v_pk_fma_f16 v118, v101, v73, v118 op_sel:[0,1,0]
	v_pk_fma_f16 v122, v101, v74, v122 op_sel_hi:[1,0,1]
	v_pk_fma_f16 v106, v101, v74, v106 op_sel:[0,1,0]
	v_pk_fma_f16 v126, v101, v75, v126 op_sel_hi:[1,0,1]
	v_pk_fma_f16 v152, v101, v75, v100 op_sel:[0,1,0]
	ds_load_b128 v[72:75], v142 offset:1424
	s_waitcnt lgkmcnt(3)
	v_pk_fma_f16 v104, v102, v76, v104 op_sel_hi:[1,0,1]
	v_pk_fma_f16 v105, v102, v76, v105 op_sel:[0,1,0]
	v_pk_fma_f16 v107, v102, v77, v107 op_sel_hi:[1,0,1]
	v_pk_fma_f16 v109, v102, v77, v109 op_sel:[0,1,0]
	v_pk_fma_f16 v110, v102, v78, v110 op_sel_hi:[1,0,1]
	v_pk_fma_f16 v127, v102, v78, v127 op_sel:[0,1,0]
	v_pk_fma_f16 v149, v102, v79, v149 op_sel_hi:[1,0,1]
	v_pk_fma_f16 v150, v102, v79, v150 op_sel:[0,1,0]
	s_waitcnt lgkmcnt(2)
	v_pk_fma_f16 v151, v102, v64, v151 op_sel_hi:[1,0,1]
	v_pk_fma_f16 v111, v102, v64, v111 op_sel:[0,1,0]
	v_pk_fma_f16 v114, v102, v65, v114 op_sel_hi:[1,0,1]
	v_pk_fma_f16 v118, v102, v65, v118 op_sel:[0,1,0]
	v_pk_fma_f16 v122, v102, v66, v122 op_sel_hi:[1,0,1]
	v_pk_fma_f16 v106, v102, v66, v106 op_sel:[0,1,0]
	v_pk_fma_f16 v126, v102, v67, v126 op_sel_hi:[1,0,1]
	ds_load_2addr_b32 v[100:101], v153 offset0:64 offset1:96
	ds_load_b128 v[76:79], v142 offset:416
	v_pk_fma_f16 v102, v102, v67, v152 op_sel:[0,1,0]
	ds_load_b128 v[64:67], v142 offset:1440
	s_waitcnt lgkmcnt(4)
	v_pk_fma_f16 v104, v103, v68, v104 op_sel_hi:[1,0,1]
	v_pk_fma_f16 v105, v103, v68, v105 op_sel:[0,1,0]
	v_pk_fma_f16 v107, v103, v69, v107 op_sel_hi:[1,0,1]
	v_pk_fma_f16 v109, v103, v69, v109 op_sel:[0,1,0]
	v_pk_fma_f16 v110, v103, v70, v110 op_sel_hi:[1,0,1]
	v_pk_fma_f16 v127, v103, v70, v127 op_sel:[0,1,0]
	v_pk_fma_f16 v149, v103, v71, v149 op_sel_hi:[1,0,1]
	v_pk_fma_f16 v150, v103, v71, v150 op_sel:[0,1,0]
	ds_load_b128 v[68:71], v142 offset:432
	s_waitcnt lgkmcnt(4)
	v_pk_fma_f16 v151, v103, v72, v151 op_sel_hi:[1,0,1]
	v_pk_fma_f16 v111, v103, v72, v111 op_sel:[0,1,0]
	v_pk_fma_f16 v114, v103, v73, v114 op_sel_hi:[1,0,1]
	v_pk_fma_f16 v118, v103, v73, v118 op_sel:[0,1,0]
	v_pk_fma_f16 v122, v103, v74, v122 op_sel_hi:[1,0,1]
	v_pk_fma_f16 v106, v103, v74, v106 op_sel:[0,1,0]
	v_pk_fma_f16 v126, v103, v75, v126 op_sel_hi:[1,0,1]
	v_pk_fma_f16 v152, v103, v75, v102 op_sel:[0,1,0]
	ds_load_b128 v[72:75], v142 offset:1456
	s_waitcnt lgkmcnt(3)
	v_pk_fma_f16 v104, v100, v76, v104 op_sel_hi:[1,0,1]
	v_pk_fma_f16 v105, v100, v76, v105 op_sel:[0,1,0]
	v_pk_fma_f16 v107, v100, v77, v107 op_sel_hi:[1,0,1]
	v_pk_fma_f16 v109, v100, v77, v109 op_sel:[0,1,0]
	v_pk_fma_f16 v110, v100, v78, v110 op_sel_hi:[1,0,1]
	v_pk_fma_f16 v127, v100, v78, v127 op_sel:[0,1,0]
	v_pk_fma_f16 v149, v100, v79, v149 op_sel_hi:[1,0,1]
	v_pk_fma_f16 v150, v100, v79, v150 op_sel:[0,1,0]
	s_waitcnt lgkmcnt(2)
	v_pk_fma_f16 v151, v100, v64, v151 op_sel_hi:[1,0,1]
	v_pk_fma_f16 v111, v100, v64, v111 op_sel:[0,1,0]
	v_pk_fma_f16 v114, v100, v65, v114 op_sel_hi:[1,0,1]
	v_pk_fma_f16 v118, v100, v65, v118 op_sel:[0,1,0]
	v_pk_fma_f16 v122, v100, v66, v122 op_sel_hi:[1,0,1]
	v_pk_fma_f16 v106, v100, v66, v106 op_sel:[0,1,0]
	v_pk_fma_f16 v126, v100, v67, v126 op_sel_hi:[1,0,1]
	ds_load_2addr_b32 v[102:103], v153 offset0:128 offset1:160
	;; [unrolled: 41-line block ×3, first 2 shown]
	ds_load_b128 v[76:79], v142 offset:480
	v_pk_fma_f16 v102, v102, v67, v152 op_sel:[0,1,0]
	ds_load_b128 v[64:67], v142 offset:1504
	s_waitcnt lgkmcnt(4)
	v_pk_fma_f16 v104, v103, v68, v104 op_sel_hi:[1,0,1]
	v_pk_fma_f16 v105, v103, v68, v105 op_sel:[0,1,0]
	v_pk_fma_f16 v107, v103, v69, v107 op_sel_hi:[1,0,1]
	v_pk_fma_f16 v109, v103, v69, v109 op_sel:[0,1,0]
	;; [unrolled: 2-line block ×4, first 2 shown]
	ds_load_b128 v[68:71], v142 offset:496
	s_waitcnt lgkmcnt(4)
	v_pk_fma_f16 v151, v103, v72, v151 op_sel_hi:[1,0,1]
	v_pk_fma_f16 v111, v103, v72, v111 op_sel:[0,1,0]
	v_pk_fma_f16 v114, v103, v73, v114 op_sel_hi:[1,0,1]
	v_pk_fma_f16 v118, v103, v73, v118 op_sel:[0,1,0]
	;; [unrolled: 2-line block ×4, first 2 shown]
	ds_load_b128 v[72:75], v142 offset:1520
	v_add_nc_u32_e32 v153, 0x1000, v99
	s_waitcnt lgkmcnt(3)
	v_pk_fma_f16 v104, v100, v76, v104 op_sel_hi:[1,0,1]
	v_pk_fma_f16 v105, v100, v76, v105 op_sel:[0,1,0]
	v_pk_fma_f16 v107, v100, v77, v107 op_sel_hi:[1,0,1]
	v_pk_fma_f16 v109, v100, v77, v109 op_sel:[0,1,0]
	;; [unrolled: 2-line block ×4, first 2 shown]
	s_waitcnt lgkmcnt(2)
	v_pk_fma_f16 v151, v100, v64, v151 op_sel_hi:[1,0,1]
	v_pk_fma_f16 v111, v100, v64, v111 op_sel:[0,1,0]
	v_pk_fma_f16 v114, v100, v65, v114 op_sel_hi:[1,0,1]
	v_pk_fma_f16 v118, v100, v65, v118 op_sel:[0,1,0]
	;; [unrolled: 2-line block ×3, first 2 shown]
	v_pk_fma_f16 v126, v100, v67, v126 op_sel_hi:[1,0,1]
	ds_load_2addr_b32 v[102:103], v153 offset1:32
	ds_load_b128 v[76:79], v142 offset:512
	v_pk_fma_f16 v100, v100, v67, v152 op_sel:[0,1,0]
	ds_load_b128 v[64:67], v142 offset:1536
	s_waitcnt lgkmcnt(4)
	v_pk_fma_f16 v104, v101, v68, v104 op_sel_hi:[1,0,1]
	v_pk_fma_f16 v105, v101, v68, v105 op_sel:[0,1,0]
	v_pk_fma_f16 v107, v101, v69, v107 op_sel_hi:[1,0,1]
	v_pk_fma_f16 v109, v101, v69, v109 op_sel:[0,1,0]
	v_pk_fma_f16 v110, v101, v70, v110 op_sel_hi:[1,0,1]
	v_pk_fma_f16 v127, v101, v70, v127 op_sel:[0,1,0]
	v_pk_fma_f16 v149, v101, v71, v149 op_sel_hi:[1,0,1]
	v_pk_fma_f16 v150, v101, v71, v150 op_sel:[0,1,0]
	ds_load_b128 v[68:71], v142 offset:528
	s_waitcnt lgkmcnt(4)
	v_pk_fma_f16 v151, v101, v72, v151 op_sel_hi:[1,0,1]
	v_pk_fma_f16 v111, v101, v72, v111 op_sel:[0,1,0]
	v_pk_fma_f16 v114, v101, v73, v114 op_sel_hi:[1,0,1]
	v_pk_fma_f16 v118, v101, v73, v118 op_sel:[0,1,0]
	v_pk_fma_f16 v122, v101, v74, v122 op_sel_hi:[1,0,1]
	v_pk_fma_f16 v106, v101, v74, v106 op_sel:[0,1,0]
	v_pk_fma_f16 v126, v101, v75, v126 op_sel_hi:[1,0,1]
	v_pk_fma_f16 v152, v101, v75, v100 op_sel:[0,1,0]
	ds_load_b128 v[72:75], v142 offset:1552
	s_waitcnt lgkmcnt(3)
	v_pk_fma_f16 v104, v102, v76, v104 op_sel_hi:[1,0,1]
	v_pk_fma_f16 v105, v102, v76, v105 op_sel:[0,1,0]
	v_pk_fma_f16 v107, v102, v77, v107 op_sel_hi:[1,0,1]
	v_pk_fma_f16 v109, v102, v77, v109 op_sel:[0,1,0]
	v_pk_fma_f16 v110, v102, v78, v110 op_sel_hi:[1,0,1]
	v_pk_fma_f16 v127, v102, v78, v127 op_sel:[0,1,0]
	v_pk_fma_f16 v149, v102, v79, v149 op_sel_hi:[1,0,1]
	v_pk_fma_f16 v150, v102, v79, v150 op_sel:[0,1,0]
	s_waitcnt lgkmcnt(2)
	v_pk_fma_f16 v151, v102, v64, v151 op_sel_hi:[1,0,1]
	v_pk_fma_f16 v111, v102, v64, v111 op_sel:[0,1,0]
	v_pk_fma_f16 v114, v102, v65, v114 op_sel_hi:[1,0,1]
	v_pk_fma_f16 v118, v102, v65, v118 op_sel:[0,1,0]
	v_pk_fma_f16 v122, v102, v66, v122 op_sel_hi:[1,0,1]
	v_pk_fma_f16 v106, v102, v66, v106 op_sel:[0,1,0]
	v_pk_fma_f16 v126, v102, v67, v126 op_sel_hi:[1,0,1]
	ds_load_2addr_b32 v[100:101], v153 offset0:64 offset1:96
	ds_load_b128 v[76:79], v142 offset:544
	v_pk_fma_f16 v102, v102, v67, v152 op_sel:[0,1,0]
	ds_load_b128 v[64:67], v142 offset:1568
	s_waitcnt lgkmcnt(4)
	v_pk_fma_f16 v104, v103, v68, v104 op_sel_hi:[1,0,1]
	v_pk_fma_f16 v105, v103, v68, v105 op_sel:[0,1,0]
	v_pk_fma_f16 v107, v103, v69, v107 op_sel_hi:[1,0,1]
	v_pk_fma_f16 v109, v103, v69, v109 op_sel:[0,1,0]
	v_pk_fma_f16 v110, v103, v70, v110 op_sel_hi:[1,0,1]
	v_pk_fma_f16 v127, v103, v70, v127 op_sel:[0,1,0]
	v_pk_fma_f16 v149, v103, v71, v149 op_sel_hi:[1,0,1]
	v_pk_fma_f16 v150, v103, v71, v150 op_sel:[0,1,0]
	ds_load_b128 v[68:71], v142 offset:560
	s_waitcnt lgkmcnt(4)
	v_pk_fma_f16 v151, v103, v72, v151 op_sel_hi:[1,0,1]
	v_pk_fma_f16 v111, v103, v72, v111 op_sel:[0,1,0]
	v_pk_fma_f16 v114, v103, v73, v114 op_sel_hi:[1,0,1]
	v_pk_fma_f16 v118, v103, v73, v118 op_sel:[0,1,0]
	v_pk_fma_f16 v122, v103, v74, v122 op_sel_hi:[1,0,1]
	v_pk_fma_f16 v106, v103, v74, v106 op_sel:[0,1,0]
	v_pk_fma_f16 v126, v103, v75, v126 op_sel_hi:[1,0,1]
	v_pk_fma_f16 v152, v103, v75, v102 op_sel:[0,1,0]
	ds_load_b128 v[72:75], v142 offset:1584
	s_waitcnt lgkmcnt(3)
	v_pk_fma_f16 v104, v100, v76, v104 op_sel_hi:[1,0,1]
	v_pk_fma_f16 v105, v100, v76, v105 op_sel:[0,1,0]
	v_pk_fma_f16 v107, v100, v77, v107 op_sel_hi:[1,0,1]
	v_pk_fma_f16 v109, v100, v77, v109 op_sel:[0,1,0]
	v_pk_fma_f16 v110, v100, v78, v110 op_sel_hi:[1,0,1]
	v_pk_fma_f16 v127, v100, v78, v127 op_sel:[0,1,0]
	v_pk_fma_f16 v149, v100, v79, v149 op_sel_hi:[1,0,1]
	v_pk_fma_f16 v150, v100, v79, v150 op_sel:[0,1,0]
	s_waitcnt lgkmcnt(2)
	v_pk_fma_f16 v151, v100, v64, v151 op_sel_hi:[1,0,1]
	v_pk_fma_f16 v111, v100, v64, v111 op_sel:[0,1,0]
	v_pk_fma_f16 v114, v100, v65, v114 op_sel_hi:[1,0,1]
	v_pk_fma_f16 v118, v100, v65, v118 op_sel:[0,1,0]
	v_pk_fma_f16 v122, v100, v66, v122 op_sel_hi:[1,0,1]
	v_pk_fma_f16 v106, v100, v66, v106 op_sel:[0,1,0]
	v_pk_fma_f16 v126, v100, v67, v126 op_sel_hi:[1,0,1]
	ds_load_2addr_b32 v[102:103], v153 offset0:128 offset1:160
	;; [unrolled: 41-line block ×3, first 2 shown]
	ds_load_b128 v[76:79], v142 offset:608
	v_pk_fma_f16 v102, v102, v67, v152 op_sel:[0,1,0]
	ds_load_b128 v[64:67], v142 offset:1632
	s_waitcnt lgkmcnt(4)
	v_pk_fma_f16 v104, v103, v68, v104 op_sel_hi:[1,0,1]
	v_pk_fma_f16 v105, v103, v68, v105 op_sel:[0,1,0]
	v_pk_fma_f16 v107, v103, v69, v107 op_sel_hi:[1,0,1]
	v_pk_fma_f16 v109, v103, v69, v109 op_sel:[0,1,0]
	;; [unrolled: 2-line block ×4, first 2 shown]
	ds_load_b128 v[68:71], v142 offset:624
	s_waitcnt lgkmcnt(4)
	v_pk_fma_f16 v151, v103, v72, v151 op_sel_hi:[1,0,1]
	v_pk_fma_f16 v111, v103, v72, v111 op_sel:[0,1,0]
	v_pk_fma_f16 v114, v103, v73, v114 op_sel_hi:[1,0,1]
	v_pk_fma_f16 v118, v103, v73, v118 op_sel:[0,1,0]
	;; [unrolled: 2-line block ×4, first 2 shown]
	ds_load_b128 v[72:75], v142 offset:1648
	v_add_nc_u32_e32 v153, 0x1400, v99
	s_waitcnt lgkmcnt(3)
	v_pk_fma_f16 v104, v100, v76, v104 op_sel_hi:[1,0,1]
	v_pk_fma_f16 v105, v100, v76, v105 op_sel:[0,1,0]
	v_pk_fma_f16 v107, v100, v77, v107 op_sel_hi:[1,0,1]
	v_pk_fma_f16 v109, v100, v77, v109 op_sel:[0,1,0]
	;; [unrolled: 2-line block ×4, first 2 shown]
	s_waitcnt lgkmcnt(2)
	v_pk_fma_f16 v151, v100, v64, v151 op_sel_hi:[1,0,1]
	v_pk_fma_f16 v111, v100, v64, v111 op_sel:[0,1,0]
	v_pk_fma_f16 v114, v100, v65, v114 op_sel_hi:[1,0,1]
	v_pk_fma_f16 v118, v100, v65, v118 op_sel:[0,1,0]
	;; [unrolled: 2-line block ×3, first 2 shown]
	v_pk_fma_f16 v126, v100, v67, v126 op_sel_hi:[1,0,1]
	ds_load_2addr_b32 v[102:103], v153 offset1:32
	ds_load_b128 v[76:79], v142 offset:640
	v_pk_fma_f16 v100, v100, v67, v152 op_sel:[0,1,0]
	ds_load_b128 v[64:67], v142 offset:1664
	s_waitcnt lgkmcnt(4)
	v_pk_fma_f16 v104, v101, v68, v104 op_sel_hi:[1,0,1]
	v_pk_fma_f16 v105, v101, v68, v105 op_sel:[0,1,0]
	v_pk_fma_f16 v107, v101, v69, v107 op_sel_hi:[1,0,1]
	v_pk_fma_f16 v109, v101, v69, v109 op_sel:[0,1,0]
	v_pk_fma_f16 v110, v101, v70, v110 op_sel_hi:[1,0,1]
	v_pk_fma_f16 v127, v101, v70, v127 op_sel:[0,1,0]
	v_pk_fma_f16 v149, v101, v71, v149 op_sel_hi:[1,0,1]
	v_pk_fma_f16 v150, v101, v71, v150 op_sel:[0,1,0]
	ds_load_b128 v[68:71], v142 offset:656
	s_waitcnt lgkmcnt(4)
	v_pk_fma_f16 v151, v101, v72, v151 op_sel_hi:[1,0,1]
	v_pk_fma_f16 v111, v101, v72, v111 op_sel:[0,1,0]
	v_pk_fma_f16 v114, v101, v73, v114 op_sel_hi:[1,0,1]
	v_pk_fma_f16 v118, v101, v73, v118 op_sel:[0,1,0]
	v_pk_fma_f16 v122, v101, v74, v122 op_sel_hi:[1,0,1]
	v_pk_fma_f16 v106, v101, v74, v106 op_sel:[0,1,0]
	v_pk_fma_f16 v126, v101, v75, v126 op_sel_hi:[1,0,1]
	v_pk_fma_f16 v152, v101, v75, v100 op_sel:[0,1,0]
	ds_load_b128 v[72:75], v142 offset:1680
	s_waitcnt lgkmcnt(3)
	v_pk_fma_f16 v104, v102, v76, v104 op_sel_hi:[1,0,1]
	v_pk_fma_f16 v105, v102, v76, v105 op_sel:[0,1,0]
	v_pk_fma_f16 v107, v102, v77, v107 op_sel_hi:[1,0,1]
	v_pk_fma_f16 v109, v102, v77, v109 op_sel:[0,1,0]
	v_pk_fma_f16 v110, v102, v78, v110 op_sel_hi:[1,0,1]
	v_pk_fma_f16 v127, v102, v78, v127 op_sel:[0,1,0]
	v_pk_fma_f16 v149, v102, v79, v149 op_sel_hi:[1,0,1]
	v_pk_fma_f16 v150, v102, v79, v150 op_sel:[0,1,0]
	s_waitcnt lgkmcnt(2)
	v_pk_fma_f16 v151, v102, v64, v151 op_sel_hi:[1,0,1]
	v_pk_fma_f16 v111, v102, v64, v111 op_sel:[0,1,0]
	v_pk_fma_f16 v114, v102, v65, v114 op_sel_hi:[1,0,1]
	v_pk_fma_f16 v118, v102, v65, v118 op_sel:[0,1,0]
	v_pk_fma_f16 v122, v102, v66, v122 op_sel_hi:[1,0,1]
	v_pk_fma_f16 v106, v102, v66, v106 op_sel:[0,1,0]
	v_pk_fma_f16 v126, v102, v67, v126 op_sel_hi:[1,0,1]
	ds_load_2addr_b32 v[100:101], v153 offset0:64 offset1:96
	ds_load_b128 v[76:79], v142 offset:672
	v_pk_fma_f16 v102, v102, v67, v152 op_sel:[0,1,0]
	ds_load_b128 v[64:67], v142 offset:1696
	s_waitcnt lgkmcnt(4)
	v_pk_fma_f16 v104, v103, v68, v104 op_sel_hi:[1,0,1]
	v_pk_fma_f16 v105, v103, v68, v105 op_sel:[0,1,0]
	v_pk_fma_f16 v107, v103, v69, v107 op_sel_hi:[1,0,1]
	v_pk_fma_f16 v109, v103, v69, v109 op_sel:[0,1,0]
	v_pk_fma_f16 v110, v103, v70, v110 op_sel_hi:[1,0,1]
	v_pk_fma_f16 v127, v103, v70, v127 op_sel:[0,1,0]
	v_pk_fma_f16 v149, v103, v71, v149 op_sel_hi:[1,0,1]
	v_pk_fma_f16 v150, v103, v71, v150 op_sel:[0,1,0]
	ds_load_b128 v[68:71], v142 offset:688
	s_waitcnt lgkmcnt(4)
	v_pk_fma_f16 v151, v103, v72, v151 op_sel_hi:[1,0,1]
	v_pk_fma_f16 v111, v103, v72, v111 op_sel:[0,1,0]
	v_pk_fma_f16 v114, v103, v73, v114 op_sel_hi:[1,0,1]
	v_pk_fma_f16 v118, v103, v73, v118 op_sel:[0,1,0]
	v_pk_fma_f16 v122, v103, v74, v122 op_sel_hi:[1,0,1]
	v_pk_fma_f16 v106, v103, v74, v106 op_sel:[0,1,0]
	v_pk_fma_f16 v126, v103, v75, v126 op_sel_hi:[1,0,1]
	v_pk_fma_f16 v152, v103, v75, v102 op_sel:[0,1,0]
	ds_load_b128 v[72:75], v142 offset:1712
	s_waitcnt lgkmcnt(3)
	v_pk_fma_f16 v104, v100, v76, v104 op_sel_hi:[1,0,1]
	v_pk_fma_f16 v105, v100, v76, v105 op_sel:[0,1,0]
	v_pk_fma_f16 v107, v100, v77, v107 op_sel_hi:[1,0,1]
	v_pk_fma_f16 v109, v100, v77, v109 op_sel:[0,1,0]
	v_pk_fma_f16 v110, v100, v78, v110 op_sel_hi:[1,0,1]
	v_pk_fma_f16 v127, v100, v78, v127 op_sel:[0,1,0]
	v_pk_fma_f16 v149, v100, v79, v149 op_sel_hi:[1,0,1]
	v_pk_fma_f16 v150, v100, v79, v150 op_sel:[0,1,0]
	s_waitcnt lgkmcnt(2)
	v_pk_fma_f16 v151, v100, v64, v151 op_sel_hi:[1,0,1]
	v_pk_fma_f16 v111, v100, v64, v111 op_sel:[0,1,0]
	v_pk_fma_f16 v114, v100, v65, v114 op_sel_hi:[1,0,1]
	v_pk_fma_f16 v118, v100, v65, v118 op_sel:[0,1,0]
	v_pk_fma_f16 v122, v100, v66, v122 op_sel_hi:[1,0,1]
	v_pk_fma_f16 v106, v100, v66, v106 op_sel:[0,1,0]
	v_pk_fma_f16 v126, v100, v67, v126 op_sel_hi:[1,0,1]
	ds_load_2addr_b32 v[102:103], v153 offset0:128 offset1:160
	;; [unrolled: 41-line block ×3, first 2 shown]
	ds_load_b128 v[76:79], v142 offset:736
	v_pk_fma_f16 v102, v102, v67, v152 op_sel:[0,1,0]
	ds_load_b128 v[64:67], v142 offset:1760
	s_waitcnt lgkmcnt(4)
	v_pk_fma_f16 v104, v103, v68, v104 op_sel_hi:[1,0,1]
	v_pk_fma_f16 v105, v103, v68, v105 op_sel:[0,1,0]
	v_pk_fma_f16 v107, v103, v69, v107 op_sel_hi:[1,0,1]
	v_pk_fma_f16 v109, v103, v69, v109 op_sel:[0,1,0]
	;; [unrolled: 2-line block ×4, first 2 shown]
	ds_load_b128 v[68:71], v142 offset:752
	s_waitcnt lgkmcnt(4)
	v_pk_fma_f16 v151, v103, v72, v151 op_sel_hi:[1,0,1]
	v_pk_fma_f16 v111, v103, v72, v111 op_sel:[0,1,0]
	v_pk_fma_f16 v114, v103, v73, v114 op_sel_hi:[1,0,1]
	v_pk_fma_f16 v118, v103, v73, v118 op_sel:[0,1,0]
	;; [unrolled: 2-line block ×4, first 2 shown]
	ds_load_b128 v[72:75], v142 offset:1776
	v_add_nc_u32_e32 v153, 0x1800, v99
	s_waitcnt lgkmcnt(3)
	v_pk_fma_f16 v104, v100, v76, v104 op_sel_hi:[1,0,1]
	v_pk_fma_f16 v105, v100, v76, v105 op_sel:[0,1,0]
	v_pk_fma_f16 v107, v100, v77, v107 op_sel_hi:[1,0,1]
	v_pk_fma_f16 v109, v100, v77, v109 op_sel:[0,1,0]
	;; [unrolled: 2-line block ×4, first 2 shown]
	s_waitcnt lgkmcnt(2)
	v_pk_fma_f16 v151, v100, v64, v151 op_sel_hi:[1,0,1]
	v_pk_fma_f16 v111, v100, v64, v111 op_sel:[0,1,0]
	v_pk_fma_f16 v114, v100, v65, v114 op_sel_hi:[1,0,1]
	v_pk_fma_f16 v118, v100, v65, v118 op_sel:[0,1,0]
	;; [unrolled: 2-line block ×3, first 2 shown]
	v_pk_fma_f16 v126, v100, v67, v126 op_sel_hi:[1,0,1]
	ds_load_2addr_b32 v[102:103], v153 offset1:32
	ds_load_b128 v[76:79], v142 offset:768
	v_pk_fma_f16 v100, v100, v67, v152 op_sel:[0,1,0]
	ds_load_b128 v[64:67], v142 offset:1792
	s_waitcnt lgkmcnt(4)
	v_pk_fma_f16 v104, v101, v68, v104 op_sel_hi:[1,0,1]
	v_pk_fma_f16 v105, v101, v68, v105 op_sel:[0,1,0]
	v_pk_fma_f16 v107, v101, v69, v107 op_sel_hi:[1,0,1]
	v_pk_fma_f16 v109, v101, v69, v109 op_sel:[0,1,0]
	v_pk_fma_f16 v110, v101, v70, v110 op_sel_hi:[1,0,1]
	v_pk_fma_f16 v127, v101, v70, v127 op_sel:[0,1,0]
	v_pk_fma_f16 v149, v101, v71, v149 op_sel_hi:[1,0,1]
	v_pk_fma_f16 v150, v101, v71, v150 op_sel:[0,1,0]
	ds_load_b128 v[68:71], v142 offset:784
	s_waitcnt lgkmcnt(4)
	v_pk_fma_f16 v151, v101, v72, v151 op_sel_hi:[1,0,1]
	v_pk_fma_f16 v111, v101, v72, v111 op_sel:[0,1,0]
	v_pk_fma_f16 v114, v101, v73, v114 op_sel_hi:[1,0,1]
	v_pk_fma_f16 v118, v101, v73, v118 op_sel:[0,1,0]
	v_pk_fma_f16 v122, v101, v74, v122 op_sel_hi:[1,0,1]
	v_pk_fma_f16 v106, v101, v74, v106 op_sel:[0,1,0]
	v_pk_fma_f16 v126, v101, v75, v126 op_sel_hi:[1,0,1]
	v_pk_fma_f16 v152, v101, v75, v100 op_sel:[0,1,0]
	ds_load_b128 v[72:75], v142 offset:1808
	s_waitcnt lgkmcnt(3)
	v_pk_fma_f16 v104, v102, v76, v104 op_sel_hi:[1,0,1]
	v_pk_fma_f16 v105, v102, v76, v105 op_sel:[0,1,0]
	v_pk_fma_f16 v107, v102, v77, v107 op_sel_hi:[1,0,1]
	v_pk_fma_f16 v109, v102, v77, v109 op_sel:[0,1,0]
	v_pk_fma_f16 v110, v102, v78, v110 op_sel_hi:[1,0,1]
	v_pk_fma_f16 v127, v102, v78, v127 op_sel:[0,1,0]
	v_pk_fma_f16 v149, v102, v79, v149 op_sel_hi:[1,0,1]
	v_pk_fma_f16 v150, v102, v79, v150 op_sel:[0,1,0]
	s_waitcnt lgkmcnt(2)
	v_pk_fma_f16 v151, v102, v64, v151 op_sel_hi:[1,0,1]
	v_pk_fma_f16 v111, v102, v64, v111 op_sel:[0,1,0]
	v_pk_fma_f16 v114, v102, v65, v114 op_sel_hi:[1,0,1]
	v_pk_fma_f16 v118, v102, v65, v118 op_sel:[0,1,0]
	v_pk_fma_f16 v122, v102, v66, v122 op_sel_hi:[1,0,1]
	v_pk_fma_f16 v106, v102, v66, v106 op_sel:[0,1,0]
	v_pk_fma_f16 v126, v102, v67, v126 op_sel_hi:[1,0,1]
	ds_load_2addr_b32 v[100:101], v153 offset0:64 offset1:96
	ds_load_b128 v[76:79], v142 offset:800
	v_pk_fma_f16 v102, v102, v67, v152 op_sel:[0,1,0]
	ds_load_b128 v[64:67], v142 offset:1824
	s_waitcnt lgkmcnt(4)
	v_pk_fma_f16 v104, v103, v68, v104 op_sel_hi:[1,0,1]
	v_pk_fma_f16 v105, v103, v68, v105 op_sel:[0,1,0]
	v_pk_fma_f16 v107, v103, v69, v107 op_sel_hi:[1,0,1]
	v_pk_fma_f16 v109, v103, v69, v109 op_sel:[0,1,0]
	v_pk_fma_f16 v110, v103, v70, v110 op_sel_hi:[1,0,1]
	v_pk_fma_f16 v127, v103, v70, v127 op_sel:[0,1,0]
	v_pk_fma_f16 v149, v103, v71, v149 op_sel_hi:[1,0,1]
	v_pk_fma_f16 v150, v103, v71, v150 op_sel:[0,1,0]
	ds_load_b128 v[68:71], v142 offset:816
	s_waitcnt lgkmcnt(4)
	v_pk_fma_f16 v151, v103, v72, v151 op_sel_hi:[1,0,1]
	v_pk_fma_f16 v111, v103, v72, v111 op_sel:[0,1,0]
	v_pk_fma_f16 v114, v103, v73, v114 op_sel_hi:[1,0,1]
	v_pk_fma_f16 v118, v103, v73, v118 op_sel:[0,1,0]
	v_pk_fma_f16 v122, v103, v74, v122 op_sel_hi:[1,0,1]
	v_pk_fma_f16 v106, v103, v74, v106 op_sel:[0,1,0]
	v_pk_fma_f16 v126, v103, v75, v126 op_sel_hi:[1,0,1]
	v_pk_fma_f16 v152, v103, v75, v102 op_sel:[0,1,0]
	ds_load_b128 v[72:75], v142 offset:1840
	s_waitcnt lgkmcnt(3)
	v_pk_fma_f16 v104, v100, v76, v104 op_sel_hi:[1,0,1]
	v_pk_fma_f16 v105, v100, v76, v105 op_sel:[0,1,0]
	v_pk_fma_f16 v107, v100, v77, v107 op_sel_hi:[1,0,1]
	v_pk_fma_f16 v109, v100, v77, v109 op_sel:[0,1,0]
	v_pk_fma_f16 v110, v100, v78, v110 op_sel_hi:[1,0,1]
	v_pk_fma_f16 v127, v100, v78, v127 op_sel:[0,1,0]
	v_pk_fma_f16 v149, v100, v79, v149 op_sel_hi:[1,0,1]
	v_pk_fma_f16 v150, v100, v79, v150 op_sel:[0,1,0]
	s_waitcnt lgkmcnt(2)
	v_pk_fma_f16 v151, v100, v64, v151 op_sel_hi:[1,0,1]
	v_pk_fma_f16 v111, v100, v64, v111 op_sel:[0,1,0]
	v_pk_fma_f16 v114, v100, v65, v114 op_sel_hi:[1,0,1]
	v_pk_fma_f16 v118, v100, v65, v118 op_sel:[0,1,0]
	v_pk_fma_f16 v122, v100, v66, v122 op_sel_hi:[1,0,1]
	v_pk_fma_f16 v106, v100, v66, v106 op_sel:[0,1,0]
	v_pk_fma_f16 v126, v100, v67, v126 op_sel_hi:[1,0,1]
	ds_load_2addr_b32 v[102:103], v153 offset0:128 offset1:160
	;; [unrolled: 41-line block ×3, first 2 shown]
	ds_load_b128 v[76:79], v142 offset:864
	v_pk_fma_f16 v102, v102, v67, v152 op_sel:[0,1,0]
	ds_load_b128 v[64:67], v142 offset:1888
	s_waitcnt lgkmcnt(4)
	v_pk_fma_f16 v104, v103, v68, v104 op_sel_hi:[1,0,1]
	v_pk_fma_f16 v105, v103, v68, v105 op_sel:[0,1,0]
	v_pk_fma_f16 v107, v103, v69, v107 op_sel_hi:[1,0,1]
	v_pk_fma_f16 v109, v103, v69, v109 op_sel:[0,1,0]
	v_pk_fma_f16 v110, v103, v70, v110 op_sel_hi:[1,0,1]
	v_pk_fma_f16 v127, v103, v70, v127 op_sel:[0,1,0]
	v_pk_fma_f16 v149, v103, v71, v149 op_sel_hi:[1,0,1]
	v_pk_fma_f16 v150, v103, v71, v150 op_sel:[0,1,0]
	ds_load_b128 v[68:71], v142 offset:880
	s_waitcnt lgkmcnt(4)
	v_pk_fma_f16 v151, v103, v72, v151 op_sel_hi:[1,0,1]
	v_pk_fma_f16 v111, v103, v72, v111 op_sel:[0,1,0]
	v_pk_fma_f16 v114, v103, v73, v114 op_sel_hi:[1,0,1]
	v_pk_fma_f16 v118, v103, v73, v118 op_sel:[0,1,0]
	;; [unrolled: 2-line block ×4, first 2 shown]
	ds_load_b128 v[72:75], v142 offset:1904
	v_add_nc_u32_e32 v153, 0x1c00, v99
	s_waitcnt lgkmcnt(3)
	v_pk_fma_f16 v104, v100, v76, v104 op_sel_hi:[1,0,1]
	v_pk_fma_f16 v105, v100, v76, v105 op_sel:[0,1,0]
	v_pk_fma_f16 v107, v100, v77, v107 op_sel_hi:[1,0,1]
	v_pk_fma_f16 v109, v100, v77, v109 op_sel:[0,1,0]
	;; [unrolled: 2-line block ×4, first 2 shown]
	s_waitcnt lgkmcnt(2)
	v_pk_fma_f16 v151, v100, v64, v151 op_sel_hi:[1,0,1]
	v_pk_fma_f16 v111, v100, v64, v111 op_sel:[0,1,0]
	v_pk_fma_f16 v114, v100, v65, v114 op_sel_hi:[1,0,1]
	v_pk_fma_f16 v118, v100, v65, v118 op_sel:[0,1,0]
	;; [unrolled: 2-line block ×3, first 2 shown]
	v_pk_fma_f16 v126, v100, v67, v126 op_sel_hi:[1,0,1]
	ds_load_2addr_b32 v[102:103], v153 offset1:32
	ds_load_b128 v[76:79], v142 offset:896
	v_pk_fma_f16 v100, v100, v67, v152 op_sel:[0,1,0]
	ds_load_b128 v[64:67], v142 offset:1920
	s_waitcnt lgkmcnt(4)
	v_pk_fma_f16 v104, v101, v68, v104 op_sel_hi:[1,0,1]
	v_pk_fma_f16 v105, v101, v68, v105 op_sel:[0,1,0]
	v_pk_fma_f16 v107, v101, v69, v107 op_sel_hi:[1,0,1]
	v_pk_fma_f16 v109, v101, v69, v109 op_sel:[0,1,0]
	v_pk_fma_f16 v110, v101, v70, v110 op_sel_hi:[1,0,1]
	v_pk_fma_f16 v127, v101, v70, v127 op_sel:[0,1,0]
	v_pk_fma_f16 v149, v101, v71, v149 op_sel_hi:[1,0,1]
	v_pk_fma_f16 v150, v101, v71, v150 op_sel:[0,1,0]
	ds_load_b128 v[68:71], v142 offset:912
	s_waitcnt lgkmcnt(4)
	v_pk_fma_f16 v151, v101, v72, v151 op_sel_hi:[1,0,1]
	v_pk_fma_f16 v111, v101, v72, v111 op_sel:[0,1,0]
	v_pk_fma_f16 v114, v101, v73, v114 op_sel_hi:[1,0,1]
	v_pk_fma_f16 v118, v101, v73, v118 op_sel:[0,1,0]
	v_pk_fma_f16 v122, v101, v74, v122 op_sel_hi:[1,0,1]
	v_pk_fma_f16 v106, v101, v74, v106 op_sel:[0,1,0]
	v_pk_fma_f16 v126, v101, v75, v126 op_sel_hi:[1,0,1]
	;; [unrolled: 10-line block ×3, first 2 shown]
	v_pk_fma_f16 v150, v102, v79, v150 op_sel:[0,1,0]
	s_waitcnt lgkmcnt(2)
	v_pk_fma_f16 v151, v102, v64, v151 op_sel_hi:[1,0,1]
	v_pk_fma_f16 v111, v102, v64, v111 op_sel:[0,1,0]
	v_pk_fma_f16 v114, v102, v65, v114 op_sel_hi:[1,0,1]
	v_pk_fma_f16 v118, v102, v65, v118 op_sel:[0,1,0]
	;; [unrolled: 2-line block ×3, first 2 shown]
	v_pk_fma_f16 v126, v102, v67, v126 op_sel_hi:[1,0,1]
	ds_load_2addr_b32 v[100:101], v153 offset0:64 offset1:96
	ds_load_b128 v[76:79], v142 offset:928
	v_pk_fma_f16 v102, v102, v67, v152 op_sel:[0,1,0]
	ds_load_b128 v[64:67], v142 offset:1952
	s_waitcnt lgkmcnt(4)
	v_pk_fma_f16 v104, v103, v68, v104 op_sel_hi:[1,0,1]
	v_pk_fma_f16 v105, v103, v68, v105 op_sel:[0,1,0]
	v_pk_fma_f16 v107, v103, v69, v107 op_sel_hi:[1,0,1]
	v_pk_fma_f16 v109, v103, v69, v109 op_sel:[0,1,0]
	v_pk_fma_f16 v110, v103, v70, v110 op_sel_hi:[1,0,1]
	v_pk_fma_f16 v127, v103, v70, v127 op_sel:[0,1,0]
	v_pk_fma_f16 v149, v103, v71, v149 op_sel_hi:[1,0,1]
	v_pk_fma_f16 v150, v103, v71, v150 op_sel:[0,1,0]
	ds_load_b128 v[68:71], v142 offset:944
	s_waitcnt lgkmcnt(4)
	v_pk_fma_f16 v151, v103, v72, v151 op_sel_hi:[1,0,1]
	v_pk_fma_f16 v111, v103, v72, v111 op_sel:[0,1,0]
	v_pk_fma_f16 v114, v103, v73, v114 op_sel_hi:[1,0,1]
	v_pk_fma_f16 v118, v103, v73, v118 op_sel:[0,1,0]
	v_pk_fma_f16 v122, v103, v74, v122 op_sel_hi:[1,0,1]
	v_pk_fma_f16 v106, v103, v74, v106 op_sel:[0,1,0]
	v_pk_fma_f16 v126, v103, v75, v126 op_sel_hi:[1,0,1]
	;; [unrolled: 10-line block ×3, first 2 shown]
	v_pk_fma_f16 v150, v100, v79, v150 op_sel:[0,1,0]
	s_waitcnt lgkmcnt(2)
	v_pk_fma_f16 v151, v100, v64, v151 op_sel_hi:[1,0,1]
	v_pk_fma_f16 v111, v100, v64, v111 op_sel:[0,1,0]
	v_pk_fma_f16 v114, v100, v65, v114 op_sel_hi:[1,0,1]
	v_pk_fma_f16 v118, v100, v65, v118 op_sel:[0,1,0]
	;; [unrolled: 2-line block ×3, first 2 shown]
	v_pk_fma_f16 v126, v100, v67, v126 op_sel_hi:[1,0,1]
	ds_load_2addr_b32 v[102:103], v153 offset0:128 offset1:160
	ds_load_b128 v[76:79], v142 offset:960
	v_pk_fma_f16 v100, v100, v67, v152 op_sel:[0,1,0]
	ds_load_b128 v[64:67], v142 offset:1984
	s_waitcnt lgkmcnt(4)
	v_pk_fma_f16 v104, v101, v68, v104 op_sel_hi:[1,0,1]
	v_pk_fma_f16 v105, v101, v68, v105 op_sel:[0,1,0]
	v_pk_fma_f16 v107, v101, v69, v107 op_sel_hi:[1,0,1]
	v_pk_fma_f16 v109, v101, v69, v109 op_sel:[0,1,0]
	v_pk_fma_f16 v110, v101, v70, v110 op_sel_hi:[1,0,1]
	v_pk_fma_f16 v127, v101, v70, v127 op_sel:[0,1,0]
	v_pk_fma_f16 v149, v101, v71, v149 op_sel_hi:[1,0,1]
	v_pk_fma_f16 v150, v101, v71, v150 op_sel:[0,1,0]
	ds_load_b128 v[68:71], v142 offset:976
	s_waitcnt lgkmcnt(4)
	v_pk_fma_f16 v151, v101, v72, v151 op_sel_hi:[1,0,1]
	v_pk_fma_f16 v111, v101, v72, v111 op_sel:[0,1,0]
	v_pk_fma_f16 v114, v101, v73, v114 op_sel_hi:[1,0,1]
	v_pk_fma_f16 v118, v101, v73, v118 op_sel:[0,1,0]
	v_pk_fma_f16 v122, v101, v74, v122 op_sel_hi:[1,0,1]
	v_pk_fma_f16 v106, v101, v74, v106 op_sel:[0,1,0]
	v_pk_fma_f16 v126, v101, v75, v126 op_sel_hi:[1,0,1]
	;; [unrolled: 10-line block ×3, first 2 shown]
	v_pk_fma_f16 v152, v102, v79, v150 op_sel:[0,1,0]
	s_waitcnt lgkmcnt(2)
	v_pk_fma_f16 v151, v102, v64, v151 op_sel_hi:[1,0,1]
	v_pk_fma_f16 v111, v102, v64, v111 op_sel:[0,1,0]
	v_pk_fma_f16 v114, v102, v65, v114 op_sel_hi:[1,0,1]
	v_pk_fma_f16 v118, v102, v65, v118 op_sel:[0,1,0]
	;; [unrolled: 2-line block ×4, first 2 shown]
	ds_load_2addr_b32 v[149:150], v153 offset0:192 offset1:224
	ds_load_b128 v[76:79], v142 offset:992
	ds_load_b128 v[64:67], v142 offset:2016
	s_waitcnt lgkmcnt(4)
	v_pk_fma_f16 v101, v103, v68, v101 op_sel_hi:[1,0,1]
	v_pk_fma_f16 v102, v103, v68, v104 op_sel:[0,1,0]
	v_pk_fma_f16 v104, v103, v69, v105 op_sel_hi:[1,0,1]
	v_pk_fma_f16 v105, v103, v69, v107 op_sel:[0,1,0]
	;; [unrolled: 2-line block ×4, first 2 shown]
	ds_load_b128 v[68:71], v142 offset:1008
	s_waitcnt lgkmcnt(4)
	v_pk_fma_f16 v151, v103, v72, v151 op_sel_hi:[1,0,1]
	v_pk_fma_f16 v111, v103, v72, v111 op_sel:[0,1,0]
	v_pk_fma_f16 v114, v103, v73, v114 op_sel_hi:[1,0,1]
	v_pk_fma_f16 v118, v103, v73, v118 op_sel:[0,1,0]
	;; [unrolled: 2-line block ×4, first 2 shown]
	ds_load_b128 v[72:75], v142 offset:2032
	s_waitcnt lgkmcnt(0)
	s_barrier
	buffer_gl0_inv
	s_load_b32 s20, s[2:3], 0x4
	v_pk_fma_f16 v101, v149, v76, v101 op_sel_hi:[1,0,1]
	v_pk_fma_f16 v76, v149, v76, v102 op_sel:[0,1,0]
	v_pk_fma_f16 v102, v149, v77, v104 op_sel_hi:[1,0,1]
	v_pk_fma_f16 v77, v149, v77, v105 op_sel:[0,1,0]
	;; [unrolled: 2-line block ×9, first 2 shown]
	v_pk_fma_f16 v122, v150, v69, v102 op_sel_hi:[1,0,1]
	s_waitcnt lgkmcnt(0)
	s_lshl_b32 s20, s20, 6
	v_pk_fma_f16 v118, v150, v69, v77 op_sel:[0,1,0]
	v_pk_fma_f16 v114, v150, v70, v103 op_sel_hi:[1,0,1]
	v_pk_fma_f16 v111, v150, v70, v78 op_sel:[0,1,0]
	v_pk_fma_f16 v110, v150, v71, v104 op_sel_hi:[1,0,1]
	;; [unrolled: 2-line block ×6, first 2 shown]
	v_pk_fma_f16 v100, v150, v75, v67 op_sel:[0,1,0]
	s_add_i32 s12, s20, s12
	s_delay_alu instid0(SALU_CYCLE_1)
	s_cmp_lt_i32 s12, s6
	s_cbranch_scc0 .LBB52_77
; %bb.74:                               ;   in Loop: Header=BB52_8 Depth=1
	v_dual_mov_b32 v179, v0 :: v_dual_mov_b32 v180, v1
	v_dual_mov_b32 v176, v2 :: v_dual_mov_b32 v175, v3
	v_dual_mov_b32 v172, v4 :: v_dual_mov_b32 v171, v5
	v_dual_mov_b32 v168, v6 :: v_dual_mov_b32 v167, v7
	v_dual_mov_b32 v164, v8 :: v_dual_mov_b32 v151, v15
	v_dual_mov_b32 v162, v9 :: v_dual_mov_b32 v177, v16
	v_dual_mov_b32 v160, v10 :: v_dual_mov_b32 v173, v19
	v_dual_mov_b32 v158, v11 :: v_dual_mov_b32 v169, v21
	v_dual_mov_b32 v156, v12 :: v_dual_mov_b32 v165, v23
	v_dual_mov_b32 v154, v13 :: v_dual_mov_b32 v163, v24
	v_dual_mov_b32 v152, v14 :: v_dual_mov_b32 v161, v25
	v_dual_mov_b32 v178, v17 :: v_dual_mov_b32 v159, v26
	v_dual_mov_b32 v174, v18 :: v_dual_mov_b32 v157, v27
	v_dual_mov_b32 v170, v20 :: v_dual_mov_b32 v153, v29
	v_dual_mov_b32 v166, v22 :: v_dual_mov_b32 v155, v28
	v_dual_mov_b32 v149, v30 :: v_dual_mov_b32 v150, v31
	s_branch .LBB52_8
.LBB52_75:
	s_mov_b32 s37, s36
	s_mov_b32 s38, s36
	s_mov_b32 s39, s36
	s_mov_b32 s40, s36
	s_mov_b32 s41, s36
	s_mov_b32 s42, s36
	s_mov_b32 s43, s36
	s_mov_b32 s44, s36
	s_mov_b32 s45, s36
	s_mov_b32 s46, s36
	s_mov_b32 s47, s36
	s_mov_b32 s48, s36
	s_mov_b32 s49, s36
	s_mov_b32 s50, s36
	s_mov_b32 s53, s52
	s_mov_b32 s54, s52
	s_mov_b32 s55, s52
	s_mov_b32 s56, s52
	s_mov_b32 s57, s52
	s_mov_b32 s58, s52
	s_mov_b32 s59, s52
	s_mov_b32 s60, s52
	s_mov_b32 s61, s52
	s_mov_b32 s62, s52
	s_mov_b32 s63, s52
	s_mov_b32 s64, s52
	s_mov_b32 s65, s52
	s_mov_b32 s66, s52
	s_mov_b32 s67, s52
	s_mov_b32 s51, s36
	v_dual_mov_b32 v0, s52 :: v_dual_mov_b32 v1, s53
	v_dual_mov_b32 v16, s36 :: v_dual_mov_b32 v17, s37
	;; [unrolled: 1-line block ×22, first 2 shown]
	v_mov_b32_e32 v104, 0
	v_mov_b32_e32 v102, 0
	;; [unrolled: 1-line block ×3, first 2 shown]
	v_lshlrev_b32_e32 v108, 1, v93
	s_cmp_gt_i32 s70, s12
	s_cbranch_scc0 .LBB52_78
.LBB52_76:
                                        ; implicit-def: $vgpr32
                                        ; implicit-def: $vgpr134
                                        ; implicit-def: $vgpr129
                                        ; implicit-def: $vgpr130
                                        ; implicit-def: $vgpr132
                                        ; implicit-def: $vgpr133
                                        ; implicit-def: $vgpr131
	s_branch .LBB52_79
.LBB52_77:
	v_or_b32_e32 v220, 13, v94
	v_or_b32_e32 v221, 12, v94
	;; [unrolled: 1-line block ×4, first 2 shown]
	v_lshlrev_b32_e32 v108, 1, v93
	s_cmp_gt_i32 s70, s12
	s_cbranch_scc1 .LBB52_76
.LBB52_78:
	v_mbcnt_lo_u32_b32 v32, -1, 0
	v_mov_b32_e32 v134, 32
	s_delay_alu instid0(VALU_DEP_2)
	v_xor_b32_e32 v129, 16, v32
	v_xor_b32_e32 v130, 8, v32
	v_xor_b32_e32 v132, 4, v32
	v_xor_b32_e32 v133, 2, v32
	v_xor_b32_e32 v131, 1, v32
	s_cbranch_execnz .LBB52_240
.LBB52_79:
	v_lshl_add_u32 v136, v48, 2, v49
	s_mov_b32 s36, 0
	s_mul_hi_i32 s3, s12, s23
	s_mul_i32 s2, s12, s23
	s_mov_b32 s37, s36
	v_mul_lo_u32 v39, s23, v136
	s_mov_b32 s38, s36
	v_and_b32_e32 v34, 28, v99
	s_lshl_b64 s[2:3], s[2:3], 2
	s_sub_i32 s18, s70, s12
	s_mov_b64 s[6:7], src_private_base
	s_add_u32 s2, s4, s2
	s_addc_u32 s6, s5, s3
	v_ashrrev_i32_e32 v40, 31, v39
	s_lshl_b32 s19, s23, 4
	v_dual_mov_b32 v36, s36 :: v_dual_mov_b32 v37, s37
	v_dual_mov_b32 v140, 0 :: v_dual_lshlrev_b32 v135, 2, v34
	s_delay_alu instid0(VALU_DEP_3)
	v_lshlrev_b64 v[32:33], 2, v[39:40]
	v_cmp_gt_i32_e64 s5, s18, v136
	v_dual_mov_b32 v38, s38 :: v_dual_add_nc_u32 v137, 16, v136
	v_add_nc_u32_e32 v39, s19, v39
	s_clause 0x1
	scratch_store_b32 off, v140, off
	scratch_store_b96 off, v[36:38], off offset:4
	v_add_co_u32 v32, vcc_lo, s2, v32
	v_add_co_ci_u32_e32 v33, vcc_lo, s6, v33, vcc_lo
	v_ashrrev_i32_e32 v40, 31, v39
	s_delay_alu instid0(VALU_DEP_3) | instskip(NEXT) | instid1(VALU_DEP_3)
	v_add_co_u32 v32, vcc_lo, v32, v135
	v_add_co_ci_u32_e32 v33, vcc_lo, 0, v33, vcc_lo
	s_delay_alu instid0(VALU_DEP_3) | instskip(NEXT) | instid1(VALU_DEP_3)
	v_lshlrev_b64 v[40:41], 2, v[39:40]
	v_cndmask_b32_e64 v32, 0, v32, s5
	v_cmp_gt_i32_e64 s4, s18, v137
	s_delay_alu instid0(VALU_DEP_4)
	v_cndmask_b32_e64 v33, s7, v33, s5
	v_mad_u32_u24 v42, 0x90, v136, v135
	v_dual_mov_b32 v162, 0 :: v_dual_add_nc_u32 v39, s19, v39
	v_add_co_u32 v40, vcc_lo, s2, v40
	flat_load_b128 v[32:35], v[32:33]
	v_add_co_ci_u32_e32 v41, vcc_lo, s6, v41, vcc_lo
	v_add_co_u32 v40, vcc_lo, v40, v135
	s_clause 0x1
	scratch_store_b32 off, v140, off
	scratch_store_b96 off, v[36:38], off offset:4
	v_add_co_ci_u32_e32 v41, vcc_lo, 0, v41, vcc_lo
	v_cndmask_b32_e64 v40, 0, v40, s4
	v_dual_mov_b32 v169, 0 :: v_dual_add_nc_u32 v138, 32, v136
	s_delay_alu instid0(VALU_DEP_3) | instskip(SKIP_1) | instid1(VALU_DEP_3)
	v_cndmask_b32_e64 v41, s7, v41, s4
	v_dual_mov_b32 v156, 0 :: v_dual_add_nc_u32 v139, 48, v136
	v_cmp_gt_i32_e64 s3, s18, v138
	v_dual_mov_b32 v167, 0 :: v_dual_mov_b32 v154, 0
	v_dual_mov_b32 v165, 0 :: v_dual_mov_b32 v152, 0
	;; [unrolled: 1-line block ×12, first 2 shown]
	v_mov_b32_e32 v147, 0
	v_mov_b32_e32 v145, 0
	;; [unrolled: 1-line block ×3, first 2 shown]
	s_cmp_lg_u64 s[68:69], 0
	v_mad_u64_u32 v[56:57], null, v123, s22, s[12:13]
	v_mov_b32_e32 v160, 0
	s_waitcnt vmcnt(0) lgkmcnt(0)
	ds_store_b128 v42, v[32:35]
	flat_load_b128 v[32:35], v[40:41]
	v_ashrrev_i32_e32 v40, 31, v39
	s_clause 0x1
	scratch_store_b32 off, v140, off
	scratch_store_b96 off, v[36:38], off offset:4
	v_lshlrev_b64 v[40:41], 2, v[39:40]
	v_add_nc_u32_e32 v39, s19, v39
	s_delay_alu instid0(VALU_DEP_2) | instskip(NEXT) | instid1(VALU_DEP_3)
	v_add_co_u32 v40, vcc_lo, s2, v40
	v_add_co_ci_u32_e32 v41, vcc_lo, s6, v41, vcc_lo
	s_delay_alu instid0(VALU_DEP_2) | instskip(NEXT) | instid1(VALU_DEP_2)
	v_add_co_u32 v40, vcc_lo, v40, v135
	v_add_co_ci_u32_e32 v41, vcc_lo, 0, v41, vcc_lo
	s_delay_alu instid0(VALU_DEP_2) | instskip(NEXT) | instid1(VALU_DEP_2)
	v_cndmask_b32_e64 v40, 0, v40, s3
	v_cndmask_b32_e64 v41, s7, v41, s3
	s_waitcnt vmcnt(0) lgkmcnt(0)
	ds_store_b128 v42, v[32:35] offset:2304
	flat_load_b128 v[32:35], v[40:41]
	v_ashrrev_i32_e32 v40, 31, v39
	s_clause 0x1
	scratch_store_b32 off, v140, off
	scratch_store_b96 off, v[36:38], off offset:4
	v_lshlrev_b64 v[39:40], 2, v[39:40]
	s_delay_alu instid0(VALU_DEP_1) | instskip(NEXT) | instid1(VALU_DEP_2)
	v_add_co_u32 v39, vcc_lo, s2, v39
	v_add_co_ci_u32_e32 v40, vcc_lo, s6, v40, vcc_lo
	v_cmp_gt_i32_e64 s2, s18, v139
	s_delay_alu instid0(VALU_DEP_3) | instskip(NEXT) | instid1(VALU_DEP_3)
	v_add_co_u32 v39, vcc_lo, v39, v135
	v_add_co_ci_u32_e32 v40, vcc_lo, 0, v40, vcc_lo
	v_cmp_gt_i32_e64 s6, s18, v93
	s_delay_alu instid0(VALU_DEP_3) | instskip(NEXT) | instid1(VALU_DEP_3)
	v_cndmask_b32_e64 v39, 0, v39, s2
	v_cndmask_b32_e64 v40, s7, v40, s2
	s_cselect_b32 s7, -1, 0
	s_waitcnt vmcnt(0) lgkmcnt(0)
	ds_store_b128 v42, v[32:35] offset:4608
	flat_load_b128 v[32:35], v[39:40]
	s_waitcnt vmcnt(0) lgkmcnt(0)
	ds_store_b128 v42, v[32:35] offset:6912
	s_waitcnt lgkmcnt(0)
	s_waitcnt_vscnt null, 0x0
	s_barrier
	buffer_gl0_inv
	ds_load_b128 v[32:35], v128
	ds_load_b128 v[36:39], v98 offset:17408
	ds_load_b128 v[40:43], v98 offset:17536
	ds_load_b128 v[44:47], v128 offset:4608
	ds_load_b128 v[48:51], v98 offset:17664
	ds_load_b128 v[52:55], v98 offset:17792
	ds_load_b128 v[64:67], v98 offset:17920
	ds_load_b128 v[68:71], v98 offset:18048
	ds_load_b128 v[72:75], v98 offset:18176
	ds_load_b128 v[76:79], v98 offset:18304
	ds_load_b128 v[129:132], v98 offset:18432
	ds_load_b128 v[172:175], v98 offset:18560
	ds_load_b128 v[176:179], v98 offset:18688
	ds_load_b128 v[180:183], v98 offset:18816
	ds_load_b128 v[184:187], v98 offset:18944
	ds_load_b128 v[188:191], v98 offset:19072
	ds_load_b128 v[192:195], v98 offset:19200
	ds_load_b128 v[196:199], v98 offset:19328
	s_waitcnt lgkmcnt(16)
	;;#ASMSTART
	v_dot2_f32_f16 v169, v32, v36, v169
	;;#ASMEND
	;;#ASMSTART
	v_dot2_f32_f16 v169, v33, v37, v169
	;;#ASMEND
	;;#ASMSTART
	v_dot2_f32_f16 v169, v34, v38, v169
	;;#ASMEND
	;;#ASMSTART
	v_dot2_f32_f16 v169, v35, v39, v169
	;;#ASMEND
	s_waitcnt lgkmcnt(15)
	;;#ASMSTART
	v_dot2_f32_f16 v167, v32, v40, v167
	;;#ASMEND
	;;#ASMSTART
	v_dot2_f32_f16 v167, v33, v41, v167
	;;#ASMEND
	;;#ASMSTART
	v_dot2_f32_f16 v167, v34, v42, v167
	;;#ASMEND
	;;#ASMSTART
	v_dot2_f32_f16 v167, v35, v43, v167
	;;#ASMEND
	;; [unrolled: 13-line block ×16, first 2 shown]
	;;#ASMSTART
	v_dot2_f32_f16 v171, v44, v36, v171
	;;#ASMEND
	;;#ASMSTART
	v_dot2_f32_f16 v171, v45, v37, v171
	;;#ASMEND
	;; [unrolled: 3-line block ×64, first 2 shown]
	ds_load_b128 v[32:35], v128 offset:16
	ds_load_b128 v[36:39], v98 offset:17424
	;; [unrolled: 1-line block ×18, first 2 shown]
	s_waitcnt lgkmcnt(16)
	;;#ASMSTART
	v_dot2_f32_f16 v169, v32, v36, v169
	;;#ASMEND
	;;#ASMSTART
	v_dot2_f32_f16 v169, v33, v37, v169
	;;#ASMEND
	;;#ASMSTART
	v_dot2_f32_f16 v169, v34, v38, v169
	;;#ASMEND
	;;#ASMSTART
	v_dot2_f32_f16 v169, v35, v39, v169
	;;#ASMEND
	s_waitcnt lgkmcnt(15)
	;;#ASMSTART
	v_dot2_f32_f16 v167, v32, v40, v167
	;;#ASMEND
	;;#ASMSTART
	v_dot2_f32_f16 v167, v33, v41, v167
	;;#ASMEND
	;;#ASMSTART
	v_dot2_f32_f16 v167, v34, v42, v167
	;;#ASMEND
	;;#ASMSTART
	v_dot2_f32_f16 v167, v35, v43, v167
	;;#ASMEND
	;; [unrolled: 13-line block ×16, first 2 shown]
	;;#ASMSTART
	v_dot2_f32_f16 v171, v44, v36, v171
	;;#ASMEND
	;;#ASMSTART
	v_dot2_f32_f16 v171, v45, v37, v171
	;;#ASMEND
	;; [unrolled: 3-line block ×64, first 2 shown]
	ds_load_b128 v[32:35], v128 offset:32
	ds_load_b128 v[36:39], v98 offset:17440
	;; [unrolled: 1-line block ×18, first 2 shown]
	s_waitcnt lgkmcnt(16)
	;;#ASMSTART
	v_dot2_f32_f16 v169, v32, v36, v169
	;;#ASMEND
	;;#ASMSTART
	v_dot2_f32_f16 v169, v33, v37, v169
	;;#ASMEND
	;;#ASMSTART
	v_dot2_f32_f16 v169, v34, v38, v169
	;;#ASMEND
	;;#ASMSTART
	v_dot2_f32_f16 v169, v35, v39, v169
	;;#ASMEND
	s_waitcnt lgkmcnt(15)
	;;#ASMSTART
	v_dot2_f32_f16 v167, v32, v40, v167
	;;#ASMEND
	;;#ASMSTART
	v_dot2_f32_f16 v167, v33, v41, v167
	;;#ASMEND
	;;#ASMSTART
	v_dot2_f32_f16 v167, v34, v42, v167
	;;#ASMEND
	;;#ASMSTART
	v_dot2_f32_f16 v167, v35, v43, v167
	;;#ASMEND
	;; [unrolled: 13-line block ×16, first 2 shown]
	;;#ASMSTART
	v_dot2_f32_f16 v171, v44, v36, v171
	;;#ASMEND
	;;#ASMSTART
	v_dot2_f32_f16 v171, v45, v37, v171
	;;#ASMEND
	;; [unrolled: 3-line block ×64, first 2 shown]
	ds_load_b128 v[32:35], v128 offset:48
	ds_load_b128 v[36:39], v98 offset:17456
	ds_load_b128 v[40:43], v98 offset:17584
	ds_load_b128 v[44:47], v128 offset:4656
	ds_load_b128 v[48:51], v98 offset:17712
	ds_load_b128 v[52:55], v98 offset:17840
	ds_load_b128 v[64:67], v98 offset:17968
	ds_load_b128 v[68:71], v98 offset:18096
	ds_load_b128 v[72:75], v98 offset:18224
	ds_load_b128 v[76:79], v98 offset:18352
	ds_load_b128 v[129:132], v98 offset:18480
	ds_load_b128 v[172:175], v98 offset:18608
	ds_load_b128 v[176:179], v98 offset:18736
	ds_load_b128 v[180:183], v98 offset:18864
	ds_load_b128 v[184:187], v98 offset:18992
	ds_load_b128 v[188:191], v98 offset:19120
	ds_load_b128 v[192:195], v98 offset:19248
	ds_load_b128 v[196:199], v98 offset:19376
	s_waitcnt lgkmcnt(16)
	;;#ASMSTART
	v_dot2_f32_f16 v169, v32, v36, v169
	;;#ASMEND
	;;#ASMSTART
	v_dot2_f32_f16 v169, v33, v37, v169
	;;#ASMEND
	;;#ASMSTART
	v_dot2_f32_f16 v169, v34, v38, v169
	;;#ASMEND
	;;#ASMSTART
	v_dot2_f32_f16 v169, v35, v39, v169
	;;#ASMEND
	s_waitcnt lgkmcnt(15)
	;;#ASMSTART
	v_dot2_f32_f16 v167, v32, v40, v167
	;;#ASMEND
	;;#ASMSTART
	v_dot2_f32_f16 v167, v33, v41, v167
	;;#ASMEND
	;;#ASMSTART
	v_dot2_f32_f16 v167, v34, v42, v167
	;;#ASMEND
	;;#ASMSTART
	v_dot2_f32_f16 v167, v35, v43, v167
	;;#ASMEND
	;; [unrolled: 13-line block ×16, first 2 shown]
	;;#ASMSTART
	v_dot2_f32_f16 v171, v44, v36, v171
	;;#ASMEND
	;;#ASMSTART
	v_dot2_f32_f16 v171, v45, v37, v171
	;;#ASMEND
	;; [unrolled: 3-line block ×64, first 2 shown]
	ds_load_b128 v[32:35], v128 offset:64
	ds_load_b128 v[36:39], v98 offset:17472
	;; [unrolled: 1-line block ×18, first 2 shown]
	s_waitcnt lgkmcnt(16)
	;;#ASMSTART
	v_dot2_f32_f16 v169, v32, v36, v169
	;;#ASMEND
	;;#ASMSTART
	v_dot2_f32_f16 v169, v33, v37, v169
	;;#ASMEND
	;;#ASMSTART
	v_dot2_f32_f16 v169, v34, v38, v169
	;;#ASMEND
	;;#ASMSTART
	v_dot2_f32_f16 v169, v35, v39, v169
	;;#ASMEND
	s_waitcnt lgkmcnt(15)
	;;#ASMSTART
	v_dot2_f32_f16 v167, v32, v40, v167
	;;#ASMEND
	;;#ASMSTART
	v_dot2_f32_f16 v167, v33, v41, v167
	;;#ASMEND
	;;#ASMSTART
	v_dot2_f32_f16 v167, v34, v42, v167
	;;#ASMEND
	;;#ASMSTART
	v_dot2_f32_f16 v167, v35, v43, v167
	;;#ASMEND
	;; [unrolled: 13-line block ×16, first 2 shown]
	;;#ASMSTART
	v_dot2_f32_f16 v171, v44, v36, v171
	;;#ASMEND
	;;#ASMSTART
	v_dot2_f32_f16 v171, v45, v37, v171
	;;#ASMEND
	;; [unrolled: 3-line block ×64, first 2 shown]
	ds_load_b128 v[32:35], v128 offset:80
	ds_load_b128 v[36:39], v98 offset:17488
	;; [unrolled: 1-line block ×18, first 2 shown]
	s_waitcnt lgkmcnt(16)
	;;#ASMSTART
	v_dot2_f32_f16 v169, v32, v36, v169
	;;#ASMEND
	;;#ASMSTART
	v_dot2_f32_f16 v169, v33, v37, v169
	;;#ASMEND
	;;#ASMSTART
	v_dot2_f32_f16 v169, v34, v38, v169
	;;#ASMEND
	;;#ASMSTART
	v_dot2_f32_f16 v169, v35, v39, v169
	;;#ASMEND
	s_waitcnt lgkmcnt(15)
	;;#ASMSTART
	v_dot2_f32_f16 v167, v32, v40, v167
	;;#ASMEND
	;;#ASMSTART
	v_dot2_f32_f16 v167, v33, v41, v167
	;;#ASMEND
	;;#ASMSTART
	v_dot2_f32_f16 v167, v34, v42, v167
	;;#ASMEND
	;;#ASMSTART
	v_dot2_f32_f16 v167, v35, v43, v167
	;;#ASMEND
	s_waitcnt lgkmcnt(13)
	;;#ASMSTART
	v_dot2_f32_f16 v165, v32, v48, v165
	;;#ASMEND
	;;#ASMSTART
	v_dot2_f32_f16 v165, v33, v49, v165
	;;#ASMEND
	;;#ASMSTART
	v_dot2_f32_f16 v165, v34, v50, v165
	;;#ASMEND
	;;#ASMSTART
	v_dot2_f32_f16 v165, v35, v51, v165
	;;#ASMEND
	s_waitcnt lgkmcnt(12)
	;;#ASMSTART
	v_dot2_f32_f16 v163, v32, v52, v163
	;;#ASMEND
	;;#ASMSTART
	v_dot2_f32_f16 v163, v33, v53, v163
	;;#ASMEND
	;;#ASMSTART
	v_dot2_f32_f16 v163, v34, v54, v163
	;;#ASMEND
	;;#ASMSTART
	v_dot2_f32_f16 v163, v35, v55, v163
	;;#ASMEND
	s_waitcnt lgkmcnt(11)
	;;#ASMSTART
	v_dot2_f32_f16 v162, v32, v64, v162
	;;#ASMEND
	;;#ASMSTART
	v_dot2_f32_f16 v162, v33, v65, v162
	;;#ASMEND
	;;#ASMSTART
	v_dot2_f32_f16 v162, v34, v66, v162
	;;#ASMEND
	;;#ASMSTART
	v_dot2_f32_f16 v162, v35, v67, v162
	;;#ASMEND
	s_waitcnt lgkmcnt(10)
	;;#ASMSTART
	v_dot2_f32_f16 v160, v32, v68, v160
	;;#ASMEND
	;;#ASMSTART
	v_dot2_f32_f16 v160, v33, v69, v160
	;;#ASMEND
	;;#ASMSTART
	v_dot2_f32_f16 v160, v34, v70, v160
	;;#ASMEND
	;;#ASMSTART
	v_dot2_f32_f16 v160, v35, v71, v160
	;;#ASMEND
	s_waitcnt lgkmcnt(9)
	;;#ASMSTART
	v_dot2_f32_f16 v157, v32, v72, v157
	;;#ASMEND
	;;#ASMSTART
	v_dot2_f32_f16 v157, v33, v73, v157
	;;#ASMEND
	;;#ASMSTART
	v_dot2_f32_f16 v157, v34, v74, v157
	;;#ASMEND
	;;#ASMSTART
	v_dot2_f32_f16 v157, v35, v75, v157
	;;#ASMEND
	s_waitcnt lgkmcnt(8)
	;;#ASMSTART
	v_dot2_f32_f16 v156, v32, v76, v156
	;;#ASMEND
	;;#ASMSTART
	v_dot2_f32_f16 v156, v33, v77, v156
	;;#ASMEND
	;;#ASMSTART
	v_dot2_f32_f16 v156, v34, v78, v156
	;;#ASMEND
	;;#ASMSTART
	v_dot2_f32_f16 v156, v35, v79, v156
	;;#ASMEND
	s_waitcnt lgkmcnt(7)
	;;#ASMSTART
	v_dot2_f32_f16 v154, v32, v129, v154
	;;#ASMEND
	;;#ASMSTART
	v_dot2_f32_f16 v154, v33, v130, v154
	;;#ASMEND
	;;#ASMSTART
	v_dot2_f32_f16 v154, v34, v131, v154
	;;#ASMEND
	;;#ASMSTART
	v_dot2_f32_f16 v154, v35, v132, v154
	;;#ASMEND
	s_waitcnt lgkmcnt(6)
	;;#ASMSTART
	v_dot2_f32_f16 v152, v32, v172, v152
	;;#ASMEND
	;;#ASMSTART
	v_dot2_f32_f16 v152, v33, v173, v152
	;;#ASMEND
	;;#ASMSTART
	v_dot2_f32_f16 v152, v34, v174, v152
	;;#ASMEND
	;;#ASMSTART
	v_dot2_f32_f16 v152, v35, v175, v152
	;;#ASMEND
	s_waitcnt lgkmcnt(5)
	;;#ASMSTART
	v_dot2_f32_f16 v150, v32, v176, v150
	;;#ASMEND
	;;#ASMSTART
	v_dot2_f32_f16 v150, v33, v177, v150
	;;#ASMEND
	;;#ASMSTART
	v_dot2_f32_f16 v150, v34, v178, v150
	;;#ASMEND
	;;#ASMSTART
	v_dot2_f32_f16 v150, v35, v179, v150
	;;#ASMEND
	s_waitcnt lgkmcnt(4)
	;;#ASMSTART
	v_dot2_f32_f16 v148, v32, v180, v148
	;;#ASMEND
	;;#ASMSTART
	v_dot2_f32_f16 v148, v33, v181, v148
	;;#ASMEND
	;;#ASMSTART
	v_dot2_f32_f16 v148, v34, v182, v148
	;;#ASMEND
	;;#ASMSTART
	v_dot2_f32_f16 v148, v35, v183, v148
	;;#ASMEND
	s_waitcnt lgkmcnt(3)
	;;#ASMSTART
	v_dot2_f32_f16 v146, v32, v184, v146
	;;#ASMEND
	;;#ASMSTART
	v_dot2_f32_f16 v146, v33, v185, v146
	;;#ASMEND
	;;#ASMSTART
	v_dot2_f32_f16 v146, v34, v186, v146
	;;#ASMEND
	;;#ASMSTART
	v_dot2_f32_f16 v146, v35, v187, v146
	;;#ASMEND
	s_waitcnt lgkmcnt(2)
	;;#ASMSTART
	v_dot2_f32_f16 v144, v32, v188, v144
	;;#ASMEND
	;;#ASMSTART
	v_dot2_f32_f16 v144, v33, v189, v144
	;;#ASMEND
	;;#ASMSTART
	v_dot2_f32_f16 v144, v34, v190, v144
	;;#ASMEND
	;;#ASMSTART
	v_dot2_f32_f16 v144, v35, v191, v144
	;;#ASMEND
	s_waitcnt lgkmcnt(1)
	;;#ASMSTART
	v_dot2_f32_f16 v142, v32, v192, v142
	;;#ASMEND
	;;#ASMSTART
	v_dot2_f32_f16 v142, v33, v193, v142
	;;#ASMEND
	;;#ASMSTART
	v_dot2_f32_f16 v142, v34, v194, v142
	;;#ASMEND
	;;#ASMSTART
	v_dot2_f32_f16 v142, v35, v195, v142
	;;#ASMEND
	s_waitcnt lgkmcnt(0)
	;;#ASMSTART
	v_dot2_f32_f16 v141, v32, v196, v141
	;;#ASMEND
	;;#ASMSTART
	v_dot2_f32_f16 v141, v33, v197, v141
	;;#ASMEND
	;;#ASMSTART
	v_dot2_f32_f16 v141, v34, v198, v141
	;;#ASMEND
	;;#ASMSTART
	v_dot2_f32_f16 v141, v35, v199, v141
	;;#ASMEND
	;;#ASMSTART
	v_dot2_f32_f16 v171, v44, v36, v171
	;;#ASMEND
	;;#ASMSTART
	v_dot2_f32_f16 v171, v45, v37, v171
	;;#ASMEND
	;; [unrolled: 3-line block ×64, first 2 shown]
	ds_load_b128 v[48:51], v128 offset:96
	ds_load_b128 v[52:55], v98 offset:17504
	;; [unrolled: 1-line block ×18, first 2 shown]
	s_waitcnt lgkmcnt(16)
	;;#ASMSTART
	v_dot2_f32_f16 v169, v48, v52, v169
	;;#ASMEND
	;;#ASMSTART
	v_dot2_f32_f16 v169, v49, v53, v169
	;;#ASMEND
	;;#ASMSTART
	v_dot2_f32_f16 v169, v50, v54, v169
	;;#ASMEND
	;;#ASMSTART
	v_dot2_f32_f16 v169, v51, v55, v169
	;;#ASMEND
	s_waitcnt lgkmcnt(15)
	;;#ASMSTART
	v_dot2_f32_f16 v167, v48, v64, v167
	;;#ASMEND
	;;#ASMSTART
	v_dot2_f32_f16 v167, v49, v65, v167
	;;#ASMEND
	;;#ASMSTART
	v_dot2_f32_f16 v167, v50, v66, v167
	;;#ASMEND
	;;#ASMSTART
	v_dot2_f32_f16 v167, v51, v67, v167
	;;#ASMEND
	;; [unrolled: 13-line block ×16, first 2 shown]
	;;#ASMSTART
	v_dot2_f32_f16 v171, v68, v52, v171
	;;#ASMEND
	;;#ASMSTART
	v_dot2_f32_f16 v171, v69, v53, v171
	;;#ASMEND
	;;#ASMSTART
	v_dot2_f32_f16 v171, v70, v54, v171
	;;#ASMEND
	;;#ASMSTART
	v_dot2_f32_f16 v171, v71, v55, v171
	;;#ASMEND
	;;#ASMSTART
	v_dot2_f32_f16 v170, v68, v64, v170
	;;#ASMEND
	;;#ASMSTART
	v_dot2_f32_f16 v170, v69, v65, v170
	;;#ASMEND
	;;#ASMSTART
	v_dot2_f32_f16 v170, v70, v66, v170
	;;#ASMEND
	;;#ASMSTART
	v_dot2_f32_f16 v170, v71, v67, v170
	;;#ASMEND
	;;#ASMSTART
	v_dot2_f32_f16 v168, v68, v72, v168
	;;#ASMEND
	;;#ASMSTART
	v_dot2_f32_f16 v168, v69, v73, v168
	;;#ASMEND
	;;#ASMSTART
	v_dot2_f32_f16 v168, v70, v74, v168
	;;#ASMEND
	;;#ASMSTART
	v_dot2_f32_f16 v168, v71, v75, v168
	;;#ASMEND
	;;#ASMSTART
	v_dot2_f32_f16 v166, v68, v76, v166
	;;#ASMEND
	;;#ASMSTART
	v_dot2_f32_f16 v166, v69, v77, v166
	;;#ASMEND
	;;#ASMSTART
	v_dot2_f32_f16 v166, v70, v78, v166
	;;#ASMEND
	;;#ASMSTART
	v_dot2_f32_f16 v166, v71, v79, v166
	;;#ASMEND
	;;#ASMSTART
	v_dot2_f32_f16 v164, v68, v129, v164
	;;#ASMEND
	;;#ASMSTART
	v_dot2_f32_f16 v164, v69, v130, v164
	;;#ASMEND
	;;#ASMSTART
	v_dot2_f32_f16 v164, v70, v131, v164
	;;#ASMEND
	;;#ASMSTART
	v_dot2_f32_f16 v164, v71, v132, v164
	;;#ASMEND
	;;#ASMSTART
	v_dot2_f32_f16 v161, v68, v172, v161
	;;#ASMEND
	;;#ASMSTART
	v_dot2_f32_f16 v161, v69, v173, v161
	;;#ASMEND
	;;#ASMSTART
	v_dot2_f32_f16 v161, v70, v174, v161
	;;#ASMEND
	;;#ASMSTART
	v_dot2_f32_f16 v161, v71, v175, v161
	;;#ASMEND
	;;#ASMSTART
	v_dot2_f32_f16 v159, v68, v176, v159
	;;#ASMEND
	;;#ASMSTART
	v_dot2_f32_f16 v159, v69, v177, v159
	;;#ASMEND
	;;#ASMSTART
	v_dot2_f32_f16 v159, v70, v178, v159
	;;#ASMEND
	;;#ASMSTART
	v_dot2_f32_f16 v159, v71, v179, v159
	;;#ASMEND
	;;#ASMSTART
	v_dot2_f32_f16 v158, v68, v180, v158
	;;#ASMEND
	;;#ASMSTART
	v_dot2_f32_f16 v158, v69, v181, v158
	;;#ASMEND
	;;#ASMSTART
	v_dot2_f32_f16 v158, v70, v182, v158
	;;#ASMEND
	;;#ASMSTART
	v_dot2_f32_f16 v158, v71, v183, v158
	;;#ASMEND
	;;#ASMSTART
	v_dot2_f32_f16 v155, v68, v184, v155
	;;#ASMEND
	;;#ASMSTART
	v_dot2_f32_f16 v155, v69, v185, v155
	;;#ASMEND
	;;#ASMSTART
	v_dot2_f32_f16 v155, v70, v186, v155
	;;#ASMEND
	;;#ASMSTART
	v_dot2_f32_f16 v155, v71, v187, v155
	;;#ASMEND
	;;#ASMSTART
	v_dot2_f32_f16 v153, v68, v188, v153
	;;#ASMEND
	;;#ASMSTART
	v_dot2_f32_f16 v153, v69, v189, v153
	;;#ASMEND
	;;#ASMSTART
	v_dot2_f32_f16 v153, v70, v190, v153
	;;#ASMEND
	;;#ASMSTART
	v_dot2_f32_f16 v153, v71, v191, v153
	;;#ASMEND
	;;#ASMSTART
	v_dot2_f32_f16 v151, v68, v192, v151
	;;#ASMEND
	;;#ASMSTART
	v_dot2_f32_f16 v151, v69, v193, v151
	;;#ASMEND
	;;#ASMSTART
	v_dot2_f32_f16 v151, v70, v194, v151
	;;#ASMEND
	;;#ASMSTART
	v_dot2_f32_f16 v151, v71, v195, v151
	;;#ASMEND
	;;#ASMSTART
	v_dot2_f32_f16 v149, v68, v196, v149
	;;#ASMEND
	;;#ASMSTART
	v_dot2_f32_f16 v149, v69, v197, v149
	;;#ASMEND
	;;#ASMSTART
	v_dot2_f32_f16 v149, v70, v198, v149
	;;#ASMEND
	;;#ASMSTART
	v_dot2_f32_f16 v149, v71, v199, v149
	;;#ASMEND
	;;#ASMSTART
	v_dot2_f32_f16 v147, v68, v200, v147
	;;#ASMEND
	;;#ASMSTART
	v_dot2_f32_f16 v147, v69, v201, v147
	;;#ASMEND
	;;#ASMSTART
	v_dot2_f32_f16 v147, v70, v202, v147
	;;#ASMEND
	;;#ASMSTART
	v_dot2_f32_f16 v147, v71, v203, v147
	;;#ASMEND
	;;#ASMSTART
	v_dot2_f32_f16 v145, v68, v204, v145
	;;#ASMEND
	;;#ASMSTART
	v_dot2_f32_f16 v145, v69, v205, v145
	;;#ASMEND
	;;#ASMSTART
	v_dot2_f32_f16 v145, v70, v206, v145
	;;#ASMEND
	;;#ASMSTART
	v_dot2_f32_f16 v145, v71, v207, v145
	;;#ASMEND
	;;#ASMSTART
	v_dot2_f32_f16 v143, v68, v208, v143
	;;#ASMEND
	;;#ASMSTART
	v_dot2_f32_f16 v143, v69, v209, v143
	;;#ASMEND
	;;#ASMSTART
	v_dot2_f32_f16 v143, v70, v210, v143
	;;#ASMEND
	;;#ASMSTART
	v_dot2_f32_f16 v143, v71, v211, v143
	;;#ASMEND
	;;#ASMSTART
	v_dot2_f32_f16 v140, v68, v212, v140
	;;#ASMEND
	;;#ASMSTART
	v_dot2_f32_f16 v140, v69, v213, v140
	;;#ASMEND
	;;#ASMSTART
	v_dot2_f32_f16 v140, v70, v214, v140
	;;#ASMEND
	;;#ASMSTART
	v_dot2_f32_f16 v140, v71, v215, v140
	;;#ASMEND
	ds_load_b128 v[51:54], v128 offset:112
	ds_load_b128 v[64:67], v98 offset:17520
	;; [unrolled: 1-line block ×18, first 2 shown]
	s_waitcnt lgkmcnt(16)
	;;#ASMSTART
	v_dot2_f32_f16 v169, v51, v64, v169
	;;#ASMEND
	;;#ASMSTART
	v_dot2_f32_f16 v169, v52, v65, v169
	;;#ASMEND
	;;#ASMSTART
	v_dot2_f32_f16 v169, v53, v66, v169
	;;#ASMEND
	;;#ASMSTART
	v_dot2_f32_f16 v169, v54, v67, v169
	;;#ASMEND
	s_waitcnt lgkmcnt(15)
	;;#ASMSTART
	v_dot2_f32_f16 v167, v51, v68, v167
	;;#ASMEND
	;;#ASMSTART
	v_dot2_f32_f16 v167, v52, v69, v167
	;;#ASMEND
	;;#ASMSTART
	v_dot2_f32_f16 v167, v53, v70, v167
	;;#ASMEND
	;;#ASMSTART
	v_dot2_f32_f16 v167, v54, v71, v167
	;;#ASMEND
	s_waitcnt lgkmcnt(13)
	;;#ASMSTART
	v_dot2_f32_f16 v165, v51, v76, v165
	;;#ASMEND
	;;#ASMSTART
	v_dot2_f32_f16 v165, v52, v77, v165
	;;#ASMEND
	;;#ASMSTART
	v_dot2_f32_f16 v165, v53, v78, v165
	;;#ASMEND
	;;#ASMSTART
	v_dot2_f32_f16 v165, v54, v79, v165
	;;#ASMEND
	s_waitcnt lgkmcnt(12)
	;;#ASMSTART
	v_dot2_f32_f16 v163, v51, v128, v163
	;;#ASMEND
	;;#ASMSTART
	v_dot2_f32_f16 v163, v52, v129, v163
	;;#ASMEND
	;;#ASMSTART
	v_dot2_f32_f16 v163, v53, v130, v163
	;;#ASMEND
	;;#ASMSTART
	v_dot2_f32_f16 v163, v54, v131, v163
	;;#ASMEND
	s_waitcnt lgkmcnt(11)
	;;#ASMSTART
	v_dot2_f32_f16 v162, v51, v172, v162
	;;#ASMEND
	;;#ASMSTART
	v_dot2_f32_f16 v162, v52, v173, v162
	;;#ASMEND
	;;#ASMSTART
	v_dot2_f32_f16 v162, v53, v174, v162
	;;#ASMEND
	;;#ASMSTART
	v_dot2_f32_f16 v162, v54, v175, v162
	;;#ASMEND
	s_waitcnt lgkmcnt(10)
	;;#ASMSTART
	v_dot2_f32_f16 v160, v51, v176, v160
	;;#ASMEND
	;;#ASMSTART
	v_dot2_f32_f16 v160, v52, v177, v160
	;;#ASMEND
	;;#ASMSTART
	v_dot2_f32_f16 v160, v53, v178, v160
	;;#ASMEND
	;;#ASMSTART
	v_dot2_f32_f16 v160, v54, v179, v160
	;;#ASMEND
	s_waitcnt lgkmcnt(9)
	;;#ASMSTART
	v_dot2_f32_f16 v157, v51, v180, v157
	;;#ASMEND
	;;#ASMSTART
	v_dot2_f32_f16 v157, v52, v181, v157
	;;#ASMEND
	;;#ASMSTART
	v_dot2_f32_f16 v157, v53, v182, v157
	;;#ASMEND
	;;#ASMSTART
	v_dot2_f32_f16 v157, v54, v183, v157
	;;#ASMEND
	s_waitcnt lgkmcnt(8)
	;;#ASMSTART
	v_dot2_f32_f16 v156, v51, v184, v156
	;;#ASMEND
	;;#ASMSTART
	v_dot2_f32_f16 v156, v52, v185, v156
	;;#ASMEND
	;;#ASMSTART
	v_dot2_f32_f16 v156, v53, v186, v156
	;;#ASMEND
	;;#ASMSTART
	v_dot2_f32_f16 v156, v54, v187, v156
	;;#ASMEND
	s_waitcnt lgkmcnt(7)
	;;#ASMSTART
	v_dot2_f32_f16 v154, v51, v188, v154
	;;#ASMEND
	;;#ASMSTART
	v_dot2_f32_f16 v154, v52, v189, v154
	;;#ASMEND
	;;#ASMSTART
	v_dot2_f32_f16 v154, v53, v190, v154
	;;#ASMEND
	;;#ASMSTART
	v_dot2_f32_f16 v154, v54, v191, v154
	;;#ASMEND
	s_waitcnt lgkmcnt(6)
	;;#ASMSTART
	v_dot2_f32_f16 v152, v51, v192, v152
	;;#ASMEND
	;;#ASMSTART
	v_dot2_f32_f16 v152, v52, v193, v152
	;;#ASMEND
	;;#ASMSTART
	v_dot2_f32_f16 v152, v53, v194, v152
	;;#ASMEND
	;;#ASMSTART
	v_dot2_f32_f16 v152, v54, v195, v152
	;;#ASMEND
	s_waitcnt lgkmcnt(5)
	;;#ASMSTART
	v_dot2_f32_f16 v150, v51, v196, v150
	;;#ASMEND
	;;#ASMSTART
	v_dot2_f32_f16 v150, v52, v197, v150
	;;#ASMEND
	;;#ASMSTART
	v_dot2_f32_f16 v150, v53, v198, v150
	;;#ASMEND
	;;#ASMSTART
	v_dot2_f32_f16 v150, v54, v199, v150
	;;#ASMEND
	s_waitcnt lgkmcnt(4)
	;;#ASMSTART
	v_dot2_f32_f16 v148, v51, v200, v148
	;;#ASMEND
	;;#ASMSTART
	v_dot2_f32_f16 v148, v52, v201, v148
	;;#ASMEND
	;;#ASMSTART
	v_dot2_f32_f16 v148, v53, v202, v148
	;;#ASMEND
	;;#ASMSTART
	v_dot2_f32_f16 v148, v54, v203, v148
	;;#ASMEND
	s_waitcnt lgkmcnt(3)
	;;#ASMSTART
	v_dot2_f32_f16 v146, v51, v204, v146
	;;#ASMEND
	;;#ASMSTART
	v_dot2_f32_f16 v146, v52, v205, v146
	;;#ASMEND
	;;#ASMSTART
	v_dot2_f32_f16 v146, v53, v206, v146
	;;#ASMEND
	;;#ASMSTART
	v_dot2_f32_f16 v146, v54, v207, v146
	;;#ASMEND
	s_waitcnt lgkmcnt(2)
	;;#ASMSTART
	v_dot2_f32_f16 v144, v51, v208, v144
	;;#ASMEND
	;;#ASMSTART
	v_dot2_f32_f16 v144, v52, v209, v144
	;;#ASMEND
	;;#ASMSTART
	v_dot2_f32_f16 v144, v53, v210, v144
	;;#ASMEND
	;;#ASMSTART
	v_dot2_f32_f16 v144, v54, v211, v144
	;;#ASMEND
	s_waitcnt lgkmcnt(1)
	;;#ASMSTART
	v_dot2_f32_f16 v142, v51, v212, v142
	;;#ASMEND
	;;#ASMSTART
	v_dot2_f32_f16 v142, v52, v213, v142
	;;#ASMEND
	;;#ASMSTART
	v_dot2_f32_f16 v142, v53, v214, v142
	;;#ASMEND
	;;#ASMSTART
	v_dot2_f32_f16 v142, v54, v215, v142
	;;#ASMEND
	s_waitcnt lgkmcnt(0)
	;;#ASMSTART
	v_dot2_f32_f16 v141, v51, v216, v141
	;;#ASMEND
	;;#ASMSTART
	v_dot2_f32_f16 v141, v52, v217, v141
	;;#ASMEND
	;;#ASMSTART
	v_dot2_f32_f16 v141, v53, v218, v141
	;;#ASMEND
	;;#ASMSTART
	v_dot2_f32_f16 v141, v54, v219, v141
	;;#ASMEND
	;;#ASMSTART
	v_dot2_f32_f16 v171, v72, v64, v171
	;;#ASMEND
	;;#ASMSTART
	v_dot2_f32_f16 v171, v73, v65, v171
	;;#ASMEND
	;; [unrolled: 3-line block ×55, first 2 shown]
	v_dual_mov_b32 v47, v15 :: v_dual_mov_b32 v40, v8
	;;#ASMSTART
	v_dot2_f32_f16 v145, v75, v211, v145
	;;#ASMEND
	;;#ASMSTART
	v_dot2_f32_f16 v143, v72, v212, v143
	;;#ASMEND
	v_dual_mov_b32 v46, v14 :: v_dual_mov_b32 v45, v13
	v_mov_b32_e32 v38, v6
	v_dual_mov_b32 v44, v12 :: v_dual_mov_b32 v43, v11
	v_mov_b32_e32 v36, v4
	v_dual_mov_b32 v42, v10 :: v_dual_mov_b32 v41, v9
	v_dual_mov_b32 v34, v2 :: v_dual_mov_b32 v39, v7
	v_dual_mov_b32 v32, v0 :: v_dual_mov_b32 v37, v5
	v_mov_b32_e32 v35, v3
	v_mov_b32_e32 v33, v1
	v_cndmask_b32_e64 v50, 0, 1, s7
	;;#ASMSTART
	v_dot2_f32_f16 v143, v73, v213, v143
	;;#ASMEND
	;;#ASMSTART
	v_dot2_f32_f16 v143, v74, v214, v143
	;;#ASMEND
	;; [unrolled: 3-line block ×7, first 2 shown]
	s_and_saveexec_b32 s19, s6
	s_cbranch_execz .LBB52_84
; %bb.80:
	s_and_not1_b32 vcc_lo, exec_lo, s7
	s_cbranch_vccnz .LBB52_82
; %bb.81:
	v_add_nc_u32_e32 v32, v56, v93
	s_delay_alu instid0(VALU_DEP_1) | instskip(NEXT) | instid1(VALU_DEP_1)
	v_ashrrev_i32_e32 v33, 31, v32
	v_lshlrev_b64 v[32:33], 1, v[32:33]
	s_delay_alu instid0(VALU_DEP_1) | instskip(NEXT) | instid1(VALU_DEP_2)
	v_add_co_u32 v32, vcc_lo, s68, v32
	v_add_co_ci_u32_e32 v33, vcc_lo, s69, v33, vcc_lo
	flat_load_u16 v32, v[32:33]
	s_waitcnt vmcnt(0) lgkmcnt(0)
	v_cvt_f32_f16_e32 v32, v32
	s_delay_alu instid0(VALU_DEP_1)
	v_mul_f32_e32 v32, v58, v32
	s_branch .LBB52_83
.LBB52_82:
	v_mov_b32_e32 v32, 0
.LBB52_83:
	s_delay_alu instid0(VALU_DEP_1) | instskip(NEXT) | instid1(VALU_DEP_1)
	v_add_f32_e32 v169, v169, v32
	v_dual_max_f32 v33, v0, v0 :: v_dual_add_f32 v32, 0x40051340, v169
	s_delay_alu instid0(VALU_DEP_1)
	v_dual_max_f32 v48, v33, v32 :: v_dual_mov_b32 v47, v15
	v_dual_mov_b32 v33, v1 :: v_dual_mov_b32 v32, v0
	v_dual_mov_b32 v46, v14 :: v_dual_mov_b32 v45, v13
	;; [unrolled: 1-line block ×7, first 2 shown]
	v_mov_b32_e32 v34, v2
	v_mov_b32_e32 v32, v48
.LBB52_84:
	s_or_b32 exec_lo, exec_lo, s19
	v_add_nc_u32_e32 v57, 32, v93
	s_delay_alu instid0(VALU_DEP_1) | instskip(NEXT) | instid1(VALU_DEP_1)
	v_cmp_gt_i32_e64 s7, s18, v57
	s_and_saveexec_b32 s19, s7
	s_cbranch_execz .LBB52_89
; %bb.85:
	v_cmp_ne_u32_e32 vcc_lo, 1, v50
	s_cbranch_vccnz .LBB52_87
; %bb.86:
	v_ashrrev_i32_e32 v49, 31, v56
	v_add_co_u32 v48, vcc_lo, v56, v93
	s_delay_alu instid0(VALU_DEP_2) | instskip(NEXT) | instid1(VALU_DEP_1)
	v_add_co_ci_u32_e32 v49, vcc_lo, 0, v49, vcc_lo
	v_lshlrev_b64 v[48:49], 1, v[48:49]
	s_delay_alu instid0(VALU_DEP_1) | instskip(NEXT) | instid1(VALU_DEP_2)
	v_add_co_u32 v48, vcc_lo, s68, v48
	v_add_co_ci_u32_e32 v49, vcc_lo, s69, v49, vcc_lo
	flat_load_u16 v48, v[48:49] offset:64
	s_waitcnt vmcnt(0) lgkmcnt(0)
	v_cvt_f32_f16_e32 v48, v48
	s_delay_alu instid0(VALU_DEP_1)
	v_mul_f32_e32 v48, v58, v48
	s_branch .LBB52_88
.LBB52_87:
	v_mov_b32_e32 v48, 0
.LBB52_88:
	s_delay_alu instid0(VALU_DEP_1) | instskip(SKIP_1) | instid1(VALU_DEP_2)
	v_add_f32_e32 v171, v171, v48
	v_max_f32_e32 v32, v32, v32
	v_add_f32_e32 v48, 0x40051340, v171
	s_delay_alu instid0(VALU_DEP_1)
	v_max_f32_e32 v32, v32, v48
.LBB52_89:
	s_or_b32 exec_lo, exec_lo, s19
	v_xor_b32_e32 v129, 16, v97
	v_xor_b32_e32 v130, 8, v97
	;; [unrolled: 1-line block ×5, first 2 shown]
	v_cmp_gt_i32_e32 vcc_lo, 32, v129
	v_mul_hi_u32 v56, s8, v125
	v_mov_b32_e32 v134, 32
	v_cndmask_b32_e32 v48, v97, v129, vcc_lo
	v_cmp_gt_i32_e32 vcc_lo, 32, v130
	s_delay_alu instid0(VALU_DEP_2)
	v_lshlrev_b32_e32 v51, 2, v48
	ds_bpermute_b32 v48, v51, v32
	v_cndmask_b32_e32 v49, v97, v130, vcc_lo
	v_cmp_gt_i32_e32 vcc_lo, 32, v132
	s_waitcnt lgkmcnt(0)
	v_max_f32_e32 v48, v48, v48
	s_delay_alu instid0(VALU_DEP_3) | instskip(SKIP_2) | instid1(VALU_DEP_2)
	v_dual_cndmask_b32 v49, v97, v132 :: v_dual_lshlrev_b32 v52, 2, v49
	v_max_f32_e32 v32, v32, v32
	v_cmp_gt_i32_e32 vcc_lo, 32, v133
	v_dual_max_f32 v32, v32, v48 :: v_dual_lshlrev_b32 v53, 2, v49
	v_cndmask_b32_e32 v49, v97, v133, vcc_lo
	v_cmp_gt_i32_e32 vcc_lo, 32, v131
	ds_bpermute_b32 v48, v52, v32
	v_dual_cndmask_b32 v49, v97, v131 :: v_dual_lshlrev_b32 v54, 2, v49
	s_waitcnt lgkmcnt(0)
	s_delay_alu instid0(VALU_DEP_1) | instskip(NEXT) | instid1(VALU_DEP_1)
	v_dual_max_f32 v48, v48, v48 :: v_dual_lshlrev_b32 v55, 2, v49
	v_max_f32_e32 v32, v32, v48
	ds_bpermute_b32 v48, v53, v32
	s_waitcnt lgkmcnt(0)
	v_max_f32_e32 v48, v48, v48
	s_delay_alu instid0(VALU_DEP_1) | instskip(SKIP_3) | instid1(VALU_DEP_1)
	v_max_f32_e32 v32, v32, v48
	ds_bpermute_b32 v48, v54, v32
	s_waitcnt lgkmcnt(0)
	v_max_f32_e32 v48, v48, v48
	v_max_f32_e32 v32, v32, v48
	v_add_nc_u32_e32 v48, v125, v56
	ds_bpermute_b32 v49, v55, v32
	v_lshrrev_b32_e32 v48, s9, v48
	s_delay_alu instid0(VALU_DEP_1) | instskip(NEXT) | instid1(VALU_DEP_1)
	v_mul_lo_u32 v48, v48, s10
	v_sub_nc_u32_e32 v56, v125, v48
	s_waitcnt lgkmcnt(0)
	v_max_f32_e32 v64, v49, v49
	s_delay_alu instid0(VALU_DEP_2) | instskip(NEXT) | instid1(VALU_DEP_2)
	v_mad_u64_u32 v[48:49], null, v56, s22, s[12:13]
	v_max_f32_e32 v32, v32, v64
	s_and_saveexec_b32 s19, s6
	s_cbranch_execz .LBB52_94
; %bb.90:
	v_cmp_ne_u32_e32 vcc_lo, 1, v50
	s_cbranch_vccnz .LBB52_92
; %bb.91:
	s_delay_alu instid0(VALU_DEP_3) | instskip(NEXT) | instid1(VALU_DEP_1)
	v_add_nc_u32_e32 v64, v48, v93
	v_ashrrev_i32_e32 v65, 31, v64
	s_delay_alu instid0(VALU_DEP_1) | instskip(NEXT) | instid1(VALU_DEP_1)
	v_lshlrev_b64 v[64:65], 1, v[64:65]
	v_add_co_u32 v64, vcc_lo, s68, v64
	s_delay_alu instid0(VALU_DEP_2) | instskip(SKIP_3) | instid1(VALU_DEP_1)
	v_add_co_ci_u32_e32 v65, vcc_lo, s69, v65, vcc_lo
	flat_load_u16 v49, v[64:65]
	s_waitcnt vmcnt(0) lgkmcnt(0)
	v_cvt_f32_f16_e32 v49, v49
	v_mul_f32_e32 v49, v58, v49
	s_branch .LBB52_93
.LBB52_92:
	v_mov_b32_e32 v49, 0
.LBB52_93:
	s_delay_alu instid0(VALU_DEP_1) | instskip(SKIP_1) | instid1(VALU_DEP_2)
	v_add_f32_e32 v167, v167, v49
	v_max_f32_e32 v33, v33, v33
	v_add_f32_e32 v49, 0x40051340, v167
	s_delay_alu instid0(VALU_DEP_1)
	v_max_f32_e32 v33, v33, v49
.LBB52_94:
	s_or_b32 exec_lo, exec_lo, s19
	s_and_saveexec_b32 s19, s7
	s_cbranch_execz .LBB52_99
; %bb.95:
	v_cmp_ne_u32_e32 vcc_lo, 1, v50
	s_cbranch_vccnz .LBB52_97
; %bb.96:
	v_ashrrev_i32_e32 v49, 31, v48
	v_add_co_u32 v48, vcc_lo, v48, v93
	s_delay_alu instid0(VALU_DEP_2) | instskip(NEXT) | instid1(VALU_DEP_1)
	v_add_co_ci_u32_e32 v49, vcc_lo, 0, v49, vcc_lo
	v_lshlrev_b64 v[48:49], 1, v[48:49]
	s_delay_alu instid0(VALU_DEP_1) | instskip(NEXT) | instid1(VALU_DEP_2)
	v_add_co_u32 v48, vcc_lo, s68, v48
	v_add_co_ci_u32_e32 v49, vcc_lo, s69, v49, vcc_lo
	flat_load_u16 v48, v[48:49] offset:64
	s_waitcnt vmcnt(0) lgkmcnt(0)
	v_cvt_f32_f16_e32 v48, v48
	s_delay_alu instid0(VALU_DEP_1)
	v_mul_f32_e32 v48, v58, v48
	s_branch .LBB52_98
.LBB52_97:
	v_mov_b32_e32 v48, 0
.LBB52_98:
	s_delay_alu instid0(VALU_DEP_1) | instskip(NEXT) | instid1(VALU_DEP_1)
	v_dual_add_f32 v170, v170, v48 :: v_dual_max_f32 v33, v33, v33
	v_add_f32_e32 v48, 0x40051340, v170
	s_delay_alu instid0(VALU_DEP_1)
	v_max_f32_e32 v33, v33, v48
.LBB52_99:
	s_or_b32 exec_lo, exec_lo, s19
	ds_bpermute_b32 v48, v51, v33
	v_mul_hi_u32 v49, s8, v124
	s_waitcnt lgkmcnt(0)
	v_dual_max_f32 v33, v33, v33 :: v_dual_max_f32 v48, v48, v48
	s_delay_alu instid0(VALU_DEP_1) | instskip(SKIP_3) | instid1(VALU_DEP_1)
	v_max_f32_e32 v33, v33, v48
	ds_bpermute_b32 v48, v52, v33
	s_waitcnt lgkmcnt(0)
	v_max_f32_e32 v48, v48, v48
	v_max_f32_e32 v33, v33, v48
	ds_bpermute_b32 v48, v53, v33
	s_waitcnt lgkmcnt(0)
	v_max_f32_e32 v48, v48, v48
	s_delay_alu instid0(VALU_DEP_1) | instskip(SKIP_3) | instid1(VALU_DEP_1)
	v_max_f32_e32 v33, v33, v48
	ds_bpermute_b32 v48, v54, v33
	s_waitcnt lgkmcnt(0)
	v_max_f32_e32 v48, v48, v48
	v_dual_max_f32 v33, v33, v48 :: v_dual_add_nc_u32 v48, v124, v49
	ds_bpermute_b32 v49, v55, v33
	v_lshrrev_b32_e32 v48, s9, v48
	s_delay_alu instid0(VALU_DEP_1) | instskip(NEXT) | instid1(VALU_DEP_1)
	v_mul_lo_u32 v48, v48, s10
	v_sub_nc_u32_e32 v56, v124, v48
	s_waitcnt lgkmcnt(0)
	v_max_f32_e32 v64, v49, v49
	s_delay_alu instid0(VALU_DEP_2) | instskip(NEXT) | instid1(VALU_DEP_2)
	v_mad_u64_u32 v[48:49], null, v56, s22, s[12:13]
	v_max_f32_e32 v33, v33, v64
	s_and_saveexec_b32 s19, s6
	s_cbranch_execz .LBB52_104
; %bb.100:
	v_cmp_ne_u32_e32 vcc_lo, 1, v50
	s_cbranch_vccnz .LBB52_102
; %bb.101:
	s_delay_alu instid0(VALU_DEP_3) | instskip(NEXT) | instid1(VALU_DEP_1)
	v_add_nc_u32_e32 v64, v48, v93
	v_ashrrev_i32_e32 v65, 31, v64
	s_delay_alu instid0(VALU_DEP_1) | instskip(NEXT) | instid1(VALU_DEP_1)
	v_lshlrev_b64 v[64:65], 1, v[64:65]
	v_add_co_u32 v64, vcc_lo, s68, v64
	s_delay_alu instid0(VALU_DEP_2) | instskip(SKIP_3) | instid1(VALU_DEP_1)
	v_add_co_ci_u32_e32 v65, vcc_lo, s69, v65, vcc_lo
	flat_load_u16 v49, v[64:65]
	s_waitcnt vmcnt(0) lgkmcnt(0)
	v_cvt_f32_f16_e32 v49, v49
	v_mul_f32_e32 v49, v58, v49
	s_branch .LBB52_103
.LBB52_102:
	v_mov_b32_e32 v49, 0
.LBB52_103:
	s_delay_alu instid0(VALU_DEP_1) | instskip(NEXT) | instid1(VALU_DEP_1)
	v_dual_add_f32 v165, v165, v49 :: v_dual_max_f32 v34, v34, v34
	v_add_f32_e32 v49, 0x40051340, v165
	s_delay_alu instid0(VALU_DEP_1)
	v_max_f32_e32 v34, v34, v49
.LBB52_104:
	s_or_b32 exec_lo, exec_lo, s19
	s_and_saveexec_b32 s19, s7
	s_cbranch_execz .LBB52_109
; %bb.105:
	v_cmp_ne_u32_e32 vcc_lo, 1, v50
	s_cbranch_vccnz .LBB52_107
; %bb.106:
	v_ashrrev_i32_e32 v49, 31, v48
	v_add_co_u32 v48, vcc_lo, v48, v93
	s_delay_alu instid0(VALU_DEP_2) | instskip(NEXT) | instid1(VALU_DEP_1)
	v_add_co_ci_u32_e32 v49, vcc_lo, 0, v49, vcc_lo
	v_lshlrev_b64 v[48:49], 1, v[48:49]
	s_delay_alu instid0(VALU_DEP_1) | instskip(NEXT) | instid1(VALU_DEP_2)
	v_add_co_u32 v48, vcc_lo, s68, v48
	v_add_co_ci_u32_e32 v49, vcc_lo, s69, v49, vcc_lo
	flat_load_u16 v48, v[48:49] offset:64
	s_waitcnt vmcnt(0) lgkmcnt(0)
	v_cvt_f32_f16_e32 v48, v48
	s_delay_alu instid0(VALU_DEP_1)
	v_mul_f32_e32 v48, v58, v48
	s_branch .LBB52_108
.LBB52_107:
	v_mov_b32_e32 v48, 0
.LBB52_108:
	s_delay_alu instid0(VALU_DEP_1) | instskip(SKIP_1) | instid1(VALU_DEP_2)
	v_add_f32_e32 v168, v168, v48
	v_max_f32_e32 v34, v34, v34
	v_add_f32_e32 v48, 0x40051340, v168
	s_delay_alu instid0(VALU_DEP_1)
	v_max_f32_e32 v34, v34, v48
.LBB52_109:
	s_or_b32 exec_lo, exec_lo, s19
	ds_bpermute_b32 v48, v51, v34
	v_max_f32_e32 v34, v34, v34
	v_mul_hi_u32 v49, s8, v121
	s_waitcnt lgkmcnt(0)
	v_max_f32_e32 v48, v48, v48
	s_delay_alu instid0(VALU_DEP_1) | instskip(SKIP_3) | instid1(VALU_DEP_1)
	v_max_f32_e32 v34, v34, v48
	ds_bpermute_b32 v48, v52, v34
	s_waitcnt lgkmcnt(0)
	v_max_f32_e32 v48, v48, v48
	v_max_f32_e32 v34, v34, v48
	ds_bpermute_b32 v48, v53, v34
	s_waitcnt lgkmcnt(0)
	v_max_f32_e32 v48, v48, v48
	s_delay_alu instid0(VALU_DEP_1) | instskip(SKIP_3) | instid1(VALU_DEP_1)
	v_max_f32_e32 v34, v34, v48
	ds_bpermute_b32 v48, v54, v34
	s_waitcnt lgkmcnt(0)
	v_max_f32_e32 v48, v48, v48
	v_max_f32_e32 v34, v34, v48
	v_add_nc_u32_e32 v48, v121, v49
	ds_bpermute_b32 v49, v55, v34
	v_lshrrev_b32_e32 v48, s9, v48
	s_delay_alu instid0(VALU_DEP_1) | instskip(NEXT) | instid1(VALU_DEP_1)
	v_mul_lo_u32 v48, v48, s10
	v_sub_nc_u32_e32 v56, v121, v48
	s_waitcnt lgkmcnt(0)
	v_max_f32_e32 v64, v49, v49
	s_delay_alu instid0(VALU_DEP_2) | instskip(NEXT) | instid1(VALU_DEP_2)
	v_mad_u64_u32 v[48:49], null, v56, s22, s[12:13]
	v_max_f32_e32 v34, v34, v64
	s_and_saveexec_b32 s19, s6
	s_cbranch_execz .LBB52_114
; %bb.110:
	v_cmp_ne_u32_e32 vcc_lo, 1, v50
	s_cbranch_vccnz .LBB52_112
; %bb.111:
	s_delay_alu instid0(VALU_DEP_3) | instskip(NEXT) | instid1(VALU_DEP_1)
	v_add_nc_u32_e32 v64, v48, v93
	v_ashrrev_i32_e32 v65, 31, v64
	s_delay_alu instid0(VALU_DEP_1) | instskip(NEXT) | instid1(VALU_DEP_1)
	v_lshlrev_b64 v[64:65], 1, v[64:65]
	v_add_co_u32 v64, vcc_lo, s68, v64
	s_delay_alu instid0(VALU_DEP_2) | instskip(SKIP_3) | instid1(VALU_DEP_1)
	v_add_co_ci_u32_e32 v65, vcc_lo, s69, v65, vcc_lo
	flat_load_u16 v49, v[64:65]
	s_waitcnt vmcnt(0) lgkmcnt(0)
	v_cvt_f32_f16_e32 v49, v49
	v_mul_f32_e32 v49, v58, v49
	s_branch .LBB52_113
.LBB52_112:
	v_mov_b32_e32 v49, 0
.LBB52_113:
	s_delay_alu instid0(VALU_DEP_1) | instskip(SKIP_1) | instid1(VALU_DEP_2)
	v_add_f32_e32 v163, v163, v49
	v_max_f32_e32 v35, v35, v35
	v_add_f32_e32 v49, 0x40051340, v163
	s_delay_alu instid0(VALU_DEP_1)
	v_max_f32_e32 v35, v35, v49
.LBB52_114:
	s_or_b32 exec_lo, exec_lo, s19
	s_and_saveexec_b32 s19, s7
	s_cbranch_execz .LBB52_119
; %bb.115:
	v_cmp_ne_u32_e32 vcc_lo, 1, v50
	s_cbranch_vccnz .LBB52_117
; %bb.116:
	v_ashrrev_i32_e32 v49, 31, v48
	v_add_co_u32 v48, vcc_lo, v48, v93
	s_delay_alu instid0(VALU_DEP_2) | instskip(NEXT) | instid1(VALU_DEP_1)
	v_add_co_ci_u32_e32 v49, vcc_lo, 0, v49, vcc_lo
	v_lshlrev_b64 v[48:49], 1, v[48:49]
	s_delay_alu instid0(VALU_DEP_1) | instskip(NEXT) | instid1(VALU_DEP_2)
	v_add_co_u32 v48, vcc_lo, s68, v48
	v_add_co_ci_u32_e32 v49, vcc_lo, s69, v49, vcc_lo
	flat_load_u16 v48, v[48:49] offset:64
	s_waitcnt vmcnt(0) lgkmcnt(0)
	v_cvt_f32_f16_e32 v48, v48
	s_delay_alu instid0(VALU_DEP_1)
	v_mul_f32_e32 v48, v58, v48
	s_branch .LBB52_118
.LBB52_117:
	v_mov_b32_e32 v48, 0
.LBB52_118:
	s_delay_alu instid0(VALU_DEP_1) | instskip(NEXT) | instid1(VALU_DEP_1)
	v_dual_add_f32 v166, v166, v48 :: v_dual_max_f32 v35, v35, v35
	v_add_f32_e32 v48, 0x40051340, v166
	s_delay_alu instid0(VALU_DEP_1)
	v_max_f32_e32 v35, v35, v48
.LBB52_119:
	s_or_b32 exec_lo, exec_lo, s19
	ds_bpermute_b32 v48, v51, v35
	v_mul_hi_u32 v49, s8, v120
	s_waitcnt lgkmcnt(0)
	v_dual_max_f32 v35, v35, v35 :: v_dual_max_f32 v48, v48, v48
	s_delay_alu instid0(VALU_DEP_1) | instskip(SKIP_3) | instid1(VALU_DEP_1)
	v_max_f32_e32 v35, v35, v48
	ds_bpermute_b32 v48, v52, v35
	s_waitcnt lgkmcnt(0)
	v_max_f32_e32 v48, v48, v48
	v_max_f32_e32 v35, v35, v48
	ds_bpermute_b32 v48, v53, v35
	s_waitcnt lgkmcnt(0)
	v_max_f32_e32 v48, v48, v48
	s_delay_alu instid0(VALU_DEP_1) | instskip(SKIP_3) | instid1(VALU_DEP_1)
	v_max_f32_e32 v35, v35, v48
	ds_bpermute_b32 v48, v54, v35
	s_waitcnt lgkmcnt(0)
	v_max_f32_e32 v48, v48, v48
	v_dual_max_f32 v35, v35, v48 :: v_dual_add_nc_u32 v48, v120, v49
	ds_bpermute_b32 v49, v55, v35
	v_lshrrev_b32_e32 v48, s9, v48
	s_delay_alu instid0(VALU_DEP_1) | instskip(NEXT) | instid1(VALU_DEP_1)
	v_mul_lo_u32 v48, v48, s10
	v_sub_nc_u32_e32 v56, v120, v48
	s_waitcnt lgkmcnt(0)
	v_max_f32_e32 v64, v49, v49
	s_delay_alu instid0(VALU_DEP_2) | instskip(NEXT) | instid1(VALU_DEP_2)
	v_mad_u64_u32 v[48:49], null, v56, s22, s[12:13]
	v_max_f32_e32 v35, v35, v64
	s_and_saveexec_b32 s19, s6
	s_cbranch_execz .LBB52_124
; %bb.120:
	v_cmp_ne_u32_e32 vcc_lo, 1, v50
	s_cbranch_vccnz .LBB52_122
; %bb.121:
	s_delay_alu instid0(VALU_DEP_3) | instskip(NEXT) | instid1(VALU_DEP_1)
	v_add_nc_u32_e32 v64, v48, v93
	v_ashrrev_i32_e32 v65, 31, v64
	s_delay_alu instid0(VALU_DEP_1) | instskip(NEXT) | instid1(VALU_DEP_1)
	v_lshlrev_b64 v[64:65], 1, v[64:65]
	v_add_co_u32 v64, vcc_lo, s68, v64
	s_delay_alu instid0(VALU_DEP_2) | instskip(SKIP_3) | instid1(VALU_DEP_1)
	v_add_co_ci_u32_e32 v65, vcc_lo, s69, v65, vcc_lo
	flat_load_u16 v49, v[64:65]
	s_waitcnt vmcnt(0) lgkmcnt(0)
	v_cvt_f32_f16_e32 v49, v49
	v_mul_f32_e32 v49, v58, v49
	s_branch .LBB52_123
.LBB52_122:
	v_mov_b32_e32 v49, 0
.LBB52_123:
	s_delay_alu instid0(VALU_DEP_1) | instskip(NEXT) | instid1(VALU_DEP_1)
	v_add_f32_e32 v162, v162, v49
	v_dual_max_f32 v36, v36, v36 :: v_dual_add_f32 v49, 0x40051340, v162
	s_delay_alu instid0(VALU_DEP_1)
	v_max_f32_e32 v36, v36, v49
.LBB52_124:
	s_or_b32 exec_lo, exec_lo, s19
	s_and_saveexec_b32 s19, s7
	s_cbranch_execz .LBB52_129
; %bb.125:
	v_cmp_ne_u32_e32 vcc_lo, 1, v50
	s_cbranch_vccnz .LBB52_127
; %bb.126:
	v_ashrrev_i32_e32 v49, 31, v48
	v_add_co_u32 v48, vcc_lo, v48, v93
	s_delay_alu instid0(VALU_DEP_2) | instskip(NEXT) | instid1(VALU_DEP_1)
	v_add_co_ci_u32_e32 v49, vcc_lo, 0, v49, vcc_lo
	v_lshlrev_b64 v[48:49], 1, v[48:49]
	s_delay_alu instid0(VALU_DEP_1) | instskip(NEXT) | instid1(VALU_DEP_2)
	v_add_co_u32 v48, vcc_lo, s68, v48
	v_add_co_ci_u32_e32 v49, vcc_lo, s69, v49, vcc_lo
	flat_load_u16 v48, v[48:49] offset:64
	s_waitcnt vmcnt(0) lgkmcnt(0)
	v_cvt_f32_f16_e32 v48, v48
	s_delay_alu instid0(VALU_DEP_1)
	v_mul_f32_e32 v48, v58, v48
	s_branch .LBB52_128
.LBB52_127:
	v_mov_b32_e32 v48, 0
.LBB52_128:
	s_delay_alu instid0(VALU_DEP_1) | instskip(SKIP_1) | instid1(VALU_DEP_2)
	v_add_f32_e32 v164, v164, v48
	v_max_f32_e32 v36, v36, v36
	v_add_f32_e32 v48, 0x40051340, v164
	s_delay_alu instid0(VALU_DEP_1)
	v_max_f32_e32 v36, v36, v48
.LBB52_129:
	s_or_b32 exec_lo, exec_lo, s19
	ds_bpermute_b32 v48, v51, v36
	v_max_f32_e32 v36, v36, v36
	v_mul_hi_u32 v49, s8, v119
	s_waitcnt lgkmcnt(0)
	v_max_f32_e32 v48, v48, v48
	s_delay_alu instid0(VALU_DEP_1) | instskip(SKIP_3) | instid1(VALU_DEP_1)
	v_max_f32_e32 v36, v36, v48
	ds_bpermute_b32 v48, v52, v36
	s_waitcnt lgkmcnt(0)
	v_max_f32_e32 v48, v48, v48
	v_max_f32_e32 v36, v36, v48
	ds_bpermute_b32 v48, v53, v36
	s_waitcnt lgkmcnt(0)
	v_max_f32_e32 v48, v48, v48
	s_delay_alu instid0(VALU_DEP_1) | instskip(SKIP_3) | instid1(VALU_DEP_1)
	v_max_f32_e32 v36, v36, v48
	ds_bpermute_b32 v48, v54, v36
	s_waitcnt lgkmcnt(0)
	v_max_f32_e32 v48, v48, v48
	v_max_f32_e32 v36, v36, v48
	v_add_nc_u32_e32 v48, v119, v49
	ds_bpermute_b32 v49, v55, v36
	v_lshrrev_b32_e32 v48, s9, v48
	s_delay_alu instid0(VALU_DEP_1) | instskip(NEXT) | instid1(VALU_DEP_1)
	v_mul_lo_u32 v48, v48, s10
	v_sub_nc_u32_e32 v56, v119, v48
	s_waitcnt lgkmcnt(0)
	v_max_f32_e32 v64, v49, v49
	s_delay_alu instid0(VALU_DEP_2) | instskip(NEXT) | instid1(VALU_DEP_2)
	v_mad_u64_u32 v[48:49], null, v56, s22, s[12:13]
	v_max_f32_e32 v36, v36, v64
	s_and_saveexec_b32 s19, s6
	s_cbranch_execz .LBB52_134
; %bb.130:
	v_cmp_ne_u32_e32 vcc_lo, 1, v50
	s_cbranch_vccnz .LBB52_132
; %bb.131:
	s_delay_alu instid0(VALU_DEP_3) | instskip(NEXT) | instid1(VALU_DEP_1)
	v_add_nc_u32_e32 v64, v48, v93
	v_ashrrev_i32_e32 v65, 31, v64
	s_delay_alu instid0(VALU_DEP_1) | instskip(NEXT) | instid1(VALU_DEP_1)
	v_lshlrev_b64 v[64:65], 1, v[64:65]
	v_add_co_u32 v64, vcc_lo, s68, v64
	s_delay_alu instid0(VALU_DEP_2) | instskip(SKIP_3) | instid1(VALU_DEP_1)
	v_add_co_ci_u32_e32 v65, vcc_lo, s69, v65, vcc_lo
	flat_load_u16 v49, v[64:65]
	s_waitcnt vmcnt(0) lgkmcnt(0)
	v_cvt_f32_f16_e32 v49, v49
	v_mul_f32_e32 v49, v58, v49
	s_branch .LBB52_133
.LBB52_132:
	v_mov_b32_e32 v49, 0
.LBB52_133:
	s_delay_alu instid0(VALU_DEP_1) | instskip(SKIP_1) | instid1(VALU_DEP_2)
	v_add_f32_e32 v160, v160, v49
	v_max_f32_e32 v37, v37, v37
	v_add_f32_e32 v49, 0x40051340, v160
	s_delay_alu instid0(VALU_DEP_1)
	v_max_f32_e32 v37, v37, v49
.LBB52_134:
	s_or_b32 exec_lo, exec_lo, s19
	s_and_saveexec_b32 s19, s7
	s_cbranch_execz .LBB52_139
; %bb.135:
	v_cmp_ne_u32_e32 vcc_lo, 1, v50
	s_cbranch_vccnz .LBB52_137
; %bb.136:
	v_ashrrev_i32_e32 v49, 31, v48
	v_add_co_u32 v48, vcc_lo, v48, v93
	s_delay_alu instid0(VALU_DEP_2) | instskip(NEXT) | instid1(VALU_DEP_1)
	v_add_co_ci_u32_e32 v49, vcc_lo, 0, v49, vcc_lo
	v_lshlrev_b64 v[48:49], 1, v[48:49]
	s_delay_alu instid0(VALU_DEP_1) | instskip(NEXT) | instid1(VALU_DEP_2)
	v_add_co_u32 v48, vcc_lo, s68, v48
	v_add_co_ci_u32_e32 v49, vcc_lo, s69, v49, vcc_lo
	flat_load_u16 v48, v[48:49] offset:64
	s_waitcnt vmcnt(0) lgkmcnt(0)
	v_cvt_f32_f16_e32 v48, v48
	s_delay_alu instid0(VALU_DEP_1)
	v_mul_f32_e32 v48, v58, v48
	s_branch .LBB52_138
.LBB52_137:
	v_mov_b32_e32 v48, 0
.LBB52_138:
	s_delay_alu instid0(VALU_DEP_1) | instskip(SKIP_1) | instid1(VALU_DEP_2)
	v_add_f32_e32 v161, v161, v48
	v_max_f32_e32 v37, v37, v37
	v_add_f32_e32 v48, 0x40051340, v161
	s_delay_alu instid0(VALU_DEP_1)
	v_max_f32_e32 v37, v37, v48
.LBB52_139:
	s_or_b32 exec_lo, exec_lo, s19
	ds_bpermute_b32 v48, v51, v37
	v_mul_hi_u32 v49, s8, v117
	s_waitcnt lgkmcnt(0)
	v_dual_max_f32 v37, v37, v37 :: v_dual_max_f32 v48, v48, v48
	s_delay_alu instid0(VALU_DEP_1) | instskip(SKIP_3) | instid1(VALU_DEP_1)
	v_max_f32_e32 v37, v37, v48
	ds_bpermute_b32 v48, v52, v37
	s_waitcnt lgkmcnt(0)
	v_max_f32_e32 v48, v48, v48
	v_max_f32_e32 v37, v37, v48
	ds_bpermute_b32 v48, v53, v37
	s_waitcnt lgkmcnt(0)
	v_max_f32_e32 v48, v48, v48
	s_delay_alu instid0(VALU_DEP_1) | instskip(SKIP_3) | instid1(VALU_DEP_1)
	v_max_f32_e32 v37, v37, v48
	ds_bpermute_b32 v48, v54, v37
	s_waitcnt lgkmcnt(0)
	v_max_f32_e32 v48, v48, v48
	v_max_f32_e32 v37, v37, v48
	v_add_nc_u32_e32 v48, v117, v49
	ds_bpermute_b32 v49, v55, v37
	v_lshrrev_b32_e32 v48, s9, v48
	s_delay_alu instid0(VALU_DEP_1) | instskip(NEXT) | instid1(VALU_DEP_1)
	v_mul_lo_u32 v48, v48, s10
	v_sub_nc_u32_e32 v56, v117, v48
	s_waitcnt lgkmcnt(0)
	v_max_f32_e32 v64, v49, v49
	s_delay_alu instid0(VALU_DEP_2) | instskip(NEXT) | instid1(VALU_DEP_2)
	v_mad_u64_u32 v[48:49], null, v56, s22, s[12:13]
	v_max_f32_e32 v37, v37, v64
	s_and_saveexec_b32 s19, s6
	s_cbranch_execz .LBB52_144
; %bb.140:
	v_cmp_ne_u32_e32 vcc_lo, 1, v50
	s_cbranch_vccnz .LBB52_142
; %bb.141:
	s_delay_alu instid0(VALU_DEP_3) | instskip(NEXT) | instid1(VALU_DEP_1)
	v_add_nc_u32_e32 v64, v48, v93
	v_ashrrev_i32_e32 v65, 31, v64
	s_delay_alu instid0(VALU_DEP_1) | instskip(NEXT) | instid1(VALU_DEP_1)
	v_lshlrev_b64 v[64:65], 1, v[64:65]
	v_add_co_u32 v64, vcc_lo, s68, v64
	s_delay_alu instid0(VALU_DEP_2) | instskip(SKIP_3) | instid1(VALU_DEP_1)
	v_add_co_ci_u32_e32 v65, vcc_lo, s69, v65, vcc_lo
	flat_load_u16 v49, v[64:65]
	s_waitcnt vmcnt(0) lgkmcnt(0)
	v_cvt_f32_f16_e32 v49, v49
	v_mul_f32_e32 v49, v58, v49
	s_branch .LBB52_143
.LBB52_142:
	v_mov_b32_e32 v49, 0
.LBB52_143:
	s_delay_alu instid0(VALU_DEP_1) | instskip(NEXT) | instid1(VALU_DEP_1)
	v_dual_add_f32 v157, v157, v49 :: v_dual_max_f32 v38, v38, v38
	v_add_f32_e32 v49, 0x40051340, v157
	s_delay_alu instid0(VALU_DEP_1)
	v_max_f32_e32 v38, v38, v49
.LBB52_144:
	s_or_b32 exec_lo, exec_lo, s19
	s_and_saveexec_b32 s19, s7
	s_cbranch_execz .LBB52_149
; %bb.145:
	v_cmp_ne_u32_e32 vcc_lo, 1, v50
	s_cbranch_vccnz .LBB52_147
; %bb.146:
	v_ashrrev_i32_e32 v49, 31, v48
	v_add_co_u32 v48, vcc_lo, v48, v93
	s_delay_alu instid0(VALU_DEP_2) | instskip(NEXT) | instid1(VALU_DEP_1)
	v_add_co_ci_u32_e32 v49, vcc_lo, 0, v49, vcc_lo
	v_lshlrev_b64 v[48:49], 1, v[48:49]
	s_delay_alu instid0(VALU_DEP_1) | instskip(NEXT) | instid1(VALU_DEP_2)
	v_add_co_u32 v48, vcc_lo, s68, v48
	v_add_co_ci_u32_e32 v49, vcc_lo, s69, v49, vcc_lo
	flat_load_u16 v48, v[48:49] offset:64
	s_waitcnt vmcnt(0) lgkmcnt(0)
	v_cvt_f32_f16_e32 v48, v48
	s_delay_alu instid0(VALU_DEP_1)
	v_mul_f32_e32 v48, v58, v48
	s_branch .LBB52_148
.LBB52_147:
	v_mov_b32_e32 v48, 0
.LBB52_148:
	s_delay_alu instid0(VALU_DEP_1) | instskip(NEXT) | instid1(VALU_DEP_1)
	v_dual_add_f32 v159, v159, v48 :: v_dual_max_f32 v38, v38, v38
	v_add_f32_e32 v48, 0x40051340, v159
	s_delay_alu instid0(VALU_DEP_1)
	v_max_f32_e32 v38, v38, v48
.LBB52_149:
	s_or_b32 exec_lo, exec_lo, s19
	ds_bpermute_b32 v48, v51, v38
	v_max_f32_e32 v38, v38, v38
	v_mul_hi_u32 v49, s8, v116
	s_waitcnt lgkmcnt(0)
	v_max_f32_e32 v48, v48, v48
	s_delay_alu instid0(VALU_DEP_1) | instskip(SKIP_3) | instid1(VALU_DEP_1)
	v_max_f32_e32 v38, v38, v48
	ds_bpermute_b32 v48, v52, v38
	s_waitcnt lgkmcnt(0)
	v_max_f32_e32 v48, v48, v48
	v_max_f32_e32 v38, v38, v48
	ds_bpermute_b32 v48, v53, v38
	s_waitcnt lgkmcnt(0)
	v_max_f32_e32 v48, v48, v48
	s_delay_alu instid0(VALU_DEP_1) | instskip(SKIP_3) | instid1(VALU_DEP_1)
	v_max_f32_e32 v38, v38, v48
	ds_bpermute_b32 v48, v54, v38
	s_waitcnt lgkmcnt(0)
	v_max_f32_e32 v48, v48, v48
	v_max_f32_e32 v38, v38, v48
	v_add_nc_u32_e32 v48, v116, v49
	ds_bpermute_b32 v49, v55, v38
	v_lshrrev_b32_e32 v48, s9, v48
	s_delay_alu instid0(VALU_DEP_1) | instskip(NEXT) | instid1(VALU_DEP_1)
	v_mul_lo_u32 v48, v48, s10
	v_sub_nc_u32_e32 v56, v116, v48
	s_waitcnt lgkmcnt(0)
	v_max_f32_e32 v64, v49, v49
	s_delay_alu instid0(VALU_DEP_2) | instskip(NEXT) | instid1(VALU_DEP_2)
	v_mad_u64_u32 v[48:49], null, v56, s22, s[12:13]
	v_max_f32_e32 v38, v38, v64
	s_and_saveexec_b32 s19, s6
	s_cbranch_execz .LBB52_154
; %bb.150:
	v_cmp_ne_u32_e32 vcc_lo, 1, v50
	s_cbranch_vccnz .LBB52_152
; %bb.151:
	s_delay_alu instid0(VALU_DEP_3) | instskip(NEXT) | instid1(VALU_DEP_1)
	v_add_nc_u32_e32 v64, v48, v93
	v_ashrrev_i32_e32 v65, 31, v64
	s_delay_alu instid0(VALU_DEP_1) | instskip(NEXT) | instid1(VALU_DEP_1)
	v_lshlrev_b64 v[64:65], 1, v[64:65]
	v_add_co_u32 v64, vcc_lo, s68, v64
	s_delay_alu instid0(VALU_DEP_2) | instskip(SKIP_3) | instid1(VALU_DEP_1)
	v_add_co_ci_u32_e32 v65, vcc_lo, s69, v65, vcc_lo
	flat_load_u16 v49, v[64:65]
	s_waitcnt vmcnt(0) lgkmcnt(0)
	v_cvt_f32_f16_e32 v49, v49
	v_mul_f32_e32 v49, v58, v49
	s_branch .LBB52_153
.LBB52_152:
	v_mov_b32_e32 v49, 0
.LBB52_153:
	s_delay_alu instid0(VALU_DEP_1) | instskip(NEXT) | instid1(VALU_DEP_1)
	v_dual_add_f32 v156, v156, v49 :: v_dual_max_f32 v39, v39, v39
	v_add_f32_e32 v49, 0x40051340, v156
	s_delay_alu instid0(VALU_DEP_1)
	v_max_f32_e32 v39, v39, v49
.LBB52_154:
	s_or_b32 exec_lo, exec_lo, s19
	s_and_saveexec_b32 s19, s7
	s_cbranch_execz .LBB52_159
; %bb.155:
	v_cmp_ne_u32_e32 vcc_lo, 1, v50
	s_cbranch_vccnz .LBB52_157
; %bb.156:
	v_ashrrev_i32_e32 v49, 31, v48
	v_add_co_u32 v48, vcc_lo, v48, v93
	s_delay_alu instid0(VALU_DEP_2) | instskip(NEXT) | instid1(VALU_DEP_1)
	v_add_co_ci_u32_e32 v49, vcc_lo, 0, v49, vcc_lo
	v_lshlrev_b64 v[48:49], 1, v[48:49]
	s_delay_alu instid0(VALU_DEP_1) | instskip(NEXT) | instid1(VALU_DEP_2)
	v_add_co_u32 v48, vcc_lo, s68, v48
	v_add_co_ci_u32_e32 v49, vcc_lo, s69, v49, vcc_lo
	flat_load_u16 v48, v[48:49] offset:64
	s_waitcnt vmcnt(0) lgkmcnt(0)
	v_cvt_f32_f16_e32 v48, v48
	s_delay_alu instid0(VALU_DEP_1)
	v_mul_f32_e32 v48, v58, v48
	s_branch .LBB52_158
.LBB52_157:
	v_mov_b32_e32 v48, 0
.LBB52_158:
	s_delay_alu instid0(VALU_DEP_1) | instskip(NEXT) | instid1(VALU_DEP_1)
	v_dual_add_f32 v158, v158, v48 :: v_dual_max_f32 v39, v39, v39
	v_add_f32_e32 v48, 0x40051340, v158
	s_delay_alu instid0(VALU_DEP_1)
	v_max_f32_e32 v39, v39, v48
.LBB52_159:
	s_or_b32 exec_lo, exec_lo, s19
	ds_bpermute_b32 v48, v51, v39
	v_mul_hi_u32 v49, s8, v115
	s_waitcnt lgkmcnt(0)
	v_dual_max_f32 v39, v39, v39 :: v_dual_max_f32 v48, v48, v48
	s_delay_alu instid0(VALU_DEP_1) | instskip(SKIP_3) | instid1(VALU_DEP_1)
	v_max_f32_e32 v39, v39, v48
	ds_bpermute_b32 v48, v52, v39
	s_waitcnt lgkmcnt(0)
	v_max_f32_e32 v48, v48, v48
	v_max_f32_e32 v39, v39, v48
	ds_bpermute_b32 v48, v53, v39
	s_waitcnt lgkmcnt(0)
	v_max_f32_e32 v48, v48, v48
	s_delay_alu instid0(VALU_DEP_1) | instskip(SKIP_3) | instid1(VALU_DEP_1)
	v_max_f32_e32 v39, v39, v48
	ds_bpermute_b32 v48, v54, v39
	s_waitcnt lgkmcnt(0)
	v_max_f32_e32 v48, v48, v48
	v_max_f32_e32 v39, v39, v48
	v_add_nc_u32_e32 v48, v115, v49
	ds_bpermute_b32 v49, v55, v39
	v_lshrrev_b32_e32 v48, s9, v48
	s_delay_alu instid0(VALU_DEP_1) | instskip(NEXT) | instid1(VALU_DEP_1)
	v_mul_lo_u32 v48, v48, s10
	v_sub_nc_u32_e32 v56, v115, v48
	s_waitcnt lgkmcnt(0)
	v_max_f32_e32 v64, v49, v49
	s_delay_alu instid0(VALU_DEP_2) | instskip(NEXT) | instid1(VALU_DEP_2)
	v_mad_u64_u32 v[48:49], null, v56, s22, s[12:13]
	v_max_f32_e32 v39, v39, v64
	s_and_saveexec_b32 s19, s6
	s_cbranch_execz .LBB52_164
; %bb.160:
	v_cmp_ne_u32_e32 vcc_lo, 1, v50
	s_cbranch_vccnz .LBB52_162
; %bb.161:
	s_delay_alu instid0(VALU_DEP_3) | instskip(NEXT) | instid1(VALU_DEP_1)
	v_add_nc_u32_e32 v64, v48, v93
	v_ashrrev_i32_e32 v65, 31, v64
	s_delay_alu instid0(VALU_DEP_1) | instskip(NEXT) | instid1(VALU_DEP_1)
	v_lshlrev_b64 v[64:65], 1, v[64:65]
	v_add_co_u32 v64, vcc_lo, s68, v64
	s_delay_alu instid0(VALU_DEP_2) | instskip(SKIP_3) | instid1(VALU_DEP_1)
	v_add_co_ci_u32_e32 v65, vcc_lo, s69, v65, vcc_lo
	flat_load_u16 v49, v[64:65]
	s_waitcnt vmcnt(0) lgkmcnt(0)
	v_cvt_f32_f16_e32 v49, v49
	v_mul_f32_e32 v49, v58, v49
	s_branch .LBB52_163
.LBB52_162:
	v_mov_b32_e32 v49, 0
.LBB52_163:
	s_delay_alu instid0(VALU_DEP_1) | instskip(NEXT) | instid1(VALU_DEP_1)
	v_add_f32_e32 v154, v154, v49
	v_dual_max_f32 v40, v40, v40 :: v_dual_add_f32 v49, 0x40051340, v154
	s_delay_alu instid0(VALU_DEP_1)
	v_max_f32_e32 v40, v40, v49
.LBB52_164:
	s_or_b32 exec_lo, exec_lo, s19
	s_and_saveexec_b32 s19, s7
	s_cbranch_execz .LBB52_169
; %bb.165:
	v_cmp_ne_u32_e32 vcc_lo, 1, v50
	s_cbranch_vccnz .LBB52_167
; %bb.166:
	v_ashrrev_i32_e32 v49, 31, v48
	v_add_co_u32 v48, vcc_lo, v48, v93
	s_delay_alu instid0(VALU_DEP_2) | instskip(NEXT) | instid1(VALU_DEP_1)
	v_add_co_ci_u32_e32 v49, vcc_lo, 0, v49, vcc_lo
	v_lshlrev_b64 v[48:49], 1, v[48:49]
	s_delay_alu instid0(VALU_DEP_1) | instskip(NEXT) | instid1(VALU_DEP_2)
	v_add_co_u32 v48, vcc_lo, s68, v48
	v_add_co_ci_u32_e32 v49, vcc_lo, s69, v49, vcc_lo
	flat_load_u16 v48, v[48:49] offset:64
	s_waitcnt vmcnt(0) lgkmcnt(0)
	v_cvt_f32_f16_e32 v48, v48
	s_delay_alu instid0(VALU_DEP_1)
	v_mul_f32_e32 v48, v58, v48
	s_branch .LBB52_168
.LBB52_167:
	v_mov_b32_e32 v48, 0
.LBB52_168:
	s_delay_alu instid0(VALU_DEP_1) | instskip(SKIP_1) | instid1(VALU_DEP_2)
	v_add_f32_e32 v155, v155, v48
	v_max_f32_e32 v40, v40, v40
	v_add_f32_e32 v48, 0x40051340, v155
	s_delay_alu instid0(VALU_DEP_1)
	v_max_f32_e32 v40, v40, v48
.LBB52_169:
	s_or_b32 exec_lo, exec_lo, s19
	ds_bpermute_b32 v48, v51, v40
	v_max_f32_e32 v40, v40, v40
	v_mul_hi_u32 v49, s8, v113
	s_waitcnt lgkmcnt(0)
	v_max_f32_e32 v48, v48, v48
	s_delay_alu instid0(VALU_DEP_1) | instskip(SKIP_3) | instid1(VALU_DEP_1)
	v_max_f32_e32 v40, v40, v48
	ds_bpermute_b32 v48, v52, v40
	s_waitcnt lgkmcnt(0)
	v_max_f32_e32 v48, v48, v48
	v_max_f32_e32 v40, v40, v48
	ds_bpermute_b32 v48, v53, v40
	s_waitcnt lgkmcnt(0)
	v_max_f32_e32 v48, v48, v48
	s_delay_alu instid0(VALU_DEP_1) | instskip(SKIP_3) | instid1(VALU_DEP_1)
	v_max_f32_e32 v40, v40, v48
	ds_bpermute_b32 v48, v54, v40
	s_waitcnt lgkmcnt(0)
	v_max_f32_e32 v48, v48, v48
	v_max_f32_e32 v40, v40, v48
	v_add_nc_u32_e32 v48, v113, v49
	ds_bpermute_b32 v49, v55, v40
	v_lshrrev_b32_e32 v48, s9, v48
	s_delay_alu instid0(VALU_DEP_1) | instskip(NEXT) | instid1(VALU_DEP_1)
	v_mul_lo_u32 v48, v48, s10
	v_sub_nc_u32_e32 v56, v113, v48
	s_waitcnt lgkmcnt(0)
	v_max_f32_e32 v64, v49, v49
	s_delay_alu instid0(VALU_DEP_2) | instskip(NEXT) | instid1(VALU_DEP_2)
	v_mad_u64_u32 v[48:49], null, v56, s22, s[12:13]
	v_max_f32_e32 v40, v40, v64
	s_and_saveexec_b32 s19, s6
	s_cbranch_execz .LBB52_174
; %bb.170:
	v_cmp_ne_u32_e32 vcc_lo, 1, v50
	s_cbranch_vccnz .LBB52_172
; %bb.171:
	s_delay_alu instid0(VALU_DEP_3) | instskip(NEXT) | instid1(VALU_DEP_1)
	v_add_nc_u32_e32 v64, v48, v93
	v_ashrrev_i32_e32 v65, 31, v64
	s_delay_alu instid0(VALU_DEP_1) | instskip(NEXT) | instid1(VALU_DEP_1)
	v_lshlrev_b64 v[64:65], 1, v[64:65]
	v_add_co_u32 v64, vcc_lo, s68, v64
	s_delay_alu instid0(VALU_DEP_2) | instskip(SKIP_3) | instid1(VALU_DEP_1)
	v_add_co_ci_u32_e32 v65, vcc_lo, s69, v65, vcc_lo
	flat_load_u16 v49, v[64:65]
	s_waitcnt vmcnt(0) lgkmcnt(0)
	v_cvt_f32_f16_e32 v49, v49
	v_mul_f32_e32 v49, v58, v49
	s_branch .LBB52_173
.LBB52_172:
	v_mov_b32_e32 v49, 0
.LBB52_173:
	s_delay_alu instid0(VALU_DEP_1) | instskip(SKIP_1) | instid1(VALU_DEP_2)
	v_add_f32_e32 v152, v152, v49
	v_max_f32_e32 v41, v41, v41
	v_add_f32_e32 v49, 0x40051340, v152
	s_delay_alu instid0(VALU_DEP_1)
	v_max_f32_e32 v41, v41, v49
.LBB52_174:
	s_or_b32 exec_lo, exec_lo, s19
	s_and_saveexec_b32 s19, s7
	s_cbranch_execz .LBB52_179
; %bb.175:
	v_cmp_ne_u32_e32 vcc_lo, 1, v50
	s_cbranch_vccnz .LBB52_177
; %bb.176:
	v_ashrrev_i32_e32 v49, 31, v48
	v_add_co_u32 v48, vcc_lo, v48, v93
	s_delay_alu instid0(VALU_DEP_2) | instskip(NEXT) | instid1(VALU_DEP_1)
	v_add_co_ci_u32_e32 v49, vcc_lo, 0, v49, vcc_lo
	v_lshlrev_b64 v[48:49], 1, v[48:49]
	s_delay_alu instid0(VALU_DEP_1) | instskip(NEXT) | instid1(VALU_DEP_2)
	v_add_co_u32 v48, vcc_lo, s68, v48
	v_add_co_ci_u32_e32 v49, vcc_lo, s69, v49, vcc_lo
	flat_load_u16 v48, v[48:49] offset:64
	s_waitcnt vmcnt(0) lgkmcnt(0)
	v_cvt_f32_f16_e32 v48, v48
	s_delay_alu instid0(VALU_DEP_1)
	v_mul_f32_e32 v48, v58, v48
	s_branch .LBB52_178
.LBB52_177:
	v_mov_b32_e32 v48, 0
.LBB52_178:
	s_delay_alu instid0(VALU_DEP_1) | instskip(SKIP_1) | instid1(VALU_DEP_2)
	v_add_f32_e32 v153, v153, v48
	v_max_f32_e32 v41, v41, v41
	v_add_f32_e32 v48, 0x40051340, v153
	s_delay_alu instid0(VALU_DEP_1)
	v_max_f32_e32 v41, v41, v48
.LBB52_179:
	s_or_b32 exec_lo, exec_lo, s19
	ds_bpermute_b32 v48, v51, v41
	v_mul_hi_u32 v49, s8, v112
	s_waitcnt lgkmcnt(0)
	v_dual_max_f32 v41, v41, v41 :: v_dual_max_f32 v48, v48, v48
	s_delay_alu instid0(VALU_DEP_1) | instskip(SKIP_3) | instid1(VALU_DEP_1)
	v_max_f32_e32 v41, v41, v48
	ds_bpermute_b32 v48, v52, v41
	s_waitcnt lgkmcnt(0)
	v_max_f32_e32 v48, v48, v48
	v_max_f32_e32 v41, v41, v48
	ds_bpermute_b32 v48, v53, v41
	s_waitcnt lgkmcnt(0)
	v_max_f32_e32 v48, v48, v48
	s_delay_alu instid0(VALU_DEP_1) | instskip(SKIP_3) | instid1(VALU_DEP_1)
	v_max_f32_e32 v41, v41, v48
	ds_bpermute_b32 v48, v54, v41
	s_waitcnt lgkmcnt(0)
	v_max_f32_e32 v48, v48, v48
	v_dual_max_f32 v41, v41, v48 :: v_dual_add_nc_u32 v48, v112, v49
	ds_bpermute_b32 v49, v55, v41
	v_lshrrev_b32_e32 v48, s9, v48
	s_delay_alu instid0(VALU_DEP_1) | instskip(NEXT) | instid1(VALU_DEP_1)
	v_mul_lo_u32 v48, v48, s10
	v_sub_nc_u32_e32 v56, v112, v48
	s_waitcnt lgkmcnt(0)
	v_max_f32_e32 v64, v49, v49
	s_delay_alu instid0(VALU_DEP_2) | instskip(NEXT) | instid1(VALU_DEP_2)
	v_mad_u64_u32 v[48:49], null, v56, s22, s[12:13]
	v_max_f32_e32 v41, v41, v64
	s_and_saveexec_b32 s19, s6
	s_cbranch_execz .LBB52_184
; %bb.180:
	v_cmp_ne_u32_e32 vcc_lo, 1, v50
	s_cbranch_vccnz .LBB52_182
; %bb.181:
	s_delay_alu instid0(VALU_DEP_3) | instskip(NEXT) | instid1(VALU_DEP_1)
	v_add_nc_u32_e32 v64, v48, v93
	v_ashrrev_i32_e32 v65, 31, v64
	s_delay_alu instid0(VALU_DEP_1) | instskip(NEXT) | instid1(VALU_DEP_1)
	v_lshlrev_b64 v[64:65], 1, v[64:65]
	v_add_co_u32 v64, vcc_lo, s68, v64
	s_delay_alu instid0(VALU_DEP_2) | instskip(SKIP_3) | instid1(VALU_DEP_1)
	v_add_co_ci_u32_e32 v65, vcc_lo, s69, v65, vcc_lo
	flat_load_u16 v49, v[64:65]
	s_waitcnt vmcnt(0) lgkmcnt(0)
	v_cvt_f32_f16_e32 v49, v49
	v_mul_f32_e32 v49, v58, v49
	s_branch .LBB52_183
.LBB52_182:
	v_mov_b32_e32 v49, 0
.LBB52_183:
	s_delay_alu instid0(VALU_DEP_1) | instskip(SKIP_1) | instid1(VALU_DEP_2)
	v_add_f32_e32 v150, v150, v49
	v_max_f32_e32 v42, v42, v42
	v_add_f32_e32 v49, 0x40051340, v150
	s_delay_alu instid0(VALU_DEP_1)
	v_max_f32_e32 v42, v42, v49
.LBB52_184:
	s_or_b32 exec_lo, exec_lo, s19
	s_and_saveexec_b32 s19, s7
	s_cbranch_execz .LBB52_189
; %bb.185:
	v_cmp_ne_u32_e32 vcc_lo, 1, v50
	s_cbranch_vccnz .LBB52_187
; %bb.186:
	v_ashrrev_i32_e32 v49, 31, v48
	v_add_co_u32 v48, vcc_lo, v48, v93
	s_delay_alu instid0(VALU_DEP_2) | instskip(NEXT) | instid1(VALU_DEP_1)
	v_add_co_ci_u32_e32 v49, vcc_lo, 0, v49, vcc_lo
	v_lshlrev_b64 v[48:49], 1, v[48:49]
	s_delay_alu instid0(VALU_DEP_1) | instskip(NEXT) | instid1(VALU_DEP_2)
	v_add_co_u32 v48, vcc_lo, s68, v48
	v_add_co_ci_u32_e32 v49, vcc_lo, s69, v49, vcc_lo
	flat_load_u16 v48, v[48:49] offset:64
	s_waitcnt vmcnt(0) lgkmcnt(0)
	v_cvt_f32_f16_e32 v48, v48
	s_delay_alu instid0(VALU_DEP_1)
	v_mul_f32_e32 v48, v58, v48
	s_branch .LBB52_188
.LBB52_187:
	v_mov_b32_e32 v48, 0
.LBB52_188:
	s_delay_alu instid0(VALU_DEP_1) | instskip(NEXT) | instid1(VALU_DEP_1)
	v_dual_add_f32 v151, v151, v48 :: v_dual_max_f32 v42, v42, v42
	v_add_f32_e32 v48, 0x40051340, v151
	s_delay_alu instid0(VALU_DEP_1)
	v_max_f32_e32 v42, v42, v48
.LBB52_189:
	s_or_b32 exec_lo, exec_lo, s19
	ds_bpermute_b32 v48, v51, v42
	v_max_f32_e32 v42, v42, v42
	v_mul_hi_u32 v49, s8, v63
	s_waitcnt lgkmcnt(0)
	v_max_f32_e32 v48, v48, v48
	s_delay_alu instid0(VALU_DEP_1) | instskip(SKIP_3) | instid1(VALU_DEP_1)
	v_max_f32_e32 v42, v42, v48
	ds_bpermute_b32 v48, v52, v42
	s_waitcnt lgkmcnt(0)
	v_max_f32_e32 v48, v48, v48
	v_max_f32_e32 v42, v42, v48
	ds_bpermute_b32 v48, v53, v42
	s_waitcnt lgkmcnt(0)
	v_max_f32_e32 v48, v48, v48
	s_delay_alu instid0(VALU_DEP_1) | instskip(SKIP_3) | instid1(VALU_DEP_1)
	v_max_f32_e32 v42, v42, v48
	ds_bpermute_b32 v48, v54, v42
	s_waitcnt lgkmcnt(0)
	v_max_f32_e32 v48, v48, v48
	v_max_f32_e32 v42, v42, v48
	v_add_nc_u32_e32 v48, v63, v49
	ds_bpermute_b32 v49, v55, v42
	v_lshrrev_b32_e32 v48, s9, v48
	s_delay_alu instid0(VALU_DEP_1) | instskip(NEXT) | instid1(VALU_DEP_1)
	v_mul_lo_u32 v48, v48, s10
	v_sub_nc_u32_e32 v56, v63, v48
	s_waitcnt lgkmcnt(0)
	v_max_f32_e32 v63, v49, v49
	s_delay_alu instid0(VALU_DEP_2) | instskip(NEXT) | instid1(VALU_DEP_2)
	v_mad_u64_u32 v[48:49], null, v56, s22, s[12:13]
	v_max_f32_e32 v42, v42, v63
	s_and_saveexec_b32 s19, s6
	s_cbranch_execz .LBB52_194
; %bb.190:
	v_cmp_ne_u32_e32 vcc_lo, 1, v50
	s_cbranch_vccnz .LBB52_192
; %bb.191:
	s_delay_alu instid0(VALU_DEP_3) | instskip(NEXT) | instid1(VALU_DEP_1)
	v_add_nc_u32_e32 v63, v48, v93
	v_ashrrev_i32_e32 v64, 31, v63
	s_delay_alu instid0(VALU_DEP_1) | instskip(NEXT) | instid1(VALU_DEP_1)
	v_lshlrev_b64 v[63:64], 1, v[63:64]
	v_add_co_u32 v63, vcc_lo, s68, v63
	s_delay_alu instid0(VALU_DEP_2) | instskip(SKIP_3) | instid1(VALU_DEP_1)
	v_add_co_ci_u32_e32 v64, vcc_lo, s69, v64, vcc_lo
	flat_load_u16 v49, v[63:64]
	s_waitcnt vmcnt(0) lgkmcnt(0)
	v_cvt_f32_f16_e32 v49, v49
	v_mul_f32_e32 v49, v58, v49
	s_branch .LBB52_193
.LBB52_192:
	v_mov_b32_e32 v49, 0
.LBB52_193:
	s_delay_alu instid0(VALU_DEP_1) | instskip(NEXT) | instid1(VALU_DEP_1)
	v_dual_add_f32 v148, v148, v49 :: v_dual_max_f32 v43, v43, v43
	v_add_f32_e32 v49, 0x40051340, v148
	s_delay_alu instid0(VALU_DEP_1)
	v_max_f32_e32 v43, v43, v49
.LBB52_194:
	s_or_b32 exec_lo, exec_lo, s19
	s_and_saveexec_b32 s19, s7
	s_cbranch_execz .LBB52_199
; %bb.195:
	v_cmp_ne_u32_e32 vcc_lo, 1, v50
	s_cbranch_vccnz .LBB52_197
; %bb.196:
	v_ashrrev_i32_e32 v49, 31, v48
	v_add_co_u32 v48, vcc_lo, v48, v93
	s_delay_alu instid0(VALU_DEP_2) | instskip(NEXT) | instid1(VALU_DEP_1)
	v_add_co_ci_u32_e32 v49, vcc_lo, 0, v49, vcc_lo
	v_lshlrev_b64 v[48:49], 1, v[48:49]
	s_delay_alu instid0(VALU_DEP_1) | instskip(NEXT) | instid1(VALU_DEP_2)
	v_add_co_u32 v48, vcc_lo, s68, v48
	v_add_co_ci_u32_e32 v49, vcc_lo, s69, v49, vcc_lo
	flat_load_u16 v48, v[48:49] offset:64
	s_waitcnt vmcnt(0) lgkmcnt(0)
	v_cvt_f32_f16_e32 v48, v48
	s_delay_alu instid0(VALU_DEP_1)
	v_mul_f32_e32 v48, v58, v48
	s_branch .LBB52_198
.LBB52_197:
	v_mov_b32_e32 v48, 0
.LBB52_198:
	s_delay_alu instid0(VALU_DEP_1) | instskip(NEXT) | instid1(VALU_DEP_1)
	v_add_f32_e32 v149, v149, v48
	v_dual_max_f32 v43, v43, v43 :: v_dual_add_f32 v48, 0x40051340, v149
	s_delay_alu instid0(VALU_DEP_1)
	v_max_f32_e32 v43, v43, v48
.LBB52_199:
	s_or_b32 exec_lo, exec_lo, s19
	ds_bpermute_b32 v48, v51, v43
	v_mul_hi_u32 v49, s8, v62
	s_waitcnt lgkmcnt(0)
	v_dual_max_f32 v43, v43, v43 :: v_dual_max_f32 v48, v48, v48
	s_delay_alu instid0(VALU_DEP_1) | instskip(SKIP_3) | instid1(VALU_DEP_1)
	v_max_f32_e32 v43, v43, v48
	ds_bpermute_b32 v48, v52, v43
	s_waitcnt lgkmcnt(0)
	v_max_f32_e32 v48, v48, v48
	v_max_f32_e32 v43, v43, v48
	ds_bpermute_b32 v48, v53, v43
	s_waitcnt lgkmcnt(0)
	v_max_f32_e32 v48, v48, v48
	s_delay_alu instid0(VALU_DEP_1) | instskip(SKIP_3) | instid1(VALU_DEP_1)
	v_max_f32_e32 v43, v43, v48
	ds_bpermute_b32 v48, v54, v43
	s_waitcnt lgkmcnt(0)
	v_max_f32_e32 v48, v48, v48
	v_dual_max_f32 v43, v43, v48 :: v_dual_add_nc_u32 v48, v62, v49
	ds_bpermute_b32 v49, v55, v43
	v_lshrrev_b32_e32 v48, s9, v48
	s_delay_alu instid0(VALU_DEP_1) | instskip(NEXT) | instid1(VALU_DEP_1)
	v_mul_lo_u32 v48, v48, s10
	v_sub_nc_u32_e32 v56, v62, v48
	s_waitcnt lgkmcnt(0)
	v_max_f32_e32 v62, v49, v49
	s_delay_alu instid0(VALU_DEP_2) | instskip(NEXT) | instid1(VALU_DEP_2)
	v_mad_u64_u32 v[48:49], null, v56, s22, s[12:13]
	v_max_f32_e32 v43, v43, v62
	s_and_saveexec_b32 s19, s6
	s_cbranch_execz .LBB52_204
; %bb.200:
	v_cmp_ne_u32_e32 vcc_lo, 1, v50
	s_cbranch_vccnz .LBB52_202
; %bb.201:
	s_delay_alu instid0(VALU_DEP_3) | instskip(NEXT) | instid1(VALU_DEP_1)
	v_add_nc_u32_e32 v62, v48, v93
	v_ashrrev_i32_e32 v63, 31, v62
	s_delay_alu instid0(VALU_DEP_1) | instskip(NEXT) | instid1(VALU_DEP_1)
	v_lshlrev_b64 v[62:63], 1, v[62:63]
	v_add_co_u32 v62, vcc_lo, s68, v62
	s_delay_alu instid0(VALU_DEP_2) | instskip(SKIP_3) | instid1(VALU_DEP_1)
	v_add_co_ci_u32_e32 v63, vcc_lo, s69, v63, vcc_lo
	flat_load_u16 v49, v[62:63]
	s_waitcnt vmcnt(0) lgkmcnt(0)
	v_cvt_f32_f16_e32 v49, v49
	v_mul_f32_e32 v49, v58, v49
	s_branch .LBB52_203
.LBB52_202:
	v_mov_b32_e32 v49, 0
.LBB52_203:
	s_delay_alu instid0(VALU_DEP_1) | instskip(NEXT) | instid1(VALU_DEP_1)
	v_add_f32_e32 v146, v146, v49
	v_dual_max_f32 v44, v44, v44 :: v_dual_add_f32 v49, 0x40051340, v146
	s_delay_alu instid0(VALU_DEP_1)
	v_max_f32_e32 v44, v44, v49
.LBB52_204:
	s_or_b32 exec_lo, exec_lo, s19
	s_and_saveexec_b32 s19, s7
	s_cbranch_execz .LBB52_209
; %bb.205:
	v_cmp_ne_u32_e32 vcc_lo, 1, v50
	s_cbranch_vccnz .LBB52_207
; %bb.206:
	v_ashrrev_i32_e32 v49, 31, v48
	v_add_co_u32 v48, vcc_lo, v48, v93
	s_delay_alu instid0(VALU_DEP_2) | instskip(NEXT) | instid1(VALU_DEP_1)
	v_add_co_ci_u32_e32 v49, vcc_lo, 0, v49, vcc_lo
	v_lshlrev_b64 v[48:49], 1, v[48:49]
	s_delay_alu instid0(VALU_DEP_1) | instskip(NEXT) | instid1(VALU_DEP_2)
	v_add_co_u32 v48, vcc_lo, s68, v48
	v_add_co_ci_u32_e32 v49, vcc_lo, s69, v49, vcc_lo
	flat_load_u16 v48, v[48:49] offset:64
	s_waitcnt vmcnt(0) lgkmcnt(0)
	v_cvt_f32_f16_e32 v48, v48
	s_delay_alu instid0(VALU_DEP_1)
	v_mul_f32_e32 v48, v58, v48
	s_branch .LBB52_208
.LBB52_207:
	v_mov_b32_e32 v48, 0
.LBB52_208:
	s_delay_alu instid0(VALU_DEP_1) | instskip(SKIP_1) | instid1(VALU_DEP_2)
	v_add_f32_e32 v147, v147, v48
	v_max_f32_e32 v44, v44, v44
	v_add_f32_e32 v48, 0x40051340, v147
	s_delay_alu instid0(VALU_DEP_1)
	v_max_f32_e32 v44, v44, v48
.LBB52_209:
	s_or_b32 exec_lo, exec_lo, s19
	ds_bpermute_b32 v48, v51, v44
	v_max_f32_e32 v44, v44, v44
	v_mul_hi_u32 v49, s8, v61
	s_waitcnt lgkmcnt(0)
	v_max_f32_e32 v48, v48, v48
	s_delay_alu instid0(VALU_DEP_1) | instskip(SKIP_3) | instid1(VALU_DEP_1)
	v_max_f32_e32 v44, v44, v48
	ds_bpermute_b32 v48, v52, v44
	s_waitcnt lgkmcnt(0)
	v_max_f32_e32 v48, v48, v48
	v_max_f32_e32 v44, v44, v48
	ds_bpermute_b32 v48, v53, v44
	s_waitcnt lgkmcnt(0)
	v_max_f32_e32 v48, v48, v48
	s_delay_alu instid0(VALU_DEP_1) | instskip(SKIP_3) | instid1(VALU_DEP_1)
	v_max_f32_e32 v44, v44, v48
	ds_bpermute_b32 v48, v54, v44
	s_waitcnt lgkmcnt(0)
	v_max_f32_e32 v48, v48, v48
	v_max_f32_e32 v44, v44, v48
	v_add_nc_u32_e32 v48, v61, v49
	ds_bpermute_b32 v49, v55, v44
	v_lshrrev_b32_e32 v48, s9, v48
	s_delay_alu instid0(VALU_DEP_1) | instskip(NEXT) | instid1(VALU_DEP_1)
	v_mul_lo_u32 v48, v48, s10
	v_sub_nc_u32_e32 v56, v61, v48
	s_waitcnt lgkmcnt(0)
	v_max_f32_e32 v61, v49, v49
	s_delay_alu instid0(VALU_DEP_2) | instskip(NEXT) | instid1(VALU_DEP_2)
	v_mad_u64_u32 v[48:49], null, v56, s22, s[12:13]
	v_max_f32_e32 v44, v44, v61
	s_and_saveexec_b32 s19, s6
	s_cbranch_execz .LBB52_214
; %bb.210:
	v_cmp_ne_u32_e32 vcc_lo, 1, v50
	s_cbranch_vccnz .LBB52_212
; %bb.211:
	s_delay_alu instid0(VALU_DEP_3) | instskip(NEXT) | instid1(VALU_DEP_1)
	v_add_nc_u32_e32 v61, v48, v93
	v_ashrrev_i32_e32 v62, 31, v61
	s_delay_alu instid0(VALU_DEP_1) | instskip(NEXT) | instid1(VALU_DEP_1)
	v_lshlrev_b64 v[61:62], 1, v[61:62]
	v_add_co_u32 v61, vcc_lo, s68, v61
	s_delay_alu instid0(VALU_DEP_2) | instskip(SKIP_3) | instid1(VALU_DEP_1)
	v_add_co_ci_u32_e32 v62, vcc_lo, s69, v62, vcc_lo
	flat_load_u16 v49, v[61:62]
	s_waitcnt vmcnt(0) lgkmcnt(0)
	v_cvt_f32_f16_e32 v49, v49
	v_mul_f32_e32 v49, v58, v49
	s_branch .LBB52_213
.LBB52_212:
	v_mov_b32_e32 v49, 0
.LBB52_213:
	s_delay_alu instid0(VALU_DEP_1) | instskip(SKIP_1) | instid1(VALU_DEP_2)
	v_add_f32_e32 v144, v144, v49
	v_max_f32_e32 v45, v45, v45
	v_add_f32_e32 v49, 0x40051340, v144
	s_delay_alu instid0(VALU_DEP_1)
	v_max_f32_e32 v45, v45, v49
.LBB52_214:
	s_or_b32 exec_lo, exec_lo, s19
	s_and_saveexec_b32 s19, s7
	s_cbranch_execz .LBB52_219
; %bb.215:
	v_cmp_ne_u32_e32 vcc_lo, 1, v50
	s_cbranch_vccnz .LBB52_217
; %bb.216:
	v_ashrrev_i32_e32 v49, 31, v48
	v_add_co_u32 v48, vcc_lo, v48, v93
	s_delay_alu instid0(VALU_DEP_2) | instskip(NEXT) | instid1(VALU_DEP_1)
	v_add_co_ci_u32_e32 v49, vcc_lo, 0, v49, vcc_lo
	v_lshlrev_b64 v[48:49], 1, v[48:49]
	s_delay_alu instid0(VALU_DEP_1) | instskip(NEXT) | instid1(VALU_DEP_2)
	v_add_co_u32 v48, vcc_lo, s68, v48
	v_add_co_ci_u32_e32 v49, vcc_lo, s69, v49, vcc_lo
	flat_load_u16 v48, v[48:49] offset:64
	s_waitcnt vmcnt(0) lgkmcnt(0)
	v_cvt_f32_f16_e32 v48, v48
	s_delay_alu instid0(VALU_DEP_1)
	v_mul_f32_e32 v48, v58, v48
	s_branch .LBB52_218
.LBB52_217:
	v_mov_b32_e32 v48, 0
.LBB52_218:
	s_delay_alu instid0(VALU_DEP_1) | instskip(SKIP_1) | instid1(VALU_DEP_2)
	v_add_f32_e32 v145, v145, v48
	v_max_f32_e32 v45, v45, v45
	v_add_f32_e32 v48, 0x40051340, v145
	s_delay_alu instid0(VALU_DEP_1)
	v_max_f32_e32 v45, v45, v48
.LBB52_219:
	s_or_b32 exec_lo, exec_lo, s19
	ds_bpermute_b32 v48, v51, v45
	v_mul_hi_u32 v49, s8, v60
	s_waitcnt lgkmcnt(0)
	v_dual_max_f32 v45, v45, v45 :: v_dual_max_f32 v48, v48, v48
	s_delay_alu instid0(VALU_DEP_1) | instskip(SKIP_3) | instid1(VALU_DEP_1)
	v_max_f32_e32 v45, v45, v48
	ds_bpermute_b32 v48, v52, v45
	s_waitcnt lgkmcnt(0)
	v_max_f32_e32 v48, v48, v48
	v_max_f32_e32 v45, v45, v48
	ds_bpermute_b32 v48, v53, v45
	s_waitcnt lgkmcnt(0)
	v_max_f32_e32 v48, v48, v48
	s_delay_alu instid0(VALU_DEP_1) | instskip(SKIP_3) | instid1(VALU_DEP_1)
	v_max_f32_e32 v45, v45, v48
	ds_bpermute_b32 v48, v54, v45
	s_waitcnt lgkmcnt(0)
	v_max_f32_e32 v48, v48, v48
	v_dual_max_f32 v45, v45, v48 :: v_dual_add_nc_u32 v48, v60, v49
	ds_bpermute_b32 v49, v55, v45
	v_lshrrev_b32_e32 v48, s9, v48
	s_delay_alu instid0(VALU_DEP_1) | instskip(NEXT) | instid1(VALU_DEP_1)
	v_mul_lo_u32 v48, v48, s10
	v_sub_nc_u32_e32 v56, v60, v48
	s_waitcnt lgkmcnt(0)
	v_max_f32_e32 v60, v49, v49
	s_delay_alu instid0(VALU_DEP_2) | instskip(NEXT) | instid1(VALU_DEP_2)
	v_mad_u64_u32 v[48:49], null, v56, s22, s[12:13]
	v_max_f32_e32 v45, v45, v60
	s_and_saveexec_b32 s19, s6
	s_cbranch_execz .LBB52_224
; %bb.220:
	v_cmp_ne_u32_e32 vcc_lo, 1, v50
	s_cbranch_vccnz .LBB52_222
; %bb.221:
	s_delay_alu instid0(VALU_DEP_3) | instskip(NEXT) | instid1(VALU_DEP_1)
	v_add_nc_u32_e32 v60, v48, v93
	v_ashrrev_i32_e32 v61, 31, v60
	s_delay_alu instid0(VALU_DEP_1) | instskip(NEXT) | instid1(VALU_DEP_1)
	v_lshlrev_b64 v[60:61], 1, v[60:61]
	v_add_co_u32 v60, vcc_lo, s68, v60
	s_delay_alu instid0(VALU_DEP_2) | instskip(SKIP_3) | instid1(VALU_DEP_1)
	v_add_co_ci_u32_e32 v61, vcc_lo, s69, v61, vcc_lo
	flat_load_u16 v49, v[60:61]
	s_waitcnt vmcnt(0) lgkmcnt(0)
	v_cvt_f32_f16_e32 v49, v49
	v_mul_f32_e32 v49, v58, v49
	s_branch .LBB52_223
.LBB52_222:
	v_mov_b32_e32 v49, 0
.LBB52_223:
	s_delay_alu instid0(VALU_DEP_1) | instskip(SKIP_1) | instid1(VALU_DEP_2)
	v_add_f32_e32 v142, v142, v49
	v_max_f32_e32 v46, v46, v46
	v_add_f32_e32 v49, 0x40051340, v142
	s_delay_alu instid0(VALU_DEP_1)
	v_max_f32_e32 v46, v46, v49
.LBB52_224:
	s_or_b32 exec_lo, exec_lo, s19
	s_and_saveexec_b32 s19, s7
	s_cbranch_execz .LBB52_229
; %bb.225:
	v_cmp_ne_u32_e32 vcc_lo, 1, v50
	s_cbranch_vccnz .LBB52_227
; %bb.226:
	v_ashrrev_i32_e32 v49, 31, v48
	v_add_co_u32 v48, vcc_lo, v48, v93
	s_delay_alu instid0(VALU_DEP_2) | instskip(NEXT) | instid1(VALU_DEP_1)
	v_add_co_ci_u32_e32 v49, vcc_lo, 0, v49, vcc_lo
	v_lshlrev_b64 v[48:49], 1, v[48:49]
	s_delay_alu instid0(VALU_DEP_1) | instskip(NEXT) | instid1(VALU_DEP_2)
	v_add_co_u32 v48, vcc_lo, s68, v48
	v_add_co_ci_u32_e32 v49, vcc_lo, s69, v49, vcc_lo
	flat_load_u16 v48, v[48:49] offset:64
	s_waitcnt vmcnt(0) lgkmcnt(0)
	v_cvt_f32_f16_e32 v48, v48
	s_delay_alu instid0(VALU_DEP_1)
	v_mul_f32_e32 v48, v58, v48
	s_branch .LBB52_228
.LBB52_227:
	v_mov_b32_e32 v48, 0
.LBB52_228:
	s_delay_alu instid0(VALU_DEP_1) | instskip(NEXT) | instid1(VALU_DEP_1)
	v_dual_add_f32 v143, v143, v48 :: v_dual_max_f32 v46, v46, v46
	v_add_f32_e32 v48, 0x40051340, v143
	s_delay_alu instid0(VALU_DEP_1)
	v_max_f32_e32 v46, v46, v48
.LBB52_229:
	s_or_b32 exec_lo, exec_lo, s19
	ds_bpermute_b32 v48, v51, v46
	v_max_f32_e32 v46, v46, v46
	v_mul_hi_u32 v49, s8, v59
	s_waitcnt lgkmcnt(0)
	v_max_f32_e32 v48, v48, v48
	s_delay_alu instid0(VALU_DEP_1) | instskip(SKIP_3) | instid1(VALU_DEP_1)
	v_max_f32_e32 v46, v46, v48
	ds_bpermute_b32 v48, v52, v46
	s_waitcnt lgkmcnt(0)
	v_max_f32_e32 v48, v48, v48
	v_max_f32_e32 v46, v46, v48
	ds_bpermute_b32 v48, v53, v46
	s_waitcnt lgkmcnt(0)
	v_max_f32_e32 v48, v48, v48
	s_delay_alu instid0(VALU_DEP_1) | instskip(SKIP_3) | instid1(VALU_DEP_1)
	v_max_f32_e32 v46, v46, v48
	ds_bpermute_b32 v48, v54, v46
	s_waitcnt lgkmcnt(0)
	v_max_f32_e32 v48, v48, v48
	v_max_f32_e32 v46, v46, v48
	v_add_nc_u32_e32 v48, v59, v49
	ds_bpermute_b32 v49, v55, v46
	v_lshrrev_b32_e32 v48, s9, v48
	s_delay_alu instid0(VALU_DEP_1) | instskip(NEXT) | instid1(VALU_DEP_1)
	v_mul_lo_u32 v48, v48, s10
	v_sub_nc_u32_e32 v56, v59, v48
	s_waitcnt lgkmcnt(0)
	v_max_f32_e32 v59, v49, v49
	s_delay_alu instid0(VALU_DEP_2) | instskip(NEXT) | instid1(VALU_DEP_2)
	v_mad_u64_u32 v[48:49], null, v56, s22, s[12:13]
	v_max_f32_e32 v46, v46, v59
	s_and_saveexec_b32 s8, s6
	s_cbranch_execz .LBB52_234
; %bb.230:
	v_cmp_ne_u32_e32 vcc_lo, 1, v50
	s_cbranch_vccnz .LBB52_232
; %bb.231:
	s_delay_alu instid0(VALU_DEP_3) | instskip(NEXT) | instid1(VALU_DEP_1)
	v_add_nc_u32_e32 v59, v48, v93
	v_ashrrev_i32_e32 v60, 31, v59
	s_delay_alu instid0(VALU_DEP_1) | instskip(NEXT) | instid1(VALU_DEP_1)
	v_lshlrev_b64 v[59:60], 1, v[59:60]
	v_add_co_u32 v59, vcc_lo, s68, v59
	s_delay_alu instid0(VALU_DEP_2) | instskip(SKIP_3) | instid1(VALU_DEP_1)
	v_add_co_ci_u32_e32 v60, vcc_lo, s69, v60, vcc_lo
	flat_load_u16 v49, v[59:60]
	s_waitcnt vmcnt(0) lgkmcnt(0)
	v_cvt_f32_f16_e32 v49, v49
	v_mul_f32_e32 v49, v58, v49
	s_branch .LBB52_233
.LBB52_232:
	v_mov_b32_e32 v49, 0
.LBB52_233:
	s_delay_alu instid0(VALU_DEP_1) | instskip(SKIP_1) | instid1(VALU_DEP_2)
	v_add_f32_e32 v141, v141, v49
	v_max_f32_e32 v47, v47, v47
	v_add_f32_e32 v49, 0x40051340, v141
	s_delay_alu instid0(VALU_DEP_1)
	v_max_f32_e32 v47, v47, v49
.LBB52_234:
	s_or_b32 exec_lo, exec_lo, s8
	s_and_saveexec_b32 s6, s7
	s_cbranch_execz .LBB52_239
; %bb.235:
	v_cmp_ne_u32_e32 vcc_lo, 1, v50
	s_cbranch_vccnz .LBB52_237
; %bb.236:
	v_ashrrev_i32_e32 v49, 31, v48
	v_add_co_u32 v48, vcc_lo, v48, v93
	s_delay_alu instid0(VALU_DEP_2) | instskip(NEXT) | instid1(VALU_DEP_1)
	v_add_co_ci_u32_e32 v49, vcc_lo, 0, v49, vcc_lo
	v_lshlrev_b64 v[48:49], 1, v[48:49]
	s_delay_alu instid0(VALU_DEP_1) | instskip(NEXT) | instid1(VALU_DEP_2)
	v_add_co_u32 v48, vcc_lo, s68, v48
	v_add_co_ci_u32_e32 v49, vcc_lo, s69, v49, vcc_lo
	flat_load_u16 v48, v[48:49] offset:64
	s_waitcnt vmcnt(0) lgkmcnt(0)
	v_cvt_f32_f16_e32 v48, v48
	s_delay_alu instid0(VALU_DEP_1)
	v_mul_f32_e32 v48, v58, v48
	s_branch .LBB52_238
.LBB52_237:
	v_mov_b32_e32 v48, 0
.LBB52_238:
	s_delay_alu instid0(VALU_DEP_1) | instskip(NEXT) | instid1(VALU_DEP_1)
	v_dual_add_f32 v140, v140, v48 :: v_dual_max_f32 v47, v47, v47
	v_add_f32_e32 v48, 0x40051340, v140
	s_delay_alu instid0(VALU_DEP_1)
	v_max_f32_e32 v47, v47, v48
.LBB52_239:
	s_or_b32 exec_lo, exec_lo, s6
	ds_bpermute_b32 v48, v51, v47
	v_cmp_gt_u32_e32 vcc_lo, s18, v93
	v_dual_sub_f32 v0, v0, v32 :: v_dual_sub_f32 v3, v3, v35
	v_dual_sub_f32 v4, v4, v36 :: v_dual_sub_f32 v5, v5, v37
	v_dual_sub_f32 v9, v9, v41 :: v_dual_sub_f32 v12, v12, v44
	v_sub_f32_e32 v7, v7, v39
	s_waitcnt lgkmcnt(0)
	s_barrier
	buffer_gl0_inv
	v_sub_f32_e32 v13, v13, v45
	v_sub_f32_e32 v11, v11, v43
	v_max_f32_e32 v47, v47, v47
	v_dual_sub_f32 v1, v1, v33 :: v_dual_sub_f32 v2, v2, v34
	v_sub_f32_e32 v6, v6, v38
	v_sub_f32_e32 v8, v8, v40
	;; [unrolled: 1-line block ×3, first 2 shown]
	v_max_f32_e32 v48, v48, v48
	s_delay_alu instid0(VALU_DEP_1) | instskip(SKIP_3) | instid1(VALU_DEP_1)
	v_dual_sub_f32 v14, v14, v46 :: v_dual_max_f32 v47, v47, v48
	ds_bpermute_b32 v48, v52, v47
	s_waitcnt lgkmcnt(0)
	v_max_f32_e32 v48, v48, v48
	v_max_f32_e32 v47, v47, v48
	ds_bpermute_b32 v48, v53, v47
	s_waitcnt lgkmcnt(0)
	v_max_f32_e32 v48, v48, v48
	s_delay_alu instid0(VALU_DEP_1) | instskip(SKIP_3) | instid1(VALU_DEP_1)
	v_max_f32_e32 v47, v47, v48
	ds_bpermute_b32 v48, v54, v47
	s_waitcnt lgkmcnt(0)
	v_max_f32_e32 v48, v48, v48
	v_max_f32_e32 v47, v47, v48
	ds_bpermute_b32 v48, v55, v47
	s_waitcnt lgkmcnt(0)
	v_max_f32_e32 v48, v48, v48
	s_delay_alu instid0(VALU_DEP_1) | instskip(SKIP_1) | instid1(VALU_DEP_1)
	v_max_f32_e32 v47, v47, v48
	v_sub_f32_e32 v48, v169, v32
	v_mul_f32_e32 v49, 0x3fb8aa3b, v48
	v_cmp_ngt_f32_e64 s6, 0xc2ce8ed0, v48
	s_delay_alu instid0(VALU_DEP_2) | instskip(SKIP_1) | instid1(VALU_DEP_1)
	v_fma_f32 v50, 0x3fb8aa3b, v48, -v49
	v_rndne_f32_e32 v51, v49
	v_dual_fmac_f32 v50, 0x32a5705f, v48 :: v_dual_sub_f32 v49, v49, v51
	s_delay_alu instid0(VALU_DEP_1) | instskip(SKIP_1) | instid1(VALU_DEP_2)
	v_add_f32_e32 v49, v49, v50
	v_cvt_i32_f32_e32 v50, v51
	v_exp_f32_e32 v49, v49
	s_waitcnt_depctr 0xfff
	v_ldexp_f32 v49, v49, v50
	s_delay_alu instid0(VALU_DEP_1) | instskip(SKIP_1) | instid1(VALU_DEP_1)
	v_cndmask_b32_e64 v49, 0, v49, s6
	v_cmp_nlt_f32_e64 s6, 0x42b17218, v48
	v_cndmask_b32_e64 v48, 0x7f800000, v49, s6
	v_sub_f32_e32 v49, v171, v32
	v_cmp_gt_u32_e64 s6, s18, v57
	s_delay_alu instid0(VALU_DEP_3) | instskip(NEXT) | instid1(VALU_DEP_3)
	v_cndmask_b32_e32 v48, 0, v48, vcc_lo
	v_mul_f32_e32 v50, 0x3fb8aa3b, v49
	v_cmp_ngt_f32_e64 s7, 0xc2ce8ed0, v49
	s_delay_alu instid0(VALU_DEP_3) | instskip(NEXT) | instid1(VALU_DEP_3)
	v_cvt_f16_f32_e32 v56, v48
	v_fma_f32 v51, 0x3fb8aa3b, v49, -v50
	v_rndne_f32_e32 v52, v50
	s_delay_alu instid0(VALU_DEP_1) | instskip(NEXT) | instid1(VALU_DEP_1)
	v_dual_fmac_f32 v51, 0x32a5705f, v49 :: v_dual_sub_f32 v50, v50, v52
	v_add_f32_e32 v50, v50, v51
	v_cvt_i32_f32_e32 v51, v52
	s_delay_alu instid0(VALU_DEP_2) | instskip(SKIP_2) | instid1(VALU_DEP_1)
	v_exp_f32_e32 v50, v50
	s_waitcnt_depctr 0xfff
	v_ldexp_f32 v50, v50, v51
	v_cndmask_b32_e64 v50, 0, v50, s7
	v_cmp_nlt_f32_e64 s7, 0x42b17218, v49
	s_delay_alu instid0(VALU_DEP_1) | instskip(NEXT) | instid1(VALU_DEP_1)
	v_cndmask_b32_e64 v49, 0x7f800000, v50, s7
	v_cndmask_b32_e64 v49, 0, v49, s6
	s_delay_alu instid0(VALU_DEP_1) | instskip(SKIP_2) | instid1(VALU_DEP_1)
	v_add_f32_e32 v48, v48, v49
	v_cvt_f16_f32_e32 v58, v49
	v_mul_f32_e32 v49, 0x3fb8aa3b, v0
	v_fma_f32 v50, 0x3fb8aa3b, v0, -v49
	v_rndne_f32_e32 v51, v49
	s_delay_alu instid0(VALU_DEP_1) | instskip(NEXT) | instid1(VALU_DEP_1)
	v_dual_fmac_f32 v50, 0x32a5705f, v0 :: v_dual_sub_f32 v49, v49, v51
	v_add_f32_e32 v49, v49, v50
	v_cvt_i32_f32_e32 v50, v51
	v_cmp_ngt_f32_e64 s7, 0xc2ce8ed0, v0
	s_delay_alu instid0(VALU_DEP_3) | instskip(SKIP_2) | instid1(VALU_DEP_1)
	v_exp_f32_e32 v49, v49
	s_waitcnt_depctr 0xfff
	v_ldexp_f32 v49, v49, v50
	v_cndmask_b32_e64 v49, 0, v49, s7
	v_cmp_nlt_f32_e64 s7, 0x42b17218, v0
	s_delay_alu instid0(VALU_DEP_1) | instskip(NEXT) | instid1(VALU_DEP_1)
	v_cndmask_b32_e64 v0, 0x7f800000, v49, s7
	v_fmac_f32_e32 v48, v16, v0
	v_sub_f32_e32 v16, v167, v33
	v_cvt_f16_f32_e32 v0, v0
	s_delay_alu instid0(VALU_DEP_2) | instskip(SKIP_1) | instid1(VALU_DEP_3)
	v_mul_f32_e32 v49, 0x3fb8aa3b, v16
	v_cmp_ngt_f32_e64 s7, 0xc2ce8ed0, v16
	v_pk_mul_f16 v0, v0, v127 op_sel_hi:[0,1]
	s_delay_alu instid0(VALU_DEP_3) | instskip(SKIP_1) | instid1(VALU_DEP_1)
	v_fma_f32 v50, 0x3fb8aa3b, v16, -v49
	v_rndne_f32_e32 v51, v49
	v_dual_fmac_f32 v50, 0x32a5705f, v16 :: v_dual_sub_f32 v49, v49, v51
	s_delay_alu instid0(VALU_DEP_1) | instskip(SKIP_1) | instid1(VALU_DEP_2)
	v_add_f32_e32 v49, v49, v50
	v_cvt_i32_f32_e32 v50, v51
	v_exp_f32_e32 v49, v49
	s_waitcnt_depctr 0xfff
	v_ldexp_f32 v49, v49, v50
	v_sub_f32_e32 v50, v170, v33
	s_delay_alu instid0(VALU_DEP_2) | instskip(NEXT) | instid1(VALU_DEP_2)
	v_cndmask_b32_e64 v49, 0, v49, s7
	v_mul_f32_e32 v51, 0x3fb8aa3b, v50
	v_cmp_nlt_f32_e64 s7, 0x42b17218, v16
	s_delay_alu instid0(VALU_DEP_2) | instskip(SKIP_1) | instid1(VALU_DEP_3)
	v_fma_f32 v52, 0x3fb8aa3b, v50, -v51
	v_rndne_f32_e32 v53, v51
	v_cndmask_b32_e64 v16, 0x7f800000, v49, s7
	v_cmp_ngt_f32_e64 s7, 0xc2ce8ed0, v50
	s_delay_alu instid0(VALU_DEP_3) | instskip(NEXT) | instid1(VALU_DEP_3)
	v_dual_fmac_f32 v52, 0x32a5705f, v50 :: v_dual_sub_f32 v51, v51, v53
	v_cndmask_b32_e32 v49, 0, v16, vcc_lo
	s_delay_alu instid0(VALU_DEP_2) | instskip(SKIP_1) | instid1(VALU_DEP_3)
	v_add_f32_e32 v51, v51, v52
	v_cvt_i32_f32_e32 v52, v53
	v_cvt_f16_f32_e32 v16, v49
	s_delay_alu instid0(VALU_DEP_3) | instskip(SKIP_2) | instid1(VALU_DEP_1)
	v_exp_f32_e32 v51, v51
	s_waitcnt_depctr 0xfff
	v_ldexp_f32 v51, v51, v52
	v_cndmask_b32_e64 v51, 0, v51, s7
	v_cmp_nlt_f32_e64 s7, 0x42b17218, v50
	s_delay_alu instid0(VALU_DEP_1) | instskip(SKIP_1) | instid1(VALU_DEP_2)
	v_cndmask_b32_e64 v50, 0x7f800000, v51, s7
	v_cmp_ngt_f32_e64 s7, 0xc2ce8ed0, v1
	v_cndmask_b32_e64 v50, 0, v50, s6
	s_delay_alu instid0(VALU_DEP_1) | instskip(SKIP_2) | instid1(VALU_DEP_1)
	v_add_f32_e32 v49, v49, v50
	v_cvt_f16_f32_e32 v59, v50
	v_mul_f32_e32 v50, 0x3fb8aa3b, v1
	v_fma_f32 v51, 0x3fb8aa3b, v1, -v50
	v_rndne_f32_e32 v52, v50
	s_delay_alu instid0(VALU_DEP_1) | instskip(NEXT) | instid1(VALU_DEP_1)
	v_dual_fmac_f32 v51, 0x32a5705f, v1 :: v_dual_sub_f32 v50, v50, v52
	v_add_f32_e32 v50, v50, v51
	v_cvt_i32_f32_e32 v51, v52
	s_delay_alu instid0(VALU_DEP_2) | instskip(SKIP_2) | instid1(VALU_DEP_1)
	v_exp_f32_e32 v50, v50
	s_waitcnt_depctr 0xfff
	v_ldexp_f32 v50, v50, v51
	v_cndmask_b32_e64 v50, 0, v50, s7
	v_cmp_nlt_f32_e64 s7, 0x42b17218, v1
	s_delay_alu instid0(VALU_DEP_1) | instskip(NEXT) | instid1(VALU_DEP_1)
	v_cndmask_b32_e64 v1, 0x7f800000, v50, s7
	v_fmac_f32_e32 v49, v17, v1
	v_sub_f32_e32 v17, v165, v34
	v_cvt_f16_f32_e32 v1, v1
	s_delay_alu instid0(VALU_DEP_2) | instskip(NEXT) | instid1(VALU_DEP_2)
	v_mul_f32_e32 v50, 0x3fb8aa3b, v17
	v_pk_mul_f16 v1, v1, v126 op_sel_hi:[0,1]
	s_delay_alu instid0(VALU_DEP_2) | instskip(SKIP_1) | instid1(VALU_DEP_1)
	v_fma_f32 v51, 0x3fb8aa3b, v17, -v50
	v_rndne_f32_e32 v52, v50
	v_dual_sub_f32 v50, v50, v52 :: v_dual_fmac_f32 v51, 0x32a5705f, v17
	v_cmp_ngt_f32_e64 s7, 0xc2ce8ed0, v17
	s_delay_alu instid0(VALU_DEP_2) | instskip(SKIP_1) | instid1(VALU_DEP_2)
	v_add_f32_e32 v50, v50, v51
	v_cvt_i32_f32_e32 v51, v52
	v_exp_f32_e32 v50, v50
	s_waitcnt_depctr 0xfff
	v_ldexp_f32 v50, v50, v51
	s_delay_alu instid0(VALU_DEP_1) | instskip(SKIP_1) | instid1(VALU_DEP_1)
	v_cndmask_b32_e64 v50, 0, v50, s7
	v_cmp_nlt_f32_e64 s7, 0x42b17218, v17
	v_cndmask_b32_e64 v17, 0x7f800000, v50, s7
	s_delay_alu instid0(VALU_DEP_1) | instskip(NEXT) | instid1(VALU_DEP_1)
	v_dual_sub_f32 v50, v168, v34 :: v_dual_cndmask_b32 v17, 0, v17
	v_mul_f32_e32 v51, 0x3fb8aa3b, v50
	v_cmp_ngt_f32_e64 s7, 0xc2ce8ed0, v50
	s_delay_alu instid0(VALU_DEP_3) | instskip(NEXT) | instid1(VALU_DEP_3)
	v_cvt_f16_f32_e32 v60, v17
	v_fma_f32 v52, 0x3fb8aa3b, v50, -v51
	v_rndne_f32_e32 v53, v51
	s_delay_alu instid0(VALU_DEP_1) | instskip(NEXT) | instid1(VALU_DEP_1)
	v_dual_fmac_f32 v52, 0x32a5705f, v50 :: v_dual_sub_f32 v51, v51, v53
	v_add_f32_e32 v51, v51, v52
	v_cvt_i32_f32_e32 v52, v53
	s_delay_alu instid0(VALU_DEP_2) | instskip(SKIP_2) | instid1(VALU_DEP_1)
	v_exp_f32_e32 v51, v51
	s_waitcnt_depctr 0xfff
	v_ldexp_f32 v51, v51, v52
	v_cndmask_b32_e64 v51, 0, v51, s7
	v_cmp_nlt_f32_e64 s7, 0x42b17218, v50
	s_delay_alu instid0(VALU_DEP_1) | instskip(SKIP_1) | instid1(VALU_DEP_2)
	v_cndmask_b32_e64 v50, 0x7f800000, v51, s7
	v_cmp_ngt_f32_e64 s7, 0xc2ce8ed0, v2
	v_cndmask_b32_e64 v51, 0, v50, s6
	s_delay_alu instid0(VALU_DEP_1) | instskip(SKIP_1) | instid1(VALU_DEP_2)
	v_dual_add_f32 v50, v17, v51 :: v_dual_mul_f32 v17, 0x3fb8aa3b, v2
	v_cvt_f16_f32_e32 v61, v51
	v_fma_f32 v51, 0x3fb8aa3b, v2, -v17
	v_rndne_f32_e32 v52, v17
	s_delay_alu instid0(VALU_DEP_2) | instskip(NEXT) | instid1(VALU_DEP_2)
	v_fmac_f32_e32 v51, 0x32a5705f, v2
	v_sub_f32_e32 v17, v17, v52
	s_delay_alu instid0(VALU_DEP_1) | instskip(SKIP_1) | instid1(VALU_DEP_2)
	v_add_f32_e32 v17, v17, v51
	v_cvt_i32_f32_e32 v51, v52
	v_exp_f32_e32 v17, v17
	s_waitcnt_depctr 0xfff
	v_ldexp_f32 v17, v17, v51
	s_delay_alu instid0(VALU_DEP_1) | instskip(SKIP_1) | instid1(VALU_DEP_1)
	v_cndmask_b32_e64 v17, 0, v17, s7
	v_cmp_nlt_f32_e64 s7, 0x42b17218, v2
	v_cndmask_b32_e64 v2, 0x7f800000, v17, s7
	s_delay_alu instid0(VALU_DEP_1) | instskip(NEXT) | instid1(VALU_DEP_1)
	v_dual_sub_f32 v17, v163, v35 :: v_dual_fmac_f32 v50, v18, v2
	v_mul_f32_e32 v18, 0x3fb8aa3b, v17
	v_cmp_ngt_f32_e64 s7, 0xc2ce8ed0, v17
	v_cvt_f16_f32_e32 v2, v2
	s_delay_alu instid0(VALU_DEP_3) | instskip(SKIP_1) | instid1(VALU_DEP_3)
	v_fma_f32 v51, 0x3fb8aa3b, v17, -v18
	v_rndne_f32_e32 v52, v18
	v_pk_mul_f16 v2, v2, v122 op_sel_hi:[0,1]
	s_delay_alu instid0(VALU_DEP_2) | instskip(NEXT) | instid1(VALU_DEP_1)
	v_dual_fmac_f32 v51, 0x32a5705f, v17 :: v_dual_sub_f32 v18, v18, v52
	v_add_f32_e32 v18, v18, v51
	v_cvt_i32_f32_e32 v51, v52
	s_delay_alu instid0(VALU_DEP_2) | instskip(SKIP_3) | instid1(VALU_DEP_2)
	v_exp_f32_e32 v18, v18
	s_waitcnt_depctr 0xfff
	v_ldexp_f32 v18, v18, v51
	v_sub_f32_e32 v51, v166, v35
	v_cndmask_b32_e64 v18, 0, v18, s7
	v_cmp_nlt_f32_e64 s7, 0x42b17218, v17
	s_delay_alu instid0(VALU_DEP_3) | instskip(NEXT) | instid1(VALU_DEP_2)
	v_mul_f32_e32 v52, 0x3fb8aa3b, v51
	v_cndmask_b32_e64 v17, 0x7f800000, v18, s7
	s_delay_alu instid0(VALU_DEP_2) | instskip(SKIP_2) | instid1(VALU_DEP_4)
	v_fma_f32 v53, 0x3fb8aa3b, v51, -v52
	v_rndne_f32_e32 v54, v52
	v_cmp_ngt_f32_e64 s7, 0xc2ce8ed0, v51
	v_cndmask_b32_e32 v17, 0, v17, vcc_lo
	s_delay_alu instid0(VALU_DEP_3) | instskip(NEXT) | instid1(VALU_DEP_2)
	v_dual_fmac_f32 v53, 0x32a5705f, v51 :: v_dual_sub_f32 v52, v52, v54
	v_cvt_f16_f32_e32 v18, v17
	s_delay_alu instid0(VALU_DEP_2) | instskip(SKIP_1) | instid1(VALU_DEP_2)
	v_add_f32_e32 v52, v52, v53
	v_cvt_i32_f32_e32 v53, v54
	v_exp_f32_e32 v52, v52
	s_waitcnt_depctr 0xfff
	v_ldexp_f32 v52, v52, v53
	s_delay_alu instid0(VALU_DEP_1) | instskip(SKIP_1) | instid1(VALU_DEP_1)
	v_cndmask_b32_e64 v52, 0, v52, s7
	v_cmp_nlt_f32_e64 s7, 0x42b17218, v51
	v_cndmask_b32_e64 v51, 0x7f800000, v52, s7
	v_cmp_ngt_f32_e64 s7, 0xc2ce8ed0, v3
	s_delay_alu instid0(VALU_DEP_2) | instskip(NEXT) | instid1(VALU_DEP_1)
	v_cndmask_b32_e64 v52, 0, v51, s6
	v_add_f32_e32 v51, v17, v52
	v_mul_f32_e32 v17, 0x3fb8aa3b, v3
	v_cvt_f16_f32_e32 v62, v52
	s_delay_alu instid0(VALU_DEP_2) | instskip(SKIP_1) | instid1(VALU_DEP_1)
	v_fma_f32 v52, 0x3fb8aa3b, v3, -v17
	v_rndne_f32_e32 v53, v17
	v_dual_fmac_f32 v52, 0x32a5705f, v3 :: v_dual_sub_f32 v17, v17, v53
	s_delay_alu instid0(VALU_DEP_1) | instskip(SKIP_1) | instid1(VALU_DEP_2)
	v_add_f32_e32 v17, v17, v52
	v_cvt_i32_f32_e32 v52, v53
	v_exp_f32_e32 v17, v17
	s_waitcnt_depctr 0xfff
	v_ldexp_f32 v17, v17, v52
	s_delay_alu instid0(VALU_DEP_1) | instskip(SKIP_1) | instid1(VALU_DEP_1)
	v_cndmask_b32_e64 v17, 0, v17, s7
	v_cmp_nlt_f32_e64 s7, 0x42b17218, v3
	v_cndmask_b32_e64 v3, 0x7f800000, v17, s7
	v_sub_f32_e32 v17, v162, v36
	s_delay_alu instid0(VALU_DEP_2) | instskip(NEXT) | instid1(VALU_DEP_2)
	v_fmac_f32_e32 v51, v19, v3
	v_mul_f32_e32 v19, 0x3fb8aa3b, v17
	v_cmp_ngt_f32_e64 s7, 0xc2ce8ed0, v17
	v_cvt_f16_f32_e32 v3, v3
	s_delay_alu instid0(VALU_DEP_3) | instskip(SKIP_1) | instid1(VALU_DEP_3)
	v_fma_f32 v52, 0x3fb8aa3b, v17, -v19
	v_rndne_f32_e32 v53, v19
	v_pk_mul_f16 v3, v3, v118 op_sel_hi:[0,1]
	s_delay_alu instid0(VALU_DEP_3) | instskip(NEXT) | instid1(VALU_DEP_3)
	v_fmac_f32_e32 v52, 0x32a5705f, v17
	v_sub_f32_e32 v19, v19, v53
	s_delay_alu instid0(VALU_DEP_1) | instskip(SKIP_1) | instid1(VALU_DEP_2)
	v_add_f32_e32 v19, v19, v52
	v_cvt_i32_f32_e32 v52, v53
	v_exp_f32_e32 v19, v19
	s_waitcnt_depctr 0xfff
	v_ldexp_f32 v19, v19, v52
	v_sub_f32_e32 v52, v164, v36
	s_delay_alu instid0(VALU_DEP_2) | instskip(NEXT) | instid1(VALU_DEP_2)
	v_cndmask_b32_e64 v19, 0, v19, s7
	v_mul_f32_e32 v53, 0x3fb8aa3b, v52
	v_cmp_nlt_f32_e64 s7, 0x42b17218, v17
	s_delay_alu instid0(VALU_DEP_2) | instskip(SKIP_1) | instid1(VALU_DEP_3)
	v_fma_f32 v54, 0x3fb8aa3b, v52, -v53
	v_rndne_f32_e32 v55, v53
	v_cndmask_b32_e64 v17, 0x7f800000, v19, s7
	v_cmp_ngt_f32_e64 s7, 0xc2ce8ed0, v52
	s_delay_alu instid0(VALU_DEP_3) | instskip(NEXT) | instid1(VALU_DEP_3)
	v_dual_fmac_f32 v54, 0x32a5705f, v52 :: v_dual_sub_f32 v53, v53, v55
	v_cndmask_b32_e32 v17, 0, v17, vcc_lo
	s_delay_alu instid0(VALU_DEP_2) | instskip(SKIP_1) | instid1(VALU_DEP_3)
	v_add_f32_e32 v53, v53, v54
	v_cvt_i32_f32_e32 v54, v55
	v_cvt_f16_f32_e32 v19, v17
	s_delay_alu instid0(VALU_DEP_3) | instskip(SKIP_2) | instid1(VALU_DEP_1)
	v_exp_f32_e32 v53, v53
	s_waitcnt_depctr 0xfff
	v_ldexp_f32 v53, v53, v54
	v_cndmask_b32_e64 v53, 0, v53, s7
	v_cmp_nlt_f32_e64 s7, 0x42b17218, v52
	s_delay_alu instid0(VALU_DEP_1) | instskip(SKIP_1) | instid1(VALU_DEP_2)
	v_cndmask_b32_e64 v52, 0x7f800000, v53, s7
	v_cmp_ngt_f32_e64 s7, 0xc2ce8ed0, v4
	v_cndmask_b32_e64 v53, 0, v52, s6
	s_delay_alu instid0(VALU_DEP_1) | instskip(SKIP_1) | instid1(VALU_DEP_2)
	v_dual_add_f32 v52, v17, v53 :: v_dual_mul_f32 v17, 0x3fb8aa3b, v4
	v_cvt_f16_f32_e32 v63, v53
	v_fma_f32 v53, 0x3fb8aa3b, v4, -v17
	v_rndne_f32_e32 v54, v17
	s_delay_alu instid0(VALU_DEP_2) | instskip(NEXT) | instid1(VALU_DEP_2)
	v_fmac_f32_e32 v53, 0x32a5705f, v4
	v_sub_f32_e32 v17, v17, v54
	s_delay_alu instid0(VALU_DEP_1) | instskip(SKIP_1) | instid1(VALU_DEP_2)
	v_add_f32_e32 v17, v17, v53
	v_cvt_i32_f32_e32 v53, v54
	v_exp_f32_e32 v17, v17
	s_waitcnt_depctr 0xfff
	v_ldexp_f32 v17, v17, v53
	s_delay_alu instid0(VALU_DEP_1) | instskip(SKIP_1) | instid1(VALU_DEP_1)
	v_cndmask_b32_e64 v17, 0, v17, s7
	v_cmp_nlt_f32_e64 s7, 0x42b17218, v4
	v_cndmask_b32_e64 v4, 0x7f800000, v17, s7
	v_sub_f32_e32 v17, v160, v37
	s_delay_alu instid0(VALU_DEP_2) | instskip(NEXT) | instid1(VALU_DEP_2)
	v_fmac_f32_e32 v52, v20, v4
	v_mul_f32_e32 v20, 0x3fb8aa3b, v17
	v_cmp_ngt_f32_e64 s7, 0xc2ce8ed0, v17
	v_cvt_f16_f32_e32 v4, v4
	s_delay_alu instid0(VALU_DEP_3) | instskip(SKIP_1) | instid1(VALU_DEP_3)
	v_fma_f32 v53, 0x3fb8aa3b, v17, -v20
	v_rndne_f32_e32 v54, v20
	v_pk_mul_f16 v4, v4, v114 op_sel_hi:[0,1]
	s_delay_alu instid0(VALU_DEP_2) | instskip(NEXT) | instid1(VALU_DEP_1)
	v_dual_fmac_f32 v53, 0x32a5705f, v17 :: v_dual_sub_f32 v20, v20, v54
	v_add_f32_e32 v20, v20, v53
	v_cvt_i32_f32_e32 v53, v54
	s_delay_alu instid0(VALU_DEP_2) | instskip(SKIP_3) | instid1(VALU_DEP_2)
	v_exp_f32_e32 v20, v20
	s_waitcnt_depctr 0xfff
	v_ldexp_f32 v20, v20, v53
	v_sub_f32_e32 v53, v161, v37
	v_cndmask_b32_e64 v20, 0, v20, s7
	s_delay_alu instid0(VALU_DEP_2) | instskip(SKIP_1) | instid1(VALU_DEP_2)
	v_mul_f32_e32 v54, 0x3fb8aa3b, v53
	v_cmp_nlt_f32_e64 s7, 0x42b17218, v17
	v_fma_f32 v55, 0x3fb8aa3b, v53, -v54
	v_rndne_f32_e32 v64, v54
	s_delay_alu instid0(VALU_DEP_3) | instskip(SKIP_1) | instid1(VALU_DEP_3)
	v_cndmask_b32_e64 v17, 0x7f800000, v20, s7
	v_cmp_ngt_f32_e64 s7, 0xc2ce8ed0, v53
	v_dual_fmac_f32 v55, 0x32a5705f, v53 :: v_dual_sub_f32 v54, v54, v64
	s_delay_alu instid0(VALU_DEP_1) | instskip(SKIP_1) | instid1(VALU_DEP_2)
	v_dual_cndmask_b32 v17, 0, v17 :: v_dual_add_f32 v54, v54, v55
	v_cvt_i32_f32_e32 v55, v64
	v_cvt_f16_f32_e32 v20, v17
	s_delay_alu instid0(VALU_DEP_3) | instskip(NEXT) | instid1(VALU_DEP_1)
	v_exp_f32_e32 v54, v54
	v_pack_b32_f16 v20, v19, v20
	v_pack_b32_f16 v19, v60, v18
	;; [unrolled: 1-line block ×3, first 2 shown]
	s_waitcnt_depctr 0xfff
	v_ldexp_f32 v54, v54, v55
	s_delay_alu instid0(VALU_DEP_1) | instskip(SKIP_1) | instid1(VALU_DEP_1)
	v_cndmask_b32_e64 v54, 0, v54, s7
	v_cmp_nlt_f32_e64 s7, 0x42b17218, v53
	v_cndmask_b32_e64 v53, 0x7f800000, v54, s7
	v_cmp_ngt_f32_e64 s7, 0xc2ce8ed0, v5
	s_delay_alu instid0(VALU_DEP_2) | instskip(NEXT) | instid1(VALU_DEP_1)
	v_cndmask_b32_e64 v54, 0, v53, s6
	v_add_f32_e32 v53, v17, v54
	v_mul_f32_e32 v17, 0x3fb8aa3b, v5
	v_cvt_f16_f32_e32 v64, v54
	s_delay_alu instid0(VALU_DEP_2) | instskip(SKIP_1) | instid1(VALU_DEP_1)
	v_fma_f32 v54, 0x3fb8aa3b, v5, -v17
	v_rndne_f32_e32 v55, v17
	v_dual_fmac_f32 v54, 0x32a5705f, v5 :: v_dual_sub_f32 v17, v17, v55
	s_delay_alu instid0(VALU_DEP_1) | instskip(SKIP_1) | instid1(VALU_DEP_2)
	v_add_f32_e32 v17, v17, v54
	v_cvt_i32_f32_e32 v54, v55
	v_exp_f32_e32 v17, v17
	s_waitcnt_depctr 0xfff
	v_ldexp_f32 v17, v17, v54
	s_delay_alu instid0(VALU_DEP_1) | instskip(SKIP_1) | instid1(VALU_DEP_1)
	v_cndmask_b32_e64 v17, 0, v17, s7
	v_cmp_nlt_f32_e64 s7, 0x42b17218, v5
	v_cndmask_b32_e64 v5, 0x7f800000, v17, s7
	v_sub_f32_e32 v17, v157, v38
	s_delay_alu instid0(VALU_DEP_2) | instskip(NEXT) | instid1(VALU_DEP_2)
	v_fmac_f32_e32 v53, v21, v5
	v_mul_f32_e32 v21, 0x3fb8aa3b, v17
	v_cmp_ngt_f32_e64 s7, 0xc2ce8ed0, v17
	v_cvt_f16_f32_e32 v5, v5
	s_delay_alu instid0(VALU_DEP_3) | instskip(SKIP_1) | instid1(VALU_DEP_3)
	v_fma_f32 v54, 0x3fb8aa3b, v17, -v21
	v_rndne_f32_e32 v55, v21
	v_pk_mul_f16 v5, v5, v111 op_sel_hi:[0,1]
	s_delay_alu instid0(VALU_DEP_2) | instskip(NEXT) | instid1(VALU_DEP_1)
	v_dual_fmac_f32 v54, 0x32a5705f, v17 :: v_dual_sub_f32 v21, v21, v55
	v_add_f32_e32 v21, v21, v54
	v_cvt_i32_f32_e32 v54, v55
	s_delay_alu instid0(VALU_DEP_2) | instskip(SKIP_3) | instid1(VALU_DEP_2)
	v_exp_f32_e32 v21, v21
	s_waitcnt_depctr 0xfff
	v_ldexp_f32 v21, v21, v54
	v_sub_f32_e32 v54, v159, v38
	v_cndmask_b32_e64 v21, 0, v21, s7
	s_delay_alu instid0(VALU_DEP_2) | instskip(SKIP_1) | instid1(VALU_DEP_2)
	v_mul_f32_e32 v55, 0x3fb8aa3b, v54
	v_cmp_nlt_f32_e64 s7, 0x42b17218, v17
	v_fma_f32 v65, 0x3fb8aa3b, v54, -v55
	v_rndne_f32_e32 v66, v55
	s_delay_alu instid0(VALU_DEP_3) | instskip(SKIP_1) | instid1(VALU_DEP_4)
	v_cndmask_b32_e64 v17, 0x7f800000, v21, s7
	v_cmp_ngt_f32_e64 s7, 0xc2ce8ed0, v54
	v_fmac_f32_e32 v65, 0x32a5705f, v54
	s_delay_alu instid0(VALU_DEP_4) | instskip(NEXT) | instid1(VALU_DEP_4)
	v_sub_f32_e32 v55, v55, v66
	v_cndmask_b32_e32 v17, 0, v17, vcc_lo
	s_delay_alu instid0(VALU_DEP_2) | instskip(SKIP_1) | instid1(VALU_DEP_3)
	v_add_f32_e32 v55, v55, v65
	v_cvt_i32_f32_e32 v65, v66
	v_cvt_f16_f32_e32 v21, v17
	s_delay_alu instid0(VALU_DEP_3) | instskip(SKIP_2) | instid1(VALU_DEP_1)
	v_exp_f32_e32 v55, v55
	s_waitcnt_depctr 0xfff
	v_ldexp_f32 v55, v55, v65
	v_cndmask_b32_e64 v55, 0, v55, s7
	v_cmp_nlt_f32_e64 s7, 0x42b17218, v54
	s_delay_alu instid0(VALU_DEP_1) | instskip(SKIP_1) | instid1(VALU_DEP_2)
	v_cndmask_b32_e64 v54, 0x7f800000, v55, s7
	v_cmp_ngt_f32_e64 s7, 0xc2ce8ed0, v6
	v_cndmask_b32_e64 v55, 0, v54, s6
	s_delay_alu instid0(VALU_DEP_1) | instskip(SKIP_1) | instid1(VALU_DEP_2)
	v_dual_add_f32 v54, v17, v55 :: v_dual_mul_f32 v17, 0x3fb8aa3b, v6
	v_cvt_f16_f32_e32 v65, v55
	v_fma_f32 v55, 0x3fb8aa3b, v6, -v17
	v_rndne_f32_e32 v66, v17
	s_delay_alu instid0(VALU_DEP_2) | instskip(NEXT) | instid1(VALU_DEP_2)
	v_fmac_f32_e32 v55, 0x32a5705f, v6
	v_sub_f32_e32 v17, v17, v66
	s_delay_alu instid0(VALU_DEP_1) | instskip(SKIP_1) | instid1(VALU_DEP_2)
	v_add_f32_e32 v17, v17, v55
	v_cvt_i32_f32_e32 v55, v66
	v_exp_f32_e32 v17, v17
	s_waitcnt_depctr 0xfff
	v_ldexp_f32 v17, v17, v55
	s_delay_alu instid0(VALU_DEP_1) | instskip(SKIP_1) | instid1(VALU_DEP_1)
	v_cndmask_b32_e64 v17, 0, v17, s7
	v_cmp_nlt_f32_e64 s7, 0x42b17218, v6
	v_cndmask_b32_e64 v6, 0x7f800000, v17, s7
	s_delay_alu instid0(VALU_DEP_1) | instskip(NEXT) | instid1(VALU_DEP_1)
	v_dual_sub_f32 v17, v156, v39 :: v_dual_fmac_f32 v54, v22, v6
	v_mul_f32_e32 v22, 0x3fb8aa3b, v17
	v_cmp_ngt_f32_e64 s7, 0xc2ce8ed0, v17
	v_cvt_f16_f32_e32 v6, v6
	s_delay_alu instid0(VALU_DEP_3) | instskip(SKIP_1) | instid1(VALU_DEP_3)
	v_fma_f32 v55, 0x3fb8aa3b, v17, -v22
	v_rndne_f32_e32 v66, v22
	v_pk_mul_f16 v6, v6, v110 op_sel_hi:[0,1]
	s_delay_alu instid0(VALU_DEP_2) | instskip(NEXT) | instid1(VALU_DEP_1)
	v_dual_fmac_f32 v55, 0x32a5705f, v17 :: v_dual_sub_f32 v22, v22, v66
	v_add_f32_e32 v22, v22, v55
	v_cvt_i32_f32_e32 v55, v66
	s_delay_alu instid0(VALU_DEP_2) | instskip(SKIP_3) | instid1(VALU_DEP_2)
	v_exp_f32_e32 v22, v22
	s_waitcnt_depctr 0xfff
	v_ldexp_f32 v22, v22, v55
	v_sub_f32_e32 v55, v158, v39
	v_cndmask_b32_e64 v22, 0, v22, s7
	s_delay_alu instid0(VALU_DEP_2) | instskip(SKIP_1) | instid1(VALU_DEP_2)
	v_mul_f32_e32 v66, 0x3fb8aa3b, v55
	v_cmp_nlt_f32_e64 s7, 0x42b17218, v17
	v_fma_f32 v67, 0x3fb8aa3b, v55, -v66
	v_rndne_f32_e32 v68, v66
	s_delay_alu instid0(VALU_DEP_3) | instskip(SKIP_1) | instid1(VALU_DEP_3)
	v_cndmask_b32_e64 v17, 0x7f800000, v22, s7
	v_cmp_ngt_f32_e64 s7, 0xc2ce8ed0, v55
	v_dual_fmac_f32 v67, 0x32a5705f, v55 :: v_dual_sub_f32 v66, v66, v68
	s_delay_alu instid0(VALU_DEP_1) | instskip(SKIP_1) | instid1(VALU_DEP_2)
	v_dual_cndmask_b32 v17, 0, v17 :: v_dual_add_f32 v66, v66, v67
	v_cvt_i32_f32_e32 v67, v68
	v_cvt_f16_f32_e32 v22, v17
	s_delay_alu instid0(VALU_DEP_3) | instskip(NEXT) | instid1(VALU_DEP_1)
	v_exp_f32_e32 v66, v66
	v_pack_b32_f16 v21, v21, v22
	s_waitcnt_depctr 0xfff
	v_ldexp_f32 v66, v66, v67
	s_delay_alu instid0(VALU_DEP_1) | instskip(SKIP_1) | instid1(VALU_DEP_1)
	v_cndmask_b32_e64 v66, 0, v66, s7
	v_cmp_nlt_f32_e64 s7, 0x42b17218, v55
	v_cndmask_b32_e64 v55, 0x7f800000, v66, s7
	v_cmp_ngt_f32_e64 s7, 0xc2ce8ed0, v7
	s_delay_alu instid0(VALU_DEP_2) | instskip(NEXT) | instid1(VALU_DEP_1)
	v_cndmask_b32_e64 v66, 0, v55, s6
	v_add_f32_e32 v55, v17, v66
	v_mul_f32_e32 v17, 0x3fb8aa3b, v7
	v_cvt_f16_f32_e32 v66, v66
	s_delay_alu instid0(VALU_DEP_2) | instskip(SKIP_1) | instid1(VALU_DEP_2)
	v_fma_f32 v67, 0x3fb8aa3b, v7, -v17
	v_rndne_f32_e32 v68, v17
	v_fmac_f32_e32 v67, 0x32a5705f, v7
	s_delay_alu instid0(VALU_DEP_2) | instskip(NEXT) | instid1(VALU_DEP_1)
	v_sub_f32_e32 v17, v17, v68
	v_add_f32_e32 v17, v17, v67
	v_cvt_i32_f32_e32 v67, v68
	s_delay_alu instid0(VALU_DEP_2) | instskip(SKIP_2) | instid1(VALU_DEP_1)
	v_exp_f32_e32 v17, v17
	s_waitcnt_depctr 0xfff
	v_ldexp_f32 v17, v17, v67
	v_cndmask_b32_e64 v17, 0, v17, s7
	v_cmp_nlt_f32_e64 s7, 0x42b17218, v7
	s_delay_alu instid0(VALU_DEP_1) | instskip(NEXT) | instid1(VALU_DEP_1)
	v_cndmask_b32_e64 v7, 0x7f800000, v17, s7
	v_fmac_f32_e32 v55, v23, v7
	v_add_nc_u32_e32 v23, 0x2400, v98
	v_cvt_f16_f32_e32 v7, v7
	s_delay_alu instid0(VALU_DEP_2) | instskip(SKIP_1) | instid1(VALU_DEP_3)
	v_lshl_add_u32 v17, v93, 4, v23
	v_lshl_add_u32 v16, v57, 4, v23
	v_pk_mul_f16 v7, v7, v109 op_sel_hi:[0,1]
	ds_store_b128 v17, v[18:21]
	v_pack_b32_f16 v21, v65, v66
	v_pack_b32_f16 v20, v63, v64
	;; [unrolled: 1-line block ×4, first 2 shown]
	ds_store_b128 v16, v[18:21]
	v_sub_f32_e32 v18, v154, v40
	s_delay_alu instid0(VALU_DEP_1) | instskip(SKIP_1) | instid1(VALU_DEP_2)
	v_mul_f32_e32 v19, 0x3fb8aa3b, v18
	v_cmp_ngt_f32_e64 s7, 0xc2ce8ed0, v18
	v_fma_f32 v20, 0x3fb8aa3b, v18, -v19
	v_rndne_f32_e32 v21, v19
	s_delay_alu instid0(VALU_DEP_1) | instskip(NEXT) | instid1(VALU_DEP_1)
	v_dual_fmac_f32 v20, 0x32a5705f, v18 :: v_dual_sub_f32 v19, v19, v21
	v_add_f32_e32 v19, v19, v20
	v_cvt_i32_f32_e32 v20, v21
	s_delay_alu instid0(VALU_DEP_2) | instskip(SKIP_2) | instid1(VALU_DEP_1)
	v_exp_f32_e32 v19, v19
	s_waitcnt_depctr 0xfff
	v_ldexp_f32 v19, v19, v20
	v_cndmask_b32_e64 v19, 0, v19, s7
	v_cmp_nlt_f32_e64 s7, 0x42b17218, v18
	s_delay_alu instid0(VALU_DEP_1) | instskip(NEXT) | instid1(VALU_DEP_1)
	v_cndmask_b32_e64 v18, 0x7f800000, v19, s7
	v_dual_sub_f32 v19, v155, v40 :: v_dual_cndmask_b32 v18, 0, v18
	s_delay_alu instid0(VALU_DEP_1) | instskip(SKIP_1) | instid1(VALU_DEP_2)
	v_mul_f32_e32 v20, 0x3fb8aa3b, v19
	v_cmp_ngt_f32_e64 s7, 0xc2ce8ed0, v19
	v_fma_f32 v21, 0x3fb8aa3b, v19, -v20
	v_rndne_f32_e32 v22, v20
	s_delay_alu instid0(VALU_DEP_1) | instskip(NEXT) | instid1(VALU_DEP_1)
	v_dual_fmac_f32 v21, 0x32a5705f, v19 :: v_dual_sub_f32 v20, v20, v22
	v_add_f32_e32 v20, v20, v21
	v_cvt_i32_f32_e32 v21, v22
	s_delay_alu instid0(VALU_DEP_2) | instskip(SKIP_2) | instid1(VALU_DEP_1)
	v_exp_f32_e32 v20, v20
	s_waitcnt_depctr 0xfff
	v_ldexp_f32 v20, v20, v21
	v_cndmask_b32_e64 v20, 0, v20, s7
	v_cmp_nlt_f32_e64 s7, 0x42b17218, v19
	s_delay_alu instid0(VALU_DEP_1) | instskip(SKIP_2) | instid1(VALU_DEP_3)
	v_cndmask_b32_e64 v19, 0x7f800000, v20, s7
	v_mul_f32_e32 v20, 0x3fb8aa3b, v8
	v_cmp_ngt_f32_e64 s7, 0xc2ce8ed0, v8
	v_cndmask_b32_e64 v19, 0, v19, s6
	s_delay_alu instid0(VALU_DEP_3) | instskip(SKIP_1) | instid1(VALU_DEP_2)
	v_fma_f32 v21, 0x3fb8aa3b, v8, -v20
	v_rndne_f32_e32 v22, v20
	v_dual_add_f32 v56, v18, v19 :: v_dual_fmac_f32 v21, 0x32a5705f, v8
	s_delay_alu instid0(VALU_DEP_2) | instskip(SKIP_1) | instid1(VALU_DEP_2)
	v_sub_f32_e32 v20, v20, v22
	v_cvt_f16_f32_e32 v19, v19
	v_add_f32_e32 v20, v20, v21
	v_cvt_i32_f32_e32 v21, v22
	s_delay_alu instid0(VALU_DEP_2) | instskip(SKIP_2) | instid1(VALU_DEP_1)
	v_exp_f32_e32 v20, v20
	s_waitcnt_depctr 0xfff
	v_ldexp_f32 v20, v20, v21
	v_cndmask_b32_e64 v20, 0, v20, s7
	v_cmp_nlt_f32_e64 s7, 0x42b17218, v8
	s_delay_alu instid0(VALU_DEP_1) | instskip(SKIP_1) | instid1(VALU_DEP_2)
	v_cndmask_b32_e64 v8, 0x7f800000, v20, s7
	v_sub_f32_e32 v20, v152, v41
	v_fmac_f32_e32 v56, v24, v8
	s_delay_alu instid0(VALU_DEP_2) | instskip(SKIP_2) | instid1(VALU_DEP_3)
	v_mul_f32_e32 v21, 0x3fb8aa3b, v20
	v_cmp_ngt_f32_e64 s7, 0xc2ce8ed0, v20
	v_cvt_f16_f32_e32 v8, v8
	v_fma_f32 v22, 0x3fb8aa3b, v20, -v21
	v_rndne_f32_e32 v23, v21
	s_delay_alu instid0(VALU_DEP_3) | instskip(NEXT) | instid1(VALU_DEP_2)
	v_pk_mul_f16 v8, v8, v107 op_sel_hi:[0,1]
	v_dual_fmac_f32 v22, 0x32a5705f, v20 :: v_dual_sub_f32 v21, v21, v23
	s_delay_alu instid0(VALU_DEP_1) | instskip(SKIP_1) | instid1(VALU_DEP_2)
	v_add_f32_e32 v21, v21, v22
	v_cvt_i32_f32_e32 v22, v23
	v_exp_f32_e32 v21, v21
	s_waitcnt_depctr 0xfff
	v_ldexp_f32 v21, v21, v22
	s_delay_alu instid0(VALU_DEP_1) | instskip(SKIP_1) | instid1(VALU_DEP_1)
	v_cndmask_b32_e64 v21, 0, v21, s7
	v_cmp_nlt_f32_e64 s7, 0x42b17218, v20
	v_cndmask_b32_e64 v20, 0x7f800000, v21, s7
	s_delay_alu instid0(VALU_DEP_1) | instskip(NEXT) | instid1(VALU_DEP_1)
	v_dual_sub_f32 v21, v153, v41 :: v_dual_cndmask_b32 v20, 0, v20
	v_mul_f32_e32 v22, 0x3fb8aa3b, v21
	v_cmp_ngt_f32_e64 s7, 0xc2ce8ed0, v21
	s_delay_alu instid0(VALU_DEP_2) | instskip(SKIP_1) | instid1(VALU_DEP_1)
	v_fma_f32 v23, 0x3fb8aa3b, v21, -v22
	v_rndne_f32_e32 v24, v22
	v_dual_fmac_f32 v23, 0x32a5705f, v21 :: v_dual_sub_f32 v22, v22, v24
	s_delay_alu instid0(VALU_DEP_1) | instskip(SKIP_1) | instid1(VALU_DEP_2)
	v_add_f32_e32 v22, v22, v23
	v_cvt_i32_f32_e32 v23, v24
	v_exp_f32_e32 v22, v22
	s_waitcnt_depctr 0xfff
	v_ldexp_f32 v22, v22, v23
	s_delay_alu instid0(VALU_DEP_1) | instskip(SKIP_1) | instid1(VALU_DEP_1)
	v_cndmask_b32_e64 v22, 0, v22, s7
	v_cmp_nlt_f32_e64 s7, 0x42b17218, v21
	v_cndmask_b32_e64 v21, 0x7f800000, v22, s7
	v_mul_f32_e32 v22, 0x3fb8aa3b, v9
	v_cmp_ngt_f32_e64 s7, 0xc2ce8ed0, v9
	s_delay_alu instid0(VALU_DEP_3) | instskip(NEXT) | instid1(VALU_DEP_3)
	v_cndmask_b32_e64 v21, 0, v21, s6
	v_fma_f32 v23, 0x3fb8aa3b, v9, -v22
	v_rndne_f32_e32 v24, v22
	s_delay_alu instid0(VALU_DEP_3) | instskip(NEXT) | instid1(VALU_DEP_2)
	v_add_f32_e32 v57, v20, v21
	v_dual_fmac_f32 v23, 0x32a5705f, v9 :: v_dual_sub_f32 v22, v22, v24
	v_cvt_f16_f32_e32 v21, v21
	v_cvt_f16_f32_e32 v20, v20
	s_delay_alu instid0(VALU_DEP_3) | instskip(SKIP_1) | instid1(VALU_DEP_2)
	v_add_f32_e32 v22, v22, v23
	v_cvt_i32_f32_e32 v23, v24
	v_exp_f32_e32 v22, v22
	s_waitcnt_depctr 0xfff
	v_ldexp_f32 v22, v22, v23
	s_delay_alu instid0(VALU_DEP_1) | instskip(SKIP_1) | instid1(VALU_DEP_1)
	v_cndmask_b32_e64 v22, 0, v22, s7
	v_cmp_nlt_f32_e64 s7, 0x42b17218, v9
	v_cndmask_b32_e64 v9, 0x7f800000, v22, s7
	s_delay_alu instid0(VALU_DEP_1) | instskip(NEXT) | instid1(VALU_DEP_1)
	v_dual_sub_f32 v22, v150, v42 :: v_dual_fmac_f32 v57, v25, v9
	v_mul_f32_e32 v23, 0x3fb8aa3b, v22
	v_cmp_ngt_f32_e64 s7, 0xc2ce8ed0, v22
	v_cvt_f16_f32_e32 v9, v9
	s_delay_alu instid0(VALU_DEP_3) | instskip(SKIP_1) | instid1(VALU_DEP_3)
	v_fma_f32 v24, 0x3fb8aa3b, v22, -v23
	v_rndne_f32_e32 v25, v23
	v_pk_mul_f16 v9, v9, v106 op_sel_hi:[0,1]
	s_delay_alu instid0(VALU_DEP_2) | instskip(NEXT) | instid1(VALU_DEP_1)
	v_dual_fmac_f32 v24, 0x32a5705f, v22 :: v_dual_sub_f32 v23, v23, v25
	v_add_f32_e32 v23, v23, v24
	v_cvt_i32_f32_e32 v24, v25
	s_delay_alu instid0(VALU_DEP_2) | instskip(SKIP_2) | instid1(VALU_DEP_1)
	v_exp_f32_e32 v23, v23
	s_waitcnt_depctr 0xfff
	v_ldexp_f32 v23, v23, v24
	v_cndmask_b32_e64 v23, 0, v23, s7
	v_cmp_nlt_f32_e64 s7, 0x42b17218, v22
	s_delay_alu instid0(VALU_DEP_1) | instskip(NEXT) | instid1(VALU_DEP_1)
	v_cndmask_b32_e64 v22, 0x7f800000, v23, s7
	v_cndmask_b32_e32 v23, 0, v22, vcc_lo
	v_sub_f32_e32 v22, v151, v42
	s_delay_alu instid0(VALU_DEP_1) | instskip(SKIP_1) | instid1(VALU_DEP_2)
	v_mul_f32_e32 v24, 0x3fb8aa3b, v22
	v_cmp_ngt_f32_e64 s7, 0xc2ce8ed0, v22
	v_fma_f32 v25, 0x3fb8aa3b, v22, -v24
	v_rndne_f32_e32 v58, v24
	s_delay_alu instid0(VALU_DEP_2) | instskip(NEXT) | instid1(VALU_DEP_2)
	v_fmac_f32_e32 v25, 0x32a5705f, v22
	v_sub_f32_e32 v24, v24, v58
	s_delay_alu instid0(VALU_DEP_1) | instskip(SKIP_1) | instid1(VALU_DEP_2)
	v_add_f32_e32 v24, v24, v25
	v_cvt_i32_f32_e32 v25, v58
	v_exp_f32_e32 v24, v24
	s_waitcnt_depctr 0xfff
	v_ldexp_f32 v24, v24, v25
	s_delay_alu instid0(VALU_DEP_1) | instskip(SKIP_1) | instid1(VALU_DEP_1)
	v_cndmask_b32_e64 v24, 0, v24, s7
	v_cmp_nlt_f32_e64 s7, 0x42b17218, v22
	v_cndmask_b32_e64 v22, 0x7f800000, v24, s7
	v_cmp_ngt_f32_e64 s7, 0xc2ce8ed0, v10
	s_delay_alu instid0(VALU_DEP_2) | instskip(SKIP_1) | instid1(VALU_DEP_2)
	v_cndmask_b32_e64 v24, 0, v22, s6
	v_mul_f32_e32 v22, 0x3fb8aa3b, v10
	v_add_f32_e32 v58, v23, v24
	s_delay_alu instid0(VALU_DEP_2) | instskip(SKIP_2) | instid1(VALU_DEP_2)
	v_fma_f32 v25, 0x3fb8aa3b, v10, -v22
	v_rndne_f32_e32 v59, v22
	v_cvt_f16_f32_e32 v24, v24
	v_dual_fmac_f32 v25, 0x32a5705f, v10 :: v_dual_sub_f32 v22, v22, v59
	s_delay_alu instid0(VALU_DEP_1) | instskip(SKIP_1) | instid1(VALU_DEP_2)
	v_add_f32_e32 v22, v22, v25
	v_cvt_i32_f32_e32 v25, v59
	v_exp_f32_e32 v22, v22
	s_waitcnt_depctr 0xfff
	v_ldexp_f32 v22, v22, v25
	s_delay_alu instid0(VALU_DEP_1) | instskip(SKIP_1) | instid1(VALU_DEP_1)
	v_cndmask_b32_e64 v22, 0, v22, s7
	v_cmp_nlt_f32_e64 s7, 0x42b17218, v10
	v_cndmask_b32_e64 v10, 0x7f800000, v22, s7
	v_sub_f32_e32 v22, v148, v43
	s_delay_alu instid0(VALU_DEP_2) | instskip(NEXT) | instid1(VALU_DEP_2)
	v_fmac_f32_e32 v58, v26, v10
	v_mul_f32_e32 v25, 0x3fb8aa3b, v22
	v_cmp_ngt_f32_e64 s7, 0xc2ce8ed0, v22
	v_cvt_f16_f32_e32 v10, v10
	s_delay_alu instid0(VALU_DEP_3) | instskip(SKIP_1) | instid1(VALU_DEP_3)
	v_fma_f32 v26, 0x3fb8aa3b, v22, -v25
	v_rndne_f32_e32 v59, v25
	v_pk_mul_f16 v10, v10, v105 op_sel_hi:[0,1]
	s_delay_alu instid0(VALU_DEP_2) | instskip(NEXT) | instid1(VALU_DEP_1)
	v_dual_fmac_f32 v26, 0x32a5705f, v22 :: v_dual_sub_f32 v25, v25, v59
	v_add_f32_e32 v25, v25, v26
	v_cvt_i32_f32_e32 v26, v59
	s_delay_alu instid0(VALU_DEP_2) | instskip(SKIP_2) | instid1(VALU_DEP_1)
	v_exp_f32_e32 v25, v25
	s_waitcnt_depctr 0xfff
	v_ldexp_f32 v25, v25, v26
	v_cndmask_b32_e64 v25, 0, v25, s7
	v_cmp_nlt_f32_e64 s7, 0x42b17218, v22
	s_delay_alu instid0(VALU_DEP_1) | instskip(NEXT) | instid1(VALU_DEP_1)
	v_cndmask_b32_e64 v22, 0x7f800000, v25, s7
	v_dual_cndmask_b32 v63, 0, v22 :: v_dual_sub_f32 v22, v149, v43
	s_delay_alu instid0(VALU_DEP_1) | instskip(SKIP_1) | instid1(VALU_DEP_2)
	v_mul_f32_e32 v25, 0x3fb8aa3b, v22
	v_cmp_ngt_f32_e64 s7, 0xc2ce8ed0, v22
	v_fma_f32 v26, 0x3fb8aa3b, v22, -v25
	v_rndne_f32_e32 v59, v25
	s_delay_alu instid0(VALU_DEP_1) | instskip(NEXT) | instid1(VALU_DEP_1)
	v_dual_fmac_f32 v26, 0x32a5705f, v22 :: v_dual_sub_f32 v25, v25, v59
	v_add_f32_e32 v25, v25, v26
	v_cvt_i32_f32_e32 v26, v59
	s_delay_alu instid0(VALU_DEP_2) | instskip(SKIP_2) | instid1(VALU_DEP_1)
	v_exp_f32_e32 v25, v25
	s_waitcnt_depctr 0xfff
	v_ldexp_f32 v25, v25, v26
	v_cndmask_b32_e64 v25, 0, v25, s7
	v_cmp_nlt_f32_e64 s7, 0x42b17218, v22
	s_delay_alu instid0(VALU_DEP_1) | instskip(SKIP_1) | instid1(VALU_DEP_2)
	v_cndmask_b32_e64 v22, 0x7f800000, v25, s7
	v_cmp_ngt_f32_e64 s7, 0xc2ce8ed0, v11
	v_cndmask_b32_e64 v26, 0, v22, s6
	s_delay_alu instid0(VALU_DEP_1) | instskip(NEXT) | instid1(VALU_DEP_1)
	v_dual_mul_f32 v22, 0x3fb8aa3b, v11 :: v_dual_add_f32 v59, v63, v26
	v_fma_f32 v25, 0x3fb8aa3b, v11, -v22
	v_rndne_f32_e32 v60, v22
	v_cvt_f16_f32_e32 v26, v26
	s_delay_alu instid0(VALU_DEP_2) | instskip(NEXT) | instid1(VALU_DEP_2)
	v_dual_fmac_f32 v25, 0x32a5705f, v11 :: v_dual_sub_f32 v22, v22, v60
	v_pack_b32_f16 v26, v24, v26
	v_lshl_or_b32 v24, v137, 7, v135
	s_delay_alu instid0(VALU_DEP_3) | instskip(SKIP_1) | instid1(VALU_DEP_2)
	v_add_f32_e32 v22, v22, v25
	v_cvt_i32_f32_e32 v25, v60
	v_exp_f32_e32 v22, v22
	s_waitcnt_depctr 0xfff
	v_ldexp_f32 v22, v22, v25
	s_delay_alu instid0(VALU_DEP_1) | instskip(SKIP_1) | instid1(VALU_DEP_1)
	v_cndmask_b32_e64 v22, 0, v22, s7
	v_cmp_nlt_f32_e64 s7, 0x42b17218, v11
	v_cndmask_b32_e64 v11, 0x7f800000, v22, s7
	s_delay_alu instid0(VALU_DEP_1) | instskip(NEXT) | instid1(VALU_DEP_1)
	v_dual_sub_f32 v22, v146, v44 :: v_dual_fmac_f32 v59, v27, v11
	v_mul_f32_e32 v25, 0x3fb8aa3b, v22
	v_cmp_ngt_f32_e64 s7, 0xc2ce8ed0, v22
	v_cvt_f16_f32_e32 v11, v11
	s_delay_alu instid0(VALU_DEP_3) | instskip(SKIP_1) | instid1(VALU_DEP_3)
	v_fma_f32 v27, 0x3fb8aa3b, v22, -v25
	v_rndne_f32_e32 v60, v25
	v_pk_mul_f16 v11, v11, v104 op_sel_hi:[0,1]
	s_delay_alu instid0(VALU_DEP_3) | instskip(NEXT) | instid1(VALU_DEP_3)
	v_fmac_f32_e32 v27, 0x32a5705f, v22
	v_sub_f32_e32 v25, v25, v60
	s_delay_alu instid0(VALU_DEP_1) | instskip(SKIP_1) | instid1(VALU_DEP_2)
	v_add_f32_e32 v25, v25, v27
	v_cvt_i32_f32_e32 v27, v60
	v_exp_f32_e32 v25, v25
	s_waitcnt_depctr 0xfff
	v_ldexp_f32 v25, v25, v27
	s_delay_alu instid0(VALU_DEP_1) | instskip(SKIP_1) | instid1(VALU_DEP_1)
	v_cndmask_b32_e64 v25, 0, v25, s7
	v_cmp_nlt_f32_e64 s7, 0x42b17218, v22
	v_cndmask_b32_e64 v22, 0x7f800000, v25, s7
	s_delay_alu instid0(VALU_DEP_1) | instskip(SKIP_1) | instid1(VALU_DEP_1)
	v_cndmask_b32_e32 v104, 0, v22, vcc_lo
	v_sub_f32_e32 v22, v147, v44
	v_mul_f32_e32 v25, 0x3fb8aa3b, v22
	v_cmp_ngt_f32_e64 s7, 0xc2ce8ed0, v22
	s_delay_alu instid0(VALU_DEP_2) | instskip(SKIP_1) | instid1(VALU_DEP_2)
	v_fma_f32 v27, 0x3fb8aa3b, v22, -v25
	v_rndne_f32_e32 v60, v25
	v_fmac_f32_e32 v27, 0x32a5705f, v22
	s_delay_alu instid0(VALU_DEP_2) | instskip(NEXT) | instid1(VALU_DEP_1)
	v_sub_f32_e32 v25, v25, v60
	v_add_f32_e32 v25, v25, v27
	v_cvt_i32_f32_e32 v27, v60
	s_delay_alu instid0(VALU_DEP_2) | instskip(SKIP_2) | instid1(VALU_DEP_1)
	v_exp_f32_e32 v25, v25
	s_waitcnt_depctr 0xfff
	v_ldexp_f32 v25, v25, v27
	v_cndmask_b32_e64 v25, 0, v25, s7
	v_cmp_nlt_f32_e64 s7, 0x42b17218, v22
	s_delay_alu instid0(VALU_DEP_1) | instskip(SKIP_1) | instid1(VALU_DEP_2)
	v_cndmask_b32_e64 v22, 0x7f800000, v25, s7
	v_cmp_ngt_f32_e64 s7, 0xc2ce8ed0, v12
	v_cndmask_b32_e64 v27, 0, v22, s6
	v_mul_f32_e32 v22, 0x3fb8aa3b, v12
	s_delay_alu instid0(VALU_DEP_2) | instskip(NEXT) | instid1(VALU_DEP_2)
	v_add_f32_e32 v60, v104, v27
	v_fma_f32 v25, 0x3fb8aa3b, v12, -v22
	v_rndne_f32_e32 v61, v22
	v_cvt_f16_f32_e32 v27, v27
	s_delay_alu instid0(VALU_DEP_2) | instskip(NEXT) | instid1(VALU_DEP_1)
	v_dual_fmac_f32 v25, 0x32a5705f, v12 :: v_dual_sub_f32 v22, v22, v61
	v_add_f32_e32 v22, v22, v25
	v_cvt_i32_f32_e32 v25, v61
	s_delay_alu instid0(VALU_DEP_2) | instskip(SKIP_2) | instid1(VALU_DEP_1)
	v_exp_f32_e32 v22, v22
	s_waitcnt_depctr 0xfff
	v_ldexp_f32 v22, v22, v25
	v_cndmask_b32_e64 v22, 0, v22, s7
	v_cmp_nlt_f32_e64 s7, 0x42b17218, v12
	s_delay_alu instid0(VALU_DEP_1) | instskip(SKIP_2) | instid1(VALU_DEP_2)
	v_cndmask_b32_e64 v12, 0x7f800000, v22, s7
	v_sub_f32_e32 v22, v144, v45
	v_cvt_f16_f32_e32 v23, v23
	v_dual_fmac_f32 v60, v28, v12 :: v_dual_mul_f32 v25, 0x3fb8aa3b, v22
	v_cmp_ngt_f32_e64 s7, 0xc2ce8ed0, v22
	v_cvt_f16_f32_e32 v12, v12
	s_delay_alu instid0(VALU_DEP_3) | instskip(SKIP_1) | instid1(VALU_DEP_3)
	v_fma_f32 v28, 0x3fb8aa3b, v22, -v25
	v_rndne_f32_e32 v61, v25
	v_pk_mul_f16 v12, v12, v103 op_sel_hi:[0,1]
	s_delay_alu instid0(VALU_DEP_3) | instskip(NEXT) | instid1(VALU_DEP_3)
	v_dual_sub_f32 v103, v15, v47 :: v_dual_fmac_f32 v28, 0x32a5705f, v22
	v_sub_f32_e32 v25, v25, v61
	s_delay_alu instid0(VALU_DEP_1) | instskip(SKIP_1) | instid1(VALU_DEP_2)
	v_add_f32_e32 v25, v25, v28
	v_cvt_i32_f32_e32 v28, v61
	v_exp_f32_e32 v25, v25
	s_waitcnt_depctr 0xfff
	v_ldexp_f32 v25, v25, v28
	s_delay_alu instid0(VALU_DEP_1) | instskip(SKIP_1) | instid1(VALU_DEP_1)
	v_cndmask_b32_e64 v25, 0, v25, s7
	v_cmp_nlt_f32_e64 s7, 0x42b17218, v22
	v_cndmask_b32_e64 v22, 0x7f800000, v25, s7
	s_delay_alu instid0(VALU_DEP_1) | instskip(SKIP_1) | instid1(VALU_DEP_1)
	v_cndmask_b32_e32 v64, 0, v22, vcc_lo
	v_sub_f32_e32 v22, v145, v45
	v_mul_f32_e32 v25, 0x3fb8aa3b, v22
	v_cmp_ngt_f32_e64 s7, 0xc2ce8ed0, v22
	s_delay_alu instid0(VALU_DEP_2) | instskip(SKIP_1) | instid1(VALU_DEP_1)
	v_fma_f32 v28, 0x3fb8aa3b, v22, -v25
	v_rndne_f32_e32 v61, v25
	v_dual_fmac_f32 v28, 0x32a5705f, v22 :: v_dual_sub_f32 v25, v25, v61
	s_delay_alu instid0(VALU_DEP_1) | instskip(SKIP_1) | instid1(VALU_DEP_2)
	v_add_f32_e32 v25, v25, v28
	v_cvt_i32_f32_e32 v28, v61
	v_exp_f32_e32 v25, v25
	s_waitcnt_depctr 0xfff
	v_ldexp_f32 v25, v25, v28
	s_delay_alu instid0(VALU_DEP_1) | instskip(SKIP_1) | instid1(VALU_DEP_1)
	v_cndmask_b32_e64 v25, 0, v25, s7
	v_cmp_nlt_f32_e64 s7, 0x42b17218, v22
	v_cndmask_b32_e64 v22, 0x7f800000, v25, s7
	v_cmp_ngt_f32_e64 s7, 0xc2ce8ed0, v13
	s_delay_alu instid0(VALU_DEP_2) | instskip(SKIP_1) | instid1(VALU_DEP_2)
	v_cndmask_b32_e64 v25, 0, v22, s6
	v_mul_f32_e32 v22, 0x3fb8aa3b, v13
	v_add_f32_e32 v61, v64, v25
	s_delay_alu instid0(VALU_DEP_2) | instskip(SKIP_2) | instid1(VALU_DEP_3)
	v_fma_f32 v28, 0x3fb8aa3b, v13, -v22
	v_rndne_f32_e32 v62, v22
	v_cvt_f16_f32_e32 v25, v25
	v_fmac_f32_e32 v28, 0x32a5705f, v13
	s_delay_alu instid0(VALU_DEP_3) | instskip(NEXT) | instid1(VALU_DEP_3)
	v_sub_f32_e32 v22, v22, v62
	v_pack_b32_f16 v27, v27, v25
	v_pack_b32_f16 v25, v19, v21
	s_delay_alu instid0(VALU_DEP_3) | instskip(SKIP_1) | instid1(VALU_DEP_2)
	v_add_f32_e32 v22, v22, v28
	v_cvt_i32_f32_e32 v28, v62
	v_exp_f32_e32 v22, v22
	s_waitcnt_depctr 0xfff
	v_ldexp_f32 v22, v22, v28
	s_delay_alu instid0(VALU_DEP_1) | instskip(SKIP_1) | instid1(VALU_DEP_1)
	v_cndmask_b32_e64 v22, 0, v22, s7
	v_cmp_nlt_f32_e64 s7, 0x42b17218, v13
	v_cndmask_b32_e64 v13, 0x7f800000, v22, s7
	s_delay_alu instid0(VALU_DEP_1) | instskip(NEXT) | instid1(VALU_DEP_1)
	v_dual_sub_f32 v22, v142, v46 :: v_dual_fmac_f32 v61, v29, v13
	v_mul_f32_e32 v28, 0x3fb8aa3b, v22
	v_cmp_ngt_f32_e64 s7, 0xc2ce8ed0, v22
	v_cvt_f16_f32_e32 v13, v13
	s_delay_alu instid0(VALU_DEP_3) | instskip(SKIP_1) | instid1(VALU_DEP_3)
	v_fma_f32 v29, 0x3fb8aa3b, v22, -v28
	v_rndne_f32_e32 v62, v28
	v_pk_mul_f16 v13, v13, v102 op_sel_hi:[0,1]
	v_cvt_f16_f32_e32 v102, v18
	s_delay_alu instid0(VALU_DEP_4) | instskip(NEXT) | instid1(VALU_DEP_4)
	v_fmac_f32_e32 v29, 0x32a5705f, v22
	v_sub_f32_e32 v28, v28, v62
	s_delay_alu instid0(VALU_DEP_1) | instskip(SKIP_1) | instid1(VALU_DEP_2)
	v_add_f32_e32 v28, v28, v29
	v_cvt_i32_f32_e32 v29, v62
	v_exp_f32_e32 v28, v28
	s_waitcnt_depctr 0xfff
	v_ldexp_f32 v28, v28, v29
	s_delay_alu instid0(VALU_DEP_1) | instskip(SKIP_1) | instid1(VALU_DEP_1)
	v_cndmask_b32_e64 v28, 0, v28, s7
	v_cmp_nlt_f32_e64 s7, 0x42b17218, v22
	v_cndmask_b32_e64 v22, 0x7f800000, v28, s7
	s_delay_alu instid0(VALU_DEP_1) | instskip(SKIP_1) | instid1(VALU_DEP_1)
	v_cndmask_b32_e32 v28, 0, v22, vcc_lo
	v_sub_f32_e32 v22, v143, v46
	v_mul_f32_e32 v29, 0x3fb8aa3b, v22
	v_cmp_ngt_f32_e64 s7, 0xc2ce8ed0, v22
	s_delay_alu instid0(VALU_DEP_2) | instskip(SKIP_1) | instid1(VALU_DEP_1)
	v_fma_f32 v62, 0x3fb8aa3b, v22, -v29
	v_rndne_f32_e32 v65, v29
	v_dual_fmac_f32 v62, 0x32a5705f, v22 :: v_dual_sub_f32 v29, v29, v65
	s_delay_alu instid0(VALU_DEP_1) | instskip(SKIP_1) | instid1(VALU_DEP_2)
	v_add_f32_e32 v29, v29, v62
	v_cvt_i32_f32_e32 v62, v65
	v_exp_f32_e32 v29, v29
	s_waitcnt_depctr 0xfff
	v_ldexp_f32 v29, v29, v62
	s_delay_alu instid0(VALU_DEP_1) | instskip(SKIP_1) | instid1(VALU_DEP_1)
	v_cndmask_b32_e64 v29, 0, v29, s7
	v_cmp_nlt_f32_e64 s7, 0x42b17218, v22
	v_cndmask_b32_e64 v22, 0x7f800000, v29, s7
	v_cmp_ngt_f32_e64 s7, 0xc2ce8ed0, v14
	s_delay_alu instid0(VALU_DEP_2) | instskip(SKIP_1) | instid1(VALU_DEP_2)
	v_cndmask_b32_e64 v29, 0, v22, s6
	v_mul_f32_e32 v22, 0x3fb8aa3b, v14
	v_add_f32_e32 v62, v28, v29
	s_delay_alu instid0(VALU_DEP_2)
	v_fma_f32 v65, 0x3fb8aa3b, v14, -v22
	v_rndne_f32_e32 v66, v22
	v_cvt_f16_f32_e32 v15, v29
	v_cvt_f16_f32_e32 v29, v64
	;; [unrolled: 1-line block ×3, first 2 shown]
	v_fmac_f32_e32 v65, 0x32a5705f, v14
	v_sub_f32_e32 v22, v22, v66
	v_mul_f32_e32 v64, 0x3fb8aa3b, v103
	s_delay_alu instid0(VALU_DEP_2) | instskip(SKIP_1) | instid1(VALU_DEP_2)
	v_add_f32_e32 v22, v22, v65
	v_cvt_i32_f32_e32 v65, v66
	v_exp_f32_e32 v22, v22
	s_waitcnt_depctr 0xfff
	v_ldexp_f32 v22, v22, v65
	s_delay_alu instid0(VALU_DEP_1) | instskip(SKIP_1) | instid1(VALU_DEP_1)
	v_cndmask_b32_e64 v22, 0, v22, s7
	v_cmp_nlt_f32_e64 s7, 0x42b17218, v14
	v_cndmask_b32_e64 v14, 0x7f800000, v22, s7
	v_sub_f32_e32 v22, v141, v47
	s_delay_alu instid0(VALU_DEP_2) | instskip(NEXT) | instid1(VALU_DEP_2)
	v_fmac_f32_e32 v62, v30, v14
	v_mul_f32_e32 v30, 0x3fb8aa3b, v22
	v_cmp_ngt_f32_e64 s7, 0xc2ce8ed0, v22
	v_cvt_f16_f32_e32 v14, v14
	s_delay_alu instid0(VALU_DEP_3) | instskip(SKIP_1) | instid1(VALU_DEP_3)
	v_fma_f32 v65, 0x3fb8aa3b, v22, -v30
	v_rndne_f32_e32 v66, v30
	v_pk_mul_f16 v14, v14, v101 op_sel_hi:[0,1]
	v_cvt_f16_f32_e32 v101, v104
	s_delay_alu instid0(VALU_DEP_4) | instskip(NEXT) | instid1(VALU_DEP_4)
	v_fmac_f32_e32 v65, 0x32a5705f, v22
	v_sub_f32_e32 v30, v30, v66
	s_delay_alu instid0(VALU_DEP_1) | instskip(SKIP_1) | instid1(VALU_DEP_2)
	v_add_f32_e32 v30, v30, v65
	v_cvt_i32_f32_e32 v65, v66
	v_exp_f32_e32 v30, v30
	s_waitcnt_depctr 0xfff
	v_ldexp_f32 v30, v30, v65
	s_delay_alu instid0(VALU_DEP_1) | instskip(SKIP_1) | instid1(VALU_DEP_1)
	v_cndmask_b32_e64 v30, 0, v30, s7
	v_cmp_nlt_f32_e64 s7, 0x42b17218, v22
	v_cndmask_b32_e64 v22, 0x7f800000, v30, s7
	s_mul_hi_i32 s7, s12, s13
	s_delay_alu instid0(VALU_DEP_1) | instskip(NEXT) | instid1(VALU_DEP_1)
	v_dual_cndmask_b32 v65, 0, v22 :: v_dual_sub_f32 v22, v140, v47
	v_mul_f32_e32 v30, 0x3fb8aa3b, v22
	v_cmp_ngt_f32_e32 vcc_lo, 0xc2ce8ed0, v22
	s_delay_alu instid0(VALU_DEP_2) | instskip(SKIP_1) | instid1(VALU_DEP_2)
	v_fma_f32 v66, 0x3fb8aa3b, v22, -v30
	v_rndne_f32_e32 v67, v30
	v_fmac_f32_e32 v66, 0x32a5705f, v22
	s_delay_alu instid0(VALU_DEP_2) | instskip(NEXT) | instid1(VALU_DEP_1)
	v_sub_f32_e32 v30, v30, v67
	v_add_f32_e32 v30, v30, v66
	v_cvt_i32_f32_e32 v66, v67
	s_delay_alu instid0(VALU_DEP_2) | instskip(SKIP_2) | instid1(VALU_DEP_1)
	v_exp_f32_e32 v30, v30
	s_waitcnt_depctr 0xfff
	v_ldexp_f32 v30, v30, v66
	v_cndmask_b32_e32 v30, 0, v30, vcc_lo
	v_cmp_nlt_f32_e32 vcc_lo, 0x42b17218, v22
	s_delay_alu instid0(VALU_DEP_2) | instskip(SKIP_2) | instid1(VALU_DEP_3)
	v_cndmask_b32_e32 v22, 0x7f800000, v30, vcc_lo
	v_cvt_f16_f32_e32 v30, v63
	v_cmp_ngt_f32_e32 vcc_lo, 0xc2ce8ed0, v103
	v_cndmask_b32_e64 v66, 0, v22, s6
	v_cvt_f16_f32_e32 v22, v65
	s_mul_i32 s6, s12, s13
	s_delay_alu instid0(SALU_CYCLE_1) | instskip(NEXT) | instid1(VALU_DEP_2)
	s_lshl_b64 s[6:7], s[6:7], 2
	v_add_f32_e32 v63, v65, v66
	v_cvt_f16_f32_e32 v18, v66
	v_fma_f32 v65, 0x3fb8aa3b, v103, -v64
	v_rndne_f32_e32 v66, v64
	v_pack_b32_f16 v67, v28, v22
	s_add_u32 s8, s16, s6
	v_pack_b32_f16 v28, v15, v18
	s_delay_alu instid0(VALU_DEP_3)
	v_dual_fmac_f32 v65, 0x32a5705f, v103 :: v_dual_sub_f32 v64, v64, v66
	v_mul_lo_u32 v15, s13, v136
	s_addc_u32 s9, s17, s7
	ds_store_b128 v16, v[25:28] offset:1024
	s_mov_b64 s[6:7], src_private_base
	v_add_f32_e32 v64, v64, v65
	v_cvt_i32_f32_e32 v65, v66
	v_pack_b32_f16 v66, v101, v29
	s_lshl_b32 s6, s13, 4
	v_ashrrev_i32_e32 v16, 31, v15
	v_exp_f32_e32 v64, v64
	s_mov_b32 s16, 0
	v_lshl_or_b32 v22, v136, 7, v135
	s_mov_b32 s18, s16
	s_mov_b32 s17, s16
	v_lshl_or_b32 v27, v138, 7, v135
	s_waitcnt_depctr 0xfff
	v_ldexp_f32 v64, v64, v65
	v_pack_b32_f16 v65, v23, v30
	s_delay_alu instid0(VALU_DEP_2) | instskip(SKIP_1) | instid1(VALU_DEP_2)
	v_cndmask_b32_e32 v64, 0, v64, vcc_lo
	v_cmp_nlt_f32_e32 vcc_lo, 0x42b17218, v103
	v_cndmask_b32_e32 v64, 0x7f800000, v64, vcc_lo
	s_delay_alu instid0(VALU_DEP_1) | instskip(SKIP_4) | instid1(VALU_DEP_4)
	v_fmac_f32_e32 v63, v31, v64
	v_cvt_f16_f32_e32 v31, v64
	v_pack_b32_f16 v64, v102, v20
	v_dual_mov_b32 v21, s18 :: v_dual_mov_b32 v20, s17
	v_mov_b32_e32 v19, s16
	v_pk_mul_f16 v31, v31, v100 op_sel_hi:[0,1]
	ds_store_b128 v17, v[64:67] offset:1024
	v_lshlrev_b64 v[16:17], 2, v[15:16]
	v_dual_mov_b32 v66, 0 :: v_dual_add_nc_u32 v15, s6, v15
	scratch_store_b96 off, v[19:21], off offset:4
	v_lshl_or_b32 v65, v139, 7, v135
	v_add_co_u32 v16, vcc_lo, s8, v16
	v_add_co_ci_u32_e32 v17, vcc_lo, s9, v17, vcc_lo
	scratch_store_b32 off, v66, off
	v_add_co_u32 v18, vcc_lo, v16, v135
	v_ashrrev_i32_e32 v16, 31, v15
	v_add_co_ci_u32_e32 v23, vcc_lo, 0, v17, vcc_lo
	s_delay_alu instid0(VALU_DEP_2) | instskip(SKIP_1) | instid1(VALU_DEP_2)
	v_lshlrev_b64 v[16:17], 2, v[15:16]
	v_add_nc_u32_e32 v15, s6, v15
	v_add_co_u32 v16, vcc_lo, s8, v16
	s_delay_alu instid0(VALU_DEP_3) | instskip(NEXT) | instid1(VALU_DEP_2)
	v_add_co_ci_u32_e32 v17, vcc_lo, s9, v17, vcc_lo
	v_add_co_u32 v25, vcc_lo, v16, v135
	s_delay_alu instid0(VALU_DEP_4) | instskip(NEXT) | instid1(VALU_DEP_3)
	v_ashrrev_i32_e32 v16, 31, v15
	v_add_co_ci_u32_e32 v26, vcc_lo, 0, v17, vcc_lo
	s_delay_alu instid0(VALU_DEP_2) | instskip(SKIP_1) | instid1(VALU_DEP_2)
	v_lshlrev_b64 v[16:17], 2, v[15:16]
	v_add_nc_u32_e32 v15, s6, v15
	v_add_co_u32 v16, vcc_lo, s8, v16
	s_delay_alu instid0(VALU_DEP_3) | instskip(NEXT) | instid1(VALU_DEP_2)
	v_add_co_ci_u32_e32 v17, vcc_lo, s9, v17, vcc_lo
	v_add_co_u32 v28, vcc_lo, v16, v135
	s_delay_alu instid0(VALU_DEP_4) | instskip(NEXT) | instid1(VALU_DEP_3)
	v_ashrrev_i32_e32 v16, 31, v15
	v_add_co_ci_u32_e32 v29, vcc_lo, 0, v17, vcc_lo
	s_delay_alu instid0(VALU_DEP_2) | instskip(NEXT) | instid1(VALU_DEP_1)
	v_lshlrev_b64 v[15:16], 2, v[15:16]
	v_add_co_u32 v15, vcc_lo, s8, v15
	s_delay_alu instid0(VALU_DEP_2) | instskip(NEXT) | instid1(VALU_DEP_2)
	v_add_co_ci_u32_e32 v16, vcc_lo, s9, v16, vcc_lo
	v_add_co_u32 v30, vcc_lo, v15, v135
	s_delay_alu instid0(VALU_DEP_2)
	v_add_co_ci_u32_e32 v64, vcc_lo, 0, v16, vcc_lo
	v_cndmask_b32_e64 v16, s7, v23, s5
	v_cndmask_b32_e64 v15, 0, v18, s5
	flat_load_b128 v[15:18], v[15:16]
	s_waitcnt vmcnt(0) lgkmcnt(0)
	ds_store_b128 v22, v[15:18]
	v_cndmask_b32_e64 v16, s7, v26, s4
	v_cndmask_b32_e64 v15, 0, v25, s4
	s_clause 0x1
	scratch_store_b32 off, v66, off
	scratch_store_b96 off, v[19:21], off offset:4
	flat_load_b128 v[15:18], v[15:16]
	s_waitcnt vmcnt(0) lgkmcnt(0)
	ds_store_b128 v24, v[15:18]
	v_cndmask_b32_e64 v16, s7, v29, s3
	v_cndmask_b32_e64 v15, 0, v28, s3
	s_clause 0x1
	scratch_store_b32 off, v66, off
	scratch_store_b96 off, v[19:21], off offset:4
	;; [unrolled: 8-line block ×3, first 2 shown]
	flat_load_b128 v[15:18], v[15:16]
	s_waitcnt vmcnt(0) lgkmcnt(0)
	ds_store_b128 v65, v[15:18]
	s_waitcnt lgkmcnt(0)
	s_waitcnt_vscnt null, 0x0
	s_barrier
	buffer_gl0_inv
	ds_load_2addr_b32 v[68:69], v99 offset1:32
	ds_load_b128 v[15:18], v98 offset:9216
	ds_load_b128 v[19:22], v98 offset:9232
	;; [unrolled: 1-line block ×5, first 2 shown]
	s_waitcnt lgkmcnt(4)
	v_pk_fma_f16 v70, v68, v15, v0 op_sel_hi:[1,0,1]
	v_pk_fma_f16 v15, v68, v15, v1 op_sel:[0,1,0]
	v_pk_fma_f16 v71, v68, v16, v2 op_sel_hi:[1,0,1]
	v_pk_fma_f16 v16, v68, v16, v3 op_sel:[0,1,0]
	ds_load_b128 v[0:3], v98 offset:10256
	v_pk_fma_f16 v4, v68, v17, v4 op_sel_hi:[1,0,1]
	v_pk_fma_f16 v5, v68, v17, v5 op_sel:[0,1,0]
	s_waitcnt lgkmcnt(1)
	v_pk_fma_f16 v8, v68, v64, v8 op_sel_hi:[1,0,1]
	v_pk_fma_f16 v9, v68, v64, v9 op_sel:[0,1,0]
	v_pk_fma_f16 v10, v68, v65, v10 op_sel_hi:[1,0,1]
	v_pk_fma_f16 v11, v68, v65, v11 op_sel:[0,1,0]
	;; [unrolled: 2-line block ×8, first 2 shown]
	v_pk_fma_f16 v6, v69, v22, v6 op_sel_hi:[1,0,1]
	s_waitcnt lgkmcnt(0)
	v_pk_fma_f16 v8, v69, v0, v8 op_sel_hi:[1,0,1]
	v_pk_fma_f16 v9, v69, v0, v9 op_sel:[0,1,0]
	v_pk_fma_f16 v10, v69, v1, v10 op_sel_hi:[1,0,1]
	v_pk_fma_f16 v11, v69, v1, v11 op_sel:[0,1,0]
	;; [unrolled: 2-line block ×4, first 2 shown]
	ds_load_2addr_b32 v[4:5], v99 offset0:64 offset1:96
	ds_load_b128 v[0:3], v98 offset:10272
	v_pk_fma_f16 v7, v69, v22, v7 op_sel:[0,1,0]
	s_waitcnt lgkmcnt(1)
	v_pk_fma_f16 v18, v4, v23, v18 op_sel_hi:[1,0,1]
	v_pk_fma_f16 v15, v4, v23, v15 op_sel:[0,1,0]
	v_pk_fma_f16 v19, v4, v24, v19 op_sel_hi:[1,0,1]
	v_pk_fma_f16 v16, v4, v24, v16 op_sel:[0,1,0]
	;; [unrolled: 2-line block ×4, first 2 shown]
	s_waitcnt lgkmcnt(0)
	v_pk_fma_f16 v8, v4, v0, v8 op_sel_hi:[1,0,1]
	v_pk_fma_f16 v9, v4, v0, v9 op_sel:[0,1,0]
	v_pk_fma_f16 v10, v4, v1, v10 op_sel_hi:[1,0,1]
	v_pk_fma_f16 v11, v4, v1, v11 op_sel:[0,1,0]
	;; [unrolled: 2-line block ×4, first 2 shown]
	ds_load_b128 v[0:3], v98 offset:10288
	v_pk_fma_f16 v17, v5, v27, v18 op_sel_hi:[1,0,1]
	v_pk_fma_f16 v15, v5, v27, v15 op_sel:[0,1,0]
	v_pk_fma_f16 v18, v5, v28, v19 op_sel_hi:[1,0,1]
	v_pk_fma_f16 v16, v5, v28, v16 op_sel:[0,1,0]
	;; [unrolled: 2-line block ×4, first 2 shown]
	v_add_nc_u32_e32 v26, 0x400, v99
	s_waitcnt lgkmcnt(0)
	v_pk_fma_f16 v23, v5, v0, v8 op_sel_hi:[1,0,1]
	v_pk_fma_f16 v24, v5, v0, v9 op_sel:[0,1,0]
	v_pk_fma_f16 v10, v5, v1, v10 op_sel_hi:[1,0,1]
	v_pk_fma_f16 v11, v5, v1, v11 op_sel:[0,1,0]
	;; [unrolled: 2-line block ×4, first 2 shown]
	ds_load_2addr_b32 v[8:9], v99 offset0:128 offset1:160
	ds_load_b128 v[0:3], v98 offset:9280
	ds_load_b128 v[4:7], v98 offset:10304
	s_waitcnt lgkmcnt(1)
	v_pk_fma_f16 v17, v8, v0, v17 op_sel_hi:[1,0,1]
	v_pk_fma_f16 v15, v8, v0, v15 op_sel:[0,1,0]
	v_pk_fma_f16 v18, v8, v1, v18 op_sel_hi:[1,0,1]
	v_pk_fma_f16 v16, v8, v1, v16 op_sel:[0,1,0]
	;; [unrolled: 2-line block ×4, first 2 shown]
	s_waitcnt lgkmcnt(0)
	v_pk_fma_f16 v23, v8, v4, v23 op_sel_hi:[1,0,1]
	v_pk_fma_f16 v24, v8, v4, v24 op_sel:[0,1,0]
	v_pk_fma_f16 v10, v8, v5, v10 op_sel_hi:[1,0,1]
	v_pk_fma_f16 v11, v8, v5, v11 op_sel:[0,1,0]
	v_pk_fma_f16 v12, v8, v6, v12 op_sel_hi:[1,0,1]
	v_pk_fma_f16 v13, v8, v6, v13 op_sel:[0,1,0]
	v_pk_fma_f16 v14, v8, v7, v14 op_sel_hi:[1,0,1]
	v_pk_fma_f16 v8, v8, v7, v25 op_sel:[0,1,0]
	ds_load_b128 v[0:3], v98 offset:9296
	ds_load_b128 v[4:7], v98 offset:10320
	s_waitcnt lgkmcnt(1)
	v_pk_fma_f16 v17, v9, v0, v17 op_sel_hi:[1,0,1]
	v_pk_fma_f16 v15, v9, v0, v15 op_sel:[0,1,0]
	v_pk_fma_f16 v18, v9, v1, v18 op_sel_hi:[1,0,1]
	v_pk_fma_f16 v16, v9, v1, v16 op_sel:[0,1,0]
	;; [unrolled: 2-line block ×4, first 2 shown]
	s_waitcnt lgkmcnt(0)
	v_pk_fma_f16 v23, v9, v4, v23 op_sel_hi:[1,0,1]
	v_pk_fma_f16 v24, v9, v4, v24 op_sel:[0,1,0]
	v_pk_fma_f16 v10, v9, v5, v10 op_sel_hi:[1,0,1]
	v_pk_fma_f16 v11, v9, v5, v11 op_sel:[0,1,0]
	;; [unrolled: 2-line block ×4, first 2 shown]
	ds_load_2addr_b32 v[8:9], v99 offset0:192 offset1:224
	ds_load_b128 v[0:3], v98 offset:9312
	ds_load_b128 v[4:7], v98 offset:10336
	s_waitcnt lgkmcnt(1)
	v_pk_fma_f16 v17, v8, v0, v17 op_sel_hi:[1,0,1]
	v_pk_fma_f16 v15, v8, v0, v15 op_sel:[0,1,0]
	v_pk_fma_f16 v18, v8, v1, v18 op_sel_hi:[1,0,1]
	v_pk_fma_f16 v16, v8, v1, v16 op_sel:[0,1,0]
	;; [unrolled: 2-line block ×4, first 2 shown]
	s_waitcnt lgkmcnt(0)
	v_pk_fma_f16 v23, v8, v4, v23 op_sel_hi:[1,0,1]
	v_pk_fma_f16 v24, v8, v4, v24 op_sel:[0,1,0]
	v_pk_fma_f16 v10, v8, v5, v10 op_sel_hi:[1,0,1]
	v_pk_fma_f16 v11, v8, v5, v11 op_sel:[0,1,0]
	;; [unrolled: 2-line block ×4, first 2 shown]
	ds_load_b128 v[0:3], v98 offset:9328
	ds_load_b128 v[4:7], v98 offset:10352
	s_waitcnt lgkmcnt(1)
	v_pk_fma_f16 v17, v9, v0, v17 op_sel_hi:[1,0,1]
	v_pk_fma_f16 v15, v9, v0, v15 op_sel:[0,1,0]
	v_pk_fma_f16 v18, v9, v1, v18 op_sel_hi:[1,0,1]
	v_pk_fma_f16 v16, v9, v1, v16 op_sel:[0,1,0]
	;; [unrolled: 2-line block ×4, first 2 shown]
	s_waitcnt lgkmcnt(0)
	v_pk_fma_f16 v23, v9, v4, v23 op_sel_hi:[1,0,1]
	v_pk_fma_f16 v24, v9, v4, v24 op_sel:[0,1,0]
	v_pk_fma_f16 v10, v9, v5, v10 op_sel_hi:[1,0,1]
	v_pk_fma_f16 v11, v9, v5, v11 op_sel:[0,1,0]
	;; [unrolled: 2-line block ×4, first 2 shown]
	ds_load_2addr_b32 v[8:9], v26 offset1:32
	ds_load_b128 v[0:3], v98 offset:9344
	ds_load_b128 v[4:7], v98 offset:10368
	s_waitcnt lgkmcnt(1)
	v_pk_fma_f16 v17, v8, v0, v17 op_sel_hi:[1,0,1]
	v_pk_fma_f16 v15, v8, v0, v15 op_sel:[0,1,0]
	v_pk_fma_f16 v18, v8, v1, v18 op_sel_hi:[1,0,1]
	v_pk_fma_f16 v16, v8, v1, v16 op_sel:[0,1,0]
	v_pk_fma_f16 v19, v8, v2, v19 op_sel_hi:[1,0,1]
	v_pk_fma_f16 v20, v8, v2, v20 op_sel:[0,1,0]
	v_pk_fma_f16 v21, v8, v3, v21 op_sel_hi:[1,0,1]
	v_pk_fma_f16 v22, v8, v3, v22 op_sel:[0,1,0]
	s_waitcnt lgkmcnt(0)
	v_pk_fma_f16 v23, v8, v4, v23 op_sel_hi:[1,0,1]
	v_pk_fma_f16 v24, v8, v4, v24 op_sel:[0,1,0]
	v_pk_fma_f16 v10, v8, v5, v10 op_sel_hi:[1,0,1]
	v_pk_fma_f16 v11, v8, v5, v11 op_sel:[0,1,0]
	v_pk_fma_f16 v12, v8, v6, v12 op_sel_hi:[1,0,1]
	v_pk_fma_f16 v13, v8, v6, v13 op_sel:[0,1,0]
	v_pk_fma_f16 v14, v8, v7, v14 op_sel_hi:[1,0,1]
	v_pk_fma_f16 v8, v8, v7, v25 op_sel:[0,1,0]
	ds_load_b128 v[0:3], v98 offset:9360
	ds_load_b128 v[4:7], v98 offset:10384
	s_waitcnt lgkmcnt(1)
	v_pk_fma_f16 v17, v9, v0, v17 op_sel_hi:[1,0,1]
	v_pk_fma_f16 v15, v9, v0, v15 op_sel:[0,1,0]
	v_pk_fma_f16 v18, v9, v1, v18 op_sel_hi:[1,0,1]
	v_pk_fma_f16 v16, v9, v1, v16 op_sel:[0,1,0]
	v_pk_fma_f16 v19, v9, v2, v19 op_sel_hi:[1,0,1]
	v_pk_fma_f16 v20, v9, v2, v20 op_sel:[0,1,0]
	v_pk_fma_f16 v21, v9, v3, v21 op_sel_hi:[1,0,1]
	v_pk_fma_f16 v22, v9, v3, v22 op_sel:[0,1,0]
	s_waitcnt lgkmcnt(0)
	v_pk_fma_f16 v23, v9, v4, v23 op_sel_hi:[1,0,1]
	v_pk_fma_f16 v24, v9, v4, v24 op_sel:[0,1,0]
	v_pk_fma_f16 v10, v9, v5, v10 op_sel_hi:[1,0,1]
	v_pk_fma_f16 v11, v9, v5, v11 op_sel:[0,1,0]
	v_pk_fma_f16 v12, v9, v6, v12 op_sel_hi:[1,0,1]
	v_pk_fma_f16 v13, v9, v6, v13 op_sel:[0,1,0]
	v_pk_fma_f16 v14, v9, v7, v14 op_sel_hi:[1,0,1]
	v_pk_fma_f16 v25, v9, v7, v8 op_sel:[0,1,0]
	ds_load_2addr_b32 v[8:9], v26 offset0:64 offset1:96
	ds_load_b128 v[0:3], v98 offset:9376
	ds_load_b128 v[4:7], v98 offset:10400
	s_waitcnt lgkmcnt(1)
	v_pk_fma_f16 v17, v8, v0, v17 op_sel_hi:[1,0,1]
	v_pk_fma_f16 v15, v8, v0, v15 op_sel:[0,1,0]
	v_pk_fma_f16 v18, v8, v1, v18 op_sel_hi:[1,0,1]
	v_pk_fma_f16 v16, v8, v1, v16 op_sel:[0,1,0]
	v_pk_fma_f16 v19, v8, v2, v19 op_sel_hi:[1,0,1]
	v_pk_fma_f16 v20, v8, v2, v20 op_sel:[0,1,0]
	v_pk_fma_f16 v21, v8, v3, v21 op_sel_hi:[1,0,1]
	v_pk_fma_f16 v22, v8, v3, v22 op_sel:[0,1,0]
	s_waitcnt lgkmcnt(0)
	v_pk_fma_f16 v23, v8, v4, v23 op_sel_hi:[1,0,1]
	v_pk_fma_f16 v24, v8, v4, v24 op_sel:[0,1,0]
	v_pk_fma_f16 v10, v8, v5, v10 op_sel_hi:[1,0,1]
	v_pk_fma_f16 v11, v8, v5, v11 op_sel:[0,1,0]
	v_pk_fma_f16 v12, v8, v6, v12 op_sel_hi:[1,0,1]
	v_pk_fma_f16 v13, v8, v6, v13 op_sel:[0,1,0]
	v_pk_fma_f16 v14, v8, v7, v14 op_sel_hi:[1,0,1]
	v_pk_fma_f16 v8, v8, v7, v25 op_sel:[0,1,0]
	ds_load_b128 v[0:3], v98 offset:9392
	ds_load_b128 v[4:7], v98 offset:10416
	s_waitcnt lgkmcnt(1)
	v_pk_fma_f16 v17, v9, v0, v17 op_sel_hi:[1,0,1]
	v_pk_fma_f16 v15, v9, v0, v15 op_sel:[0,1,0]
	v_pk_fma_f16 v18, v9, v1, v18 op_sel_hi:[1,0,1]
	v_pk_fma_f16 v16, v9, v1, v16 op_sel:[0,1,0]
	v_pk_fma_f16 v19, v9, v2, v19 op_sel_hi:[1,0,1]
	v_pk_fma_f16 v20, v9, v2, v20 op_sel:[0,1,0]
	v_pk_fma_f16 v21, v9, v3, v21 op_sel_hi:[1,0,1]
	v_pk_fma_f16 v22, v9, v3, v22 op_sel:[0,1,0]
	s_waitcnt lgkmcnt(0)
	v_pk_fma_f16 v23, v9, v4, v23 op_sel_hi:[1,0,1]
	v_pk_fma_f16 v24, v9, v4, v24 op_sel:[0,1,0]
	v_pk_fma_f16 v10, v9, v5, v10 op_sel_hi:[1,0,1]
	v_pk_fma_f16 v11, v9, v5, v11 op_sel:[0,1,0]
	v_pk_fma_f16 v12, v9, v6, v12 op_sel_hi:[1,0,1]
	v_pk_fma_f16 v13, v9, v6, v13 op_sel:[0,1,0]
	v_pk_fma_f16 v14, v9, v7, v14 op_sel_hi:[1,0,1]
	v_pk_fma_f16 v25, v9, v7, v8 op_sel:[0,1,0]
	ds_load_2addr_b32 v[8:9], v26 offset0:128 offset1:160
	;; [unrolled: 41-line block ×3, first 2 shown]
	ds_load_b128 v[0:3], v98 offset:9440
	ds_load_b128 v[4:7], v98 offset:10464
	v_add_nc_u32_e32 v26, 0x800, v99
	s_waitcnt lgkmcnt(1)
	v_pk_fma_f16 v17, v8, v0, v17 op_sel_hi:[1,0,1]
	v_pk_fma_f16 v15, v8, v0, v15 op_sel:[0,1,0]
	v_pk_fma_f16 v18, v8, v1, v18 op_sel_hi:[1,0,1]
	v_pk_fma_f16 v16, v8, v1, v16 op_sel:[0,1,0]
	;; [unrolled: 2-line block ×4, first 2 shown]
	s_waitcnt lgkmcnt(0)
	v_pk_fma_f16 v23, v8, v4, v23 op_sel_hi:[1,0,1]
	v_pk_fma_f16 v24, v8, v4, v24 op_sel:[0,1,0]
	v_pk_fma_f16 v10, v8, v5, v10 op_sel_hi:[1,0,1]
	v_pk_fma_f16 v11, v8, v5, v11 op_sel:[0,1,0]
	;; [unrolled: 2-line block ×4, first 2 shown]
	ds_load_b128 v[0:3], v98 offset:9456
	ds_load_b128 v[4:7], v98 offset:10480
	s_waitcnt lgkmcnt(1)
	v_pk_fma_f16 v17, v9, v0, v17 op_sel_hi:[1,0,1]
	v_pk_fma_f16 v15, v9, v0, v15 op_sel:[0,1,0]
	v_pk_fma_f16 v18, v9, v1, v18 op_sel_hi:[1,0,1]
	v_pk_fma_f16 v16, v9, v1, v16 op_sel:[0,1,0]
	;; [unrolled: 2-line block ×4, first 2 shown]
	s_waitcnt lgkmcnt(0)
	v_pk_fma_f16 v23, v9, v4, v23 op_sel_hi:[1,0,1]
	v_pk_fma_f16 v24, v9, v4, v24 op_sel:[0,1,0]
	v_pk_fma_f16 v10, v9, v5, v10 op_sel_hi:[1,0,1]
	v_pk_fma_f16 v11, v9, v5, v11 op_sel:[0,1,0]
	;; [unrolled: 2-line block ×4, first 2 shown]
	ds_load_2addr_b32 v[8:9], v26 offset1:32
	ds_load_b128 v[0:3], v98 offset:9472
	ds_load_b128 v[4:7], v98 offset:10496
	s_waitcnt lgkmcnt(1)
	v_pk_fma_f16 v17, v8, v0, v17 op_sel_hi:[1,0,1]
	v_pk_fma_f16 v15, v8, v0, v15 op_sel:[0,1,0]
	v_pk_fma_f16 v18, v8, v1, v18 op_sel_hi:[1,0,1]
	v_pk_fma_f16 v16, v8, v1, v16 op_sel:[0,1,0]
	v_pk_fma_f16 v19, v8, v2, v19 op_sel_hi:[1,0,1]
	v_pk_fma_f16 v20, v8, v2, v20 op_sel:[0,1,0]
	v_pk_fma_f16 v21, v8, v3, v21 op_sel_hi:[1,0,1]
	v_pk_fma_f16 v22, v8, v3, v22 op_sel:[0,1,0]
	s_waitcnt lgkmcnt(0)
	v_pk_fma_f16 v23, v8, v4, v23 op_sel_hi:[1,0,1]
	v_pk_fma_f16 v24, v8, v4, v24 op_sel:[0,1,0]
	v_pk_fma_f16 v10, v8, v5, v10 op_sel_hi:[1,0,1]
	v_pk_fma_f16 v11, v8, v5, v11 op_sel:[0,1,0]
	v_pk_fma_f16 v12, v8, v6, v12 op_sel_hi:[1,0,1]
	v_pk_fma_f16 v13, v8, v6, v13 op_sel:[0,1,0]
	v_pk_fma_f16 v14, v8, v7, v14 op_sel_hi:[1,0,1]
	v_pk_fma_f16 v8, v8, v7, v25 op_sel:[0,1,0]
	ds_load_b128 v[0:3], v98 offset:9488
	ds_load_b128 v[4:7], v98 offset:10512
	s_waitcnt lgkmcnt(1)
	v_pk_fma_f16 v17, v9, v0, v17 op_sel_hi:[1,0,1]
	v_pk_fma_f16 v15, v9, v0, v15 op_sel:[0,1,0]
	v_pk_fma_f16 v18, v9, v1, v18 op_sel_hi:[1,0,1]
	v_pk_fma_f16 v16, v9, v1, v16 op_sel:[0,1,0]
	v_pk_fma_f16 v19, v9, v2, v19 op_sel_hi:[1,0,1]
	v_pk_fma_f16 v20, v9, v2, v20 op_sel:[0,1,0]
	v_pk_fma_f16 v21, v9, v3, v21 op_sel_hi:[1,0,1]
	v_pk_fma_f16 v22, v9, v3, v22 op_sel:[0,1,0]
	s_waitcnt lgkmcnt(0)
	v_pk_fma_f16 v23, v9, v4, v23 op_sel_hi:[1,0,1]
	v_pk_fma_f16 v24, v9, v4, v24 op_sel:[0,1,0]
	v_pk_fma_f16 v10, v9, v5, v10 op_sel_hi:[1,0,1]
	v_pk_fma_f16 v11, v9, v5, v11 op_sel:[0,1,0]
	v_pk_fma_f16 v12, v9, v6, v12 op_sel_hi:[1,0,1]
	v_pk_fma_f16 v13, v9, v6, v13 op_sel:[0,1,0]
	v_pk_fma_f16 v14, v9, v7, v14 op_sel_hi:[1,0,1]
	v_pk_fma_f16 v25, v9, v7, v8 op_sel:[0,1,0]
	ds_load_2addr_b32 v[8:9], v26 offset0:64 offset1:96
	ds_load_b128 v[0:3], v98 offset:9504
	ds_load_b128 v[4:7], v98 offset:10528
	s_waitcnt lgkmcnt(1)
	v_pk_fma_f16 v17, v8, v0, v17 op_sel_hi:[1,0,1]
	v_pk_fma_f16 v15, v8, v0, v15 op_sel:[0,1,0]
	v_pk_fma_f16 v18, v8, v1, v18 op_sel_hi:[1,0,1]
	v_pk_fma_f16 v16, v8, v1, v16 op_sel:[0,1,0]
	v_pk_fma_f16 v19, v8, v2, v19 op_sel_hi:[1,0,1]
	v_pk_fma_f16 v20, v8, v2, v20 op_sel:[0,1,0]
	v_pk_fma_f16 v21, v8, v3, v21 op_sel_hi:[1,0,1]
	v_pk_fma_f16 v22, v8, v3, v22 op_sel:[0,1,0]
	s_waitcnt lgkmcnt(0)
	v_pk_fma_f16 v23, v8, v4, v23 op_sel_hi:[1,0,1]
	v_pk_fma_f16 v24, v8, v4, v24 op_sel:[0,1,0]
	v_pk_fma_f16 v10, v8, v5, v10 op_sel_hi:[1,0,1]
	v_pk_fma_f16 v11, v8, v5, v11 op_sel:[0,1,0]
	v_pk_fma_f16 v12, v8, v6, v12 op_sel_hi:[1,0,1]
	v_pk_fma_f16 v13, v8, v6, v13 op_sel:[0,1,0]
	v_pk_fma_f16 v14, v8, v7, v14 op_sel_hi:[1,0,1]
	v_pk_fma_f16 v8, v8, v7, v25 op_sel:[0,1,0]
	ds_load_b128 v[0:3], v98 offset:9520
	ds_load_b128 v[4:7], v98 offset:10544
	s_waitcnt lgkmcnt(1)
	v_pk_fma_f16 v17, v9, v0, v17 op_sel_hi:[1,0,1]
	v_pk_fma_f16 v15, v9, v0, v15 op_sel:[0,1,0]
	v_pk_fma_f16 v18, v9, v1, v18 op_sel_hi:[1,0,1]
	v_pk_fma_f16 v16, v9, v1, v16 op_sel:[0,1,0]
	v_pk_fma_f16 v19, v9, v2, v19 op_sel_hi:[1,0,1]
	v_pk_fma_f16 v20, v9, v2, v20 op_sel:[0,1,0]
	v_pk_fma_f16 v21, v9, v3, v21 op_sel_hi:[1,0,1]
	v_pk_fma_f16 v22, v9, v3, v22 op_sel:[0,1,0]
	s_waitcnt lgkmcnt(0)
	v_pk_fma_f16 v23, v9, v4, v23 op_sel_hi:[1,0,1]
	v_pk_fma_f16 v24, v9, v4, v24 op_sel:[0,1,0]
	v_pk_fma_f16 v10, v9, v5, v10 op_sel_hi:[1,0,1]
	v_pk_fma_f16 v11, v9, v5, v11 op_sel:[0,1,0]
	v_pk_fma_f16 v12, v9, v6, v12 op_sel_hi:[1,0,1]
	v_pk_fma_f16 v13, v9, v6, v13 op_sel:[0,1,0]
	v_pk_fma_f16 v14, v9, v7, v14 op_sel_hi:[1,0,1]
	v_pk_fma_f16 v25, v9, v7, v8 op_sel:[0,1,0]
	ds_load_2addr_b32 v[8:9], v26 offset0:128 offset1:160
	;; [unrolled: 41-line block ×3, first 2 shown]
	ds_load_b128 v[0:3], v98 offset:9568
	ds_load_b128 v[4:7], v98 offset:10592
	v_add_nc_u32_e32 v26, 0xc00, v99
	s_waitcnt lgkmcnt(1)
	v_pk_fma_f16 v17, v8, v0, v17 op_sel_hi:[1,0,1]
	v_pk_fma_f16 v15, v8, v0, v15 op_sel:[0,1,0]
	v_pk_fma_f16 v18, v8, v1, v18 op_sel_hi:[1,0,1]
	v_pk_fma_f16 v16, v8, v1, v16 op_sel:[0,1,0]
	;; [unrolled: 2-line block ×4, first 2 shown]
	s_waitcnt lgkmcnt(0)
	v_pk_fma_f16 v23, v8, v4, v23 op_sel_hi:[1,0,1]
	v_pk_fma_f16 v24, v8, v4, v24 op_sel:[0,1,0]
	v_pk_fma_f16 v10, v8, v5, v10 op_sel_hi:[1,0,1]
	v_pk_fma_f16 v11, v8, v5, v11 op_sel:[0,1,0]
	;; [unrolled: 2-line block ×4, first 2 shown]
	ds_load_b128 v[0:3], v98 offset:9584
	ds_load_b128 v[4:7], v98 offset:10608
	s_waitcnt lgkmcnt(1)
	v_pk_fma_f16 v17, v9, v0, v17 op_sel_hi:[1,0,1]
	v_pk_fma_f16 v15, v9, v0, v15 op_sel:[0,1,0]
	v_pk_fma_f16 v18, v9, v1, v18 op_sel_hi:[1,0,1]
	v_pk_fma_f16 v16, v9, v1, v16 op_sel:[0,1,0]
	;; [unrolled: 2-line block ×4, first 2 shown]
	s_waitcnt lgkmcnt(0)
	v_pk_fma_f16 v23, v9, v4, v23 op_sel_hi:[1,0,1]
	v_pk_fma_f16 v24, v9, v4, v24 op_sel:[0,1,0]
	v_pk_fma_f16 v10, v9, v5, v10 op_sel_hi:[1,0,1]
	v_pk_fma_f16 v11, v9, v5, v11 op_sel:[0,1,0]
	;; [unrolled: 2-line block ×4, first 2 shown]
	ds_load_2addr_b32 v[8:9], v26 offset1:32
	ds_load_b128 v[0:3], v98 offset:9600
	ds_load_b128 v[4:7], v98 offset:10624
	s_waitcnt lgkmcnt(1)
	v_pk_fma_f16 v17, v8, v0, v17 op_sel_hi:[1,0,1]
	v_pk_fma_f16 v15, v8, v0, v15 op_sel:[0,1,0]
	v_pk_fma_f16 v18, v8, v1, v18 op_sel_hi:[1,0,1]
	v_pk_fma_f16 v16, v8, v1, v16 op_sel:[0,1,0]
	v_pk_fma_f16 v19, v8, v2, v19 op_sel_hi:[1,0,1]
	v_pk_fma_f16 v20, v8, v2, v20 op_sel:[0,1,0]
	v_pk_fma_f16 v21, v8, v3, v21 op_sel_hi:[1,0,1]
	v_pk_fma_f16 v22, v8, v3, v22 op_sel:[0,1,0]
	s_waitcnt lgkmcnt(0)
	v_pk_fma_f16 v23, v8, v4, v23 op_sel_hi:[1,0,1]
	v_pk_fma_f16 v24, v8, v4, v24 op_sel:[0,1,0]
	v_pk_fma_f16 v10, v8, v5, v10 op_sel_hi:[1,0,1]
	v_pk_fma_f16 v11, v8, v5, v11 op_sel:[0,1,0]
	v_pk_fma_f16 v12, v8, v6, v12 op_sel_hi:[1,0,1]
	v_pk_fma_f16 v13, v8, v6, v13 op_sel:[0,1,0]
	v_pk_fma_f16 v14, v8, v7, v14 op_sel_hi:[1,0,1]
	v_pk_fma_f16 v8, v8, v7, v25 op_sel:[0,1,0]
	ds_load_b128 v[0:3], v98 offset:9616
	ds_load_b128 v[4:7], v98 offset:10640
	s_waitcnt lgkmcnt(1)
	v_pk_fma_f16 v17, v9, v0, v17 op_sel_hi:[1,0,1]
	v_pk_fma_f16 v15, v9, v0, v15 op_sel:[0,1,0]
	v_pk_fma_f16 v18, v9, v1, v18 op_sel_hi:[1,0,1]
	v_pk_fma_f16 v16, v9, v1, v16 op_sel:[0,1,0]
	v_pk_fma_f16 v19, v9, v2, v19 op_sel_hi:[1,0,1]
	v_pk_fma_f16 v20, v9, v2, v20 op_sel:[0,1,0]
	v_pk_fma_f16 v21, v9, v3, v21 op_sel_hi:[1,0,1]
	v_pk_fma_f16 v22, v9, v3, v22 op_sel:[0,1,0]
	s_waitcnt lgkmcnt(0)
	v_pk_fma_f16 v23, v9, v4, v23 op_sel_hi:[1,0,1]
	v_pk_fma_f16 v24, v9, v4, v24 op_sel:[0,1,0]
	v_pk_fma_f16 v10, v9, v5, v10 op_sel_hi:[1,0,1]
	v_pk_fma_f16 v11, v9, v5, v11 op_sel:[0,1,0]
	v_pk_fma_f16 v12, v9, v6, v12 op_sel_hi:[1,0,1]
	v_pk_fma_f16 v13, v9, v6, v13 op_sel:[0,1,0]
	v_pk_fma_f16 v14, v9, v7, v14 op_sel_hi:[1,0,1]
	v_pk_fma_f16 v25, v9, v7, v8 op_sel:[0,1,0]
	ds_load_2addr_b32 v[8:9], v26 offset0:64 offset1:96
	ds_load_b128 v[0:3], v98 offset:9632
	ds_load_b128 v[4:7], v98 offset:10656
	s_waitcnt lgkmcnt(1)
	v_pk_fma_f16 v17, v8, v0, v17 op_sel_hi:[1,0,1]
	v_pk_fma_f16 v15, v8, v0, v15 op_sel:[0,1,0]
	v_pk_fma_f16 v18, v8, v1, v18 op_sel_hi:[1,0,1]
	v_pk_fma_f16 v16, v8, v1, v16 op_sel:[0,1,0]
	v_pk_fma_f16 v19, v8, v2, v19 op_sel_hi:[1,0,1]
	v_pk_fma_f16 v20, v8, v2, v20 op_sel:[0,1,0]
	v_pk_fma_f16 v21, v8, v3, v21 op_sel_hi:[1,0,1]
	v_pk_fma_f16 v22, v8, v3, v22 op_sel:[0,1,0]
	s_waitcnt lgkmcnt(0)
	v_pk_fma_f16 v23, v8, v4, v23 op_sel_hi:[1,0,1]
	v_pk_fma_f16 v24, v8, v4, v24 op_sel:[0,1,0]
	v_pk_fma_f16 v10, v8, v5, v10 op_sel_hi:[1,0,1]
	v_pk_fma_f16 v11, v8, v5, v11 op_sel:[0,1,0]
	v_pk_fma_f16 v12, v8, v6, v12 op_sel_hi:[1,0,1]
	v_pk_fma_f16 v13, v8, v6, v13 op_sel:[0,1,0]
	v_pk_fma_f16 v14, v8, v7, v14 op_sel_hi:[1,0,1]
	v_pk_fma_f16 v8, v8, v7, v25 op_sel:[0,1,0]
	ds_load_b128 v[0:3], v98 offset:9648
	ds_load_b128 v[4:7], v98 offset:10672
	s_waitcnt lgkmcnt(1)
	v_pk_fma_f16 v17, v9, v0, v17 op_sel_hi:[1,0,1]
	v_pk_fma_f16 v15, v9, v0, v15 op_sel:[0,1,0]
	v_pk_fma_f16 v18, v9, v1, v18 op_sel_hi:[1,0,1]
	v_pk_fma_f16 v16, v9, v1, v16 op_sel:[0,1,0]
	v_pk_fma_f16 v19, v9, v2, v19 op_sel_hi:[1,0,1]
	v_pk_fma_f16 v20, v9, v2, v20 op_sel:[0,1,0]
	v_pk_fma_f16 v21, v9, v3, v21 op_sel_hi:[1,0,1]
	v_pk_fma_f16 v22, v9, v3, v22 op_sel:[0,1,0]
	s_waitcnt lgkmcnt(0)
	v_pk_fma_f16 v23, v9, v4, v23 op_sel_hi:[1,0,1]
	v_pk_fma_f16 v24, v9, v4, v24 op_sel:[0,1,0]
	v_pk_fma_f16 v10, v9, v5, v10 op_sel_hi:[1,0,1]
	v_pk_fma_f16 v11, v9, v5, v11 op_sel:[0,1,0]
	v_pk_fma_f16 v12, v9, v6, v12 op_sel_hi:[1,0,1]
	v_pk_fma_f16 v13, v9, v6, v13 op_sel:[0,1,0]
	v_pk_fma_f16 v14, v9, v7, v14 op_sel_hi:[1,0,1]
	v_pk_fma_f16 v25, v9, v7, v8 op_sel:[0,1,0]
	ds_load_2addr_b32 v[8:9], v26 offset0:128 offset1:160
	;; [unrolled: 41-line block ×3, first 2 shown]
	ds_load_b128 v[0:3], v98 offset:9696
	ds_load_b128 v[4:7], v98 offset:10720
	v_add_nc_u32_e32 v26, 0x1000, v99
	s_waitcnt lgkmcnt(1)
	v_pk_fma_f16 v17, v8, v0, v17 op_sel_hi:[1,0,1]
	v_pk_fma_f16 v15, v8, v0, v15 op_sel:[0,1,0]
	v_pk_fma_f16 v18, v8, v1, v18 op_sel_hi:[1,0,1]
	v_pk_fma_f16 v16, v8, v1, v16 op_sel:[0,1,0]
	;; [unrolled: 2-line block ×4, first 2 shown]
	s_waitcnt lgkmcnt(0)
	v_pk_fma_f16 v23, v8, v4, v23 op_sel_hi:[1,0,1]
	v_pk_fma_f16 v24, v8, v4, v24 op_sel:[0,1,0]
	v_pk_fma_f16 v10, v8, v5, v10 op_sel_hi:[1,0,1]
	v_pk_fma_f16 v11, v8, v5, v11 op_sel:[0,1,0]
	;; [unrolled: 2-line block ×4, first 2 shown]
	ds_load_b128 v[0:3], v98 offset:9712
	ds_load_b128 v[4:7], v98 offset:10736
	s_waitcnt lgkmcnt(1)
	v_pk_fma_f16 v17, v9, v0, v17 op_sel_hi:[1,0,1]
	v_pk_fma_f16 v15, v9, v0, v15 op_sel:[0,1,0]
	v_pk_fma_f16 v18, v9, v1, v18 op_sel_hi:[1,0,1]
	v_pk_fma_f16 v16, v9, v1, v16 op_sel:[0,1,0]
	;; [unrolled: 2-line block ×4, first 2 shown]
	s_waitcnt lgkmcnt(0)
	v_pk_fma_f16 v23, v9, v4, v23 op_sel_hi:[1,0,1]
	v_pk_fma_f16 v24, v9, v4, v24 op_sel:[0,1,0]
	v_pk_fma_f16 v10, v9, v5, v10 op_sel_hi:[1,0,1]
	v_pk_fma_f16 v11, v9, v5, v11 op_sel:[0,1,0]
	;; [unrolled: 2-line block ×4, first 2 shown]
	ds_load_2addr_b32 v[8:9], v26 offset1:32
	ds_load_b128 v[0:3], v98 offset:9728
	ds_load_b128 v[4:7], v98 offset:10752
	s_waitcnt lgkmcnt(1)
	v_pk_fma_f16 v17, v8, v0, v17 op_sel_hi:[1,0,1]
	v_pk_fma_f16 v15, v8, v0, v15 op_sel:[0,1,0]
	v_pk_fma_f16 v18, v8, v1, v18 op_sel_hi:[1,0,1]
	v_pk_fma_f16 v16, v8, v1, v16 op_sel:[0,1,0]
	v_pk_fma_f16 v19, v8, v2, v19 op_sel_hi:[1,0,1]
	v_pk_fma_f16 v20, v8, v2, v20 op_sel:[0,1,0]
	v_pk_fma_f16 v21, v8, v3, v21 op_sel_hi:[1,0,1]
	v_pk_fma_f16 v22, v8, v3, v22 op_sel:[0,1,0]
	s_waitcnt lgkmcnt(0)
	v_pk_fma_f16 v23, v8, v4, v23 op_sel_hi:[1,0,1]
	v_pk_fma_f16 v24, v8, v4, v24 op_sel:[0,1,0]
	v_pk_fma_f16 v10, v8, v5, v10 op_sel_hi:[1,0,1]
	v_pk_fma_f16 v11, v8, v5, v11 op_sel:[0,1,0]
	v_pk_fma_f16 v12, v8, v6, v12 op_sel_hi:[1,0,1]
	v_pk_fma_f16 v13, v8, v6, v13 op_sel:[0,1,0]
	v_pk_fma_f16 v14, v8, v7, v14 op_sel_hi:[1,0,1]
	v_pk_fma_f16 v8, v8, v7, v25 op_sel:[0,1,0]
	ds_load_b128 v[0:3], v98 offset:9744
	ds_load_b128 v[4:7], v98 offset:10768
	s_waitcnt lgkmcnt(1)
	v_pk_fma_f16 v17, v9, v0, v17 op_sel_hi:[1,0,1]
	v_pk_fma_f16 v15, v9, v0, v15 op_sel:[0,1,0]
	v_pk_fma_f16 v18, v9, v1, v18 op_sel_hi:[1,0,1]
	v_pk_fma_f16 v16, v9, v1, v16 op_sel:[0,1,0]
	v_pk_fma_f16 v19, v9, v2, v19 op_sel_hi:[1,0,1]
	v_pk_fma_f16 v20, v9, v2, v20 op_sel:[0,1,0]
	v_pk_fma_f16 v21, v9, v3, v21 op_sel_hi:[1,0,1]
	v_pk_fma_f16 v22, v9, v3, v22 op_sel:[0,1,0]
	s_waitcnt lgkmcnt(0)
	v_pk_fma_f16 v23, v9, v4, v23 op_sel_hi:[1,0,1]
	v_pk_fma_f16 v24, v9, v4, v24 op_sel:[0,1,0]
	v_pk_fma_f16 v10, v9, v5, v10 op_sel_hi:[1,0,1]
	v_pk_fma_f16 v11, v9, v5, v11 op_sel:[0,1,0]
	v_pk_fma_f16 v12, v9, v6, v12 op_sel_hi:[1,0,1]
	v_pk_fma_f16 v13, v9, v6, v13 op_sel:[0,1,0]
	v_pk_fma_f16 v14, v9, v7, v14 op_sel_hi:[1,0,1]
	v_pk_fma_f16 v25, v9, v7, v8 op_sel:[0,1,0]
	ds_load_2addr_b32 v[8:9], v26 offset0:64 offset1:96
	ds_load_b128 v[0:3], v98 offset:9760
	ds_load_b128 v[4:7], v98 offset:10784
	s_waitcnt lgkmcnt(1)
	v_pk_fma_f16 v17, v8, v0, v17 op_sel_hi:[1,0,1]
	v_pk_fma_f16 v15, v8, v0, v15 op_sel:[0,1,0]
	v_pk_fma_f16 v18, v8, v1, v18 op_sel_hi:[1,0,1]
	v_pk_fma_f16 v16, v8, v1, v16 op_sel:[0,1,0]
	v_pk_fma_f16 v19, v8, v2, v19 op_sel_hi:[1,0,1]
	v_pk_fma_f16 v20, v8, v2, v20 op_sel:[0,1,0]
	v_pk_fma_f16 v21, v8, v3, v21 op_sel_hi:[1,0,1]
	v_pk_fma_f16 v22, v8, v3, v22 op_sel:[0,1,0]
	s_waitcnt lgkmcnt(0)
	v_pk_fma_f16 v23, v8, v4, v23 op_sel_hi:[1,0,1]
	v_pk_fma_f16 v24, v8, v4, v24 op_sel:[0,1,0]
	v_pk_fma_f16 v10, v8, v5, v10 op_sel_hi:[1,0,1]
	v_pk_fma_f16 v11, v8, v5, v11 op_sel:[0,1,0]
	v_pk_fma_f16 v12, v8, v6, v12 op_sel_hi:[1,0,1]
	v_pk_fma_f16 v13, v8, v6, v13 op_sel:[0,1,0]
	v_pk_fma_f16 v14, v8, v7, v14 op_sel_hi:[1,0,1]
	v_pk_fma_f16 v8, v8, v7, v25 op_sel:[0,1,0]
	ds_load_b128 v[0:3], v98 offset:9776
	ds_load_b128 v[4:7], v98 offset:10800
	s_waitcnt lgkmcnt(1)
	v_pk_fma_f16 v17, v9, v0, v17 op_sel_hi:[1,0,1]
	v_pk_fma_f16 v15, v9, v0, v15 op_sel:[0,1,0]
	v_pk_fma_f16 v18, v9, v1, v18 op_sel_hi:[1,0,1]
	v_pk_fma_f16 v16, v9, v1, v16 op_sel:[0,1,0]
	v_pk_fma_f16 v19, v9, v2, v19 op_sel_hi:[1,0,1]
	v_pk_fma_f16 v20, v9, v2, v20 op_sel:[0,1,0]
	v_pk_fma_f16 v21, v9, v3, v21 op_sel_hi:[1,0,1]
	v_pk_fma_f16 v22, v9, v3, v22 op_sel:[0,1,0]
	s_waitcnt lgkmcnt(0)
	v_pk_fma_f16 v23, v9, v4, v23 op_sel_hi:[1,0,1]
	v_pk_fma_f16 v24, v9, v4, v24 op_sel:[0,1,0]
	v_pk_fma_f16 v10, v9, v5, v10 op_sel_hi:[1,0,1]
	v_pk_fma_f16 v11, v9, v5, v11 op_sel:[0,1,0]
	v_pk_fma_f16 v12, v9, v6, v12 op_sel_hi:[1,0,1]
	v_pk_fma_f16 v13, v9, v6, v13 op_sel:[0,1,0]
	v_pk_fma_f16 v14, v9, v7, v14 op_sel_hi:[1,0,1]
	v_pk_fma_f16 v25, v9, v7, v8 op_sel:[0,1,0]
	ds_load_2addr_b32 v[8:9], v26 offset0:128 offset1:160
	;; [unrolled: 41-line block ×3, first 2 shown]
	ds_load_b128 v[0:3], v98 offset:9824
	ds_load_b128 v[4:7], v98 offset:10848
	s_waitcnt lgkmcnt(1)
	v_pk_fma_f16 v9, v16, v0, v25 op_sel_hi:[1,0,1]
	v_pk_fma_f16 v0, v16, v0, v15 op_sel:[0,1,0]
	v_pk_fma_f16 v18, v16, v1, v18 op_sel_hi:[1,0,1]
	v_pk_fma_f16 v25, v16, v1, v27 op_sel:[0,1,0]
	;; [unrolled: 2-line block ×4, first 2 shown]
	s_waitcnt lgkmcnt(0)
	v_pk_fma_f16 v23, v16, v4, v23 op_sel_hi:[1,0,1]
	v_pk_fma_f16 v24, v16, v4, v24 op_sel:[0,1,0]
	v_pk_fma_f16 v26, v16, v5, v10 op_sel_hi:[1,0,1]
	v_pk_fma_f16 v27, v16, v5, v11 op_sel:[0,1,0]
	;; [unrolled: 2-line block ×4, first 2 shown]
	ds_load_b128 v[5:8], v98 offset:9840
	ds_load_b128 v[13:16], v98 offset:10864
	s_waitcnt lgkmcnt(1)
	v_pk_fma_f16 v2, v17, v5, v0 op_sel:[0,1,0]
	v_add_nc_u32_e32 v0, 0x1400, v99
	v_pk_fma_f16 v1, v17, v5, v9 op_sel_hi:[1,0,1]
	v_pk_fma_f16 v3, v17, v6, v18 op_sel_hi:[1,0,1]
	v_pk_fma_f16 v4, v17, v6, v25 op_sel:[0,1,0]
	v_pk_fma_f16 v5, v17, v7, v19 op_sel_hi:[1,0,1]
	v_pk_fma_f16 v6, v17, v7, v20 op_sel:[0,1,0]
	;; [unrolled: 2-line block ×3, first 2 shown]
	s_waitcnt lgkmcnt(0)
	v_pk_fma_f16 v9, v17, v13, v23 op_sel_hi:[1,0,1]
	v_pk_fma_f16 v10, v17, v13, v24 op_sel:[0,1,0]
	v_pk_fma_f16 v11, v17, v14, v26 op_sel_hi:[1,0,1]
	v_pk_fma_f16 v12, v17, v14, v27 op_sel:[0,1,0]
	;; [unrolled: 2-line block ×4, first 2 shown]
	ds_load_2addr_b32 v[25:26], v0 offset1:32
	ds_load_b128 v[17:20], v98 offset:9856
	ds_load_b128 v[21:24], v98 offset:10880
	s_waitcnt lgkmcnt(1)
	v_pk_fma_f16 v27, v25, v17, v1 op_sel_hi:[1,0,1]
	v_pk_fma_f16 v17, v25, v17, v2 op_sel:[0,1,0]
	v_pk_fma_f16 v28, v25, v18, v3 op_sel_hi:[1,0,1]
	v_pk_fma_f16 v18, v25, v18, v4 op_sel:[0,1,0]
	;; [unrolled: 2-line block ×4, first 2 shown]
	ds_load_b128 v[1:4], v98 offset:9872
	ds_load_b128 v[5:8], v98 offset:10896
	s_waitcnt lgkmcnt(2)
	v_pk_fma_f16 v9, v25, v21, v9 op_sel_hi:[1,0,1]
	v_pk_fma_f16 v10, v25, v21, v10 op_sel:[0,1,0]
	v_pk_fma_f16 v11, v25, v22, v11 op_sel_hi:[1,0,1]
	v_pk_fma_f16 v12, v25, v22, v12 op_sel:[0,1,0]
	v_pk_fma_f16 v13, v25, v23, v13 op_sel_hi:[1,0,1]
	v_pk_fma_f16 v14, v25, v23, v14 op_sel:[0,1,0]
	v_pk_fma_f16 v15, v25, v24, v15 op_sel_hi:[1,0,1]
	v_pk_fma_f16 v16, v25, v24, v16 op_sel:[0,1,0]
	s_waitcnt lgkmcnt(1)
	v_pk_fma_f16 v21, v26, v1, v27 op_sel_hi:[1,0,1]
	v_pk_fma_f16 v17, v26, v1, v17 op_sel:[0,1,0]
	v_pk_fma_f16 v22, v26, v2, v28 op_sel_hi:[1,0,1]
	v_pk_fma_f16 v18, v26, v2, v18 op_sel:[0,1,0]
	v_pk_fma_f16 v23, v26, v3, v29 op_sel_hi:[1,0,1]
	v_pk_fma_f16 v19, v26, v3, v19 op_sel:[0,1,0]
	v_pk_fma_f16 v24, v26, v4, v30 op_sel_hi:[1,0,1]
	v_pk_fma_f16 v20, v26, v4, v20 op_sel:[0,1,0]
	;; [unrolled: 9-line block ×3, first 2 shown]
	ds_load_2addr_b32 v[9:10], v0 offset0:64 offset1:96
	ds_load_b128 v[1:4], v98 offset:9888
	ds_load_b128 v[5:8], v98 offset:10912
	s_waitcnt lgkmcnt(1)
	v_pk_fma_f16 v21, v9, v1, v21 op_sel_hi:[1,0,1]
	v_pk_fma_f16 v17, v9, v1, v17 op_sel:[0,1,0]
	v_pk_fma_f16 v22, v9, v2, v22 op_sel_hi:[1,0,1]
	v_pk_fma_f16 v18, v9, v2, v18 op_sel:[0,1,0]
	;; [unrolled: 2-line block ×4, first 2 shown]
	s_waitcnt lgkmcnt(0)
	v_pk_fma_f16 v25, v9, v5, v25 op_sel_hi:[1,0,1]
	v_pk_fma_f16 v26, v9, v5, v27 op_sel:[0,1,0]
	v_pk_fma_f16 v11, v9, v6, v11 op_sel_hi:[1,0,1]
	v_pk_fma_f16 v12, v9, v6, v12 op_sel:[0,1,0]
	;; [unrolled: 2-line block ×4, first 2 shown]
	ds_load_b128 v[1:4], v98 offset:9904
	ds_load_b128 v[5:8], v98 offset:10928
	s_waitcnt lgkmcnt(1)
	v_pk_fma_f16 v16, v10, v1, v21 op_sel_hi:[1,0,1]
	v_pk_fma_f16 v17, v10, v1, v17 op_sel:[0,1,0]
	v_pk_fma_f16 v21, v10, v2, v22 op_sel_hi:[1,0,1]
	v_pk_fma_f16 v18, v10, v2, v18 op_sel:[0,1,0]
	;; [unrolled: 2-line block ×4, first 2 shown]
	s_waitcnt lgkmcnt(0)
	v_pk_fma_f16 v24, v10, v5, v25 op_sel_hi:[1,0,1]
	v_pk_fma_f16 v25, v10, v5, v26 op_sel:[0,1,0]
	v_pk_fma_f16 v11, v10, v6, v11 op_sel_hi:[1,0,1]
	v_pk_fma_f16 v12, v10, v6, v12 op_sel:[0,1,0]
	;; [unrolled: 2-line block ×4, first 2 shown]
	ds_load_2addr_b32 v[9:10], v0 offset0:128 offset1:160
	ds_load_b128 v[1:4], v98 offset:9920
	ds_load_b128 v[5:8], v98 offset:10944
	s_waitcnt lgkmcnt(1)
	v_pk_fma_f16 v16, v9, v1, v16 op_sel_hi:[1,0,1]
	v_pk_fma_f16 v17, v9, v1, v17 op_sel:[0,1,0]
	v_pk_fma_f16 v21, v9, v2, v21 op_sel_hi:[1,0,1]
	v_pk_fma_f16 v18, v9, v2, v18 op_sel:[0,1,0]
	v_pk_fma_f16 v22, v9, v3, v22 op_sel_hi:[1,0,1]
	v_pk_fma_f16 v19, v9, v3, v19 op_sel:[0,1,0]
	v_pk_fma_f16 v23, v9, v4, v23 op_sel_hi:[1,0,1]
	v_pk_fma_f16 v20, v9, v4, v20 op_sel:[0,1,0]
	s_waitcnt lgkmcnt(0)
	v_pk_fma_f16 v24, v9, v5, v24 op_sel_hi:[1,0,1]
	v_pk_fma_f16 v25, v9, v5, v25 op_sel:[0,1,0]
	v_pk_fma_f16 v11, v9, v6, v11 op_sel_hi:[1,0,1]
	v_pk_fma_f16 v12, v9, v6, v12 op_sel:[0,1,0]
	;; [unrolled: 2-line block ×4, first 2 shown]
	ds_load_b128 v[1:4], v98 offset:9936
	ds_load_b128 v[5:8], v98 offset:10960
	v_add_nc_u32_e32 v26, 0x1800, v99
	s_waitcnt lgkmcnt(1)
	v_pk_fma_f16 v16, v10, v1, v16 op_sel_hi:[1,0,1]
	v_pk_fma_f16 v17, v10, v1, v17 op_sel:[0,1,0]
	v_pk_fma_f16 v21, v10, v2, v21 op_sel_hi:[1,0,1]
	v_pk_fma_f16 v18, v10, v2, v18 op_sel:[0,1,0]
	v_pk_fma_f16 v22, v10, v3, v22 op_sel_hi:[1,0,1]
	v_pk_fma_f16 v19, v10, v3, v19 op_sel:[0,1,0]
	v_pk_fma_f16 v23, v10, v4, v23 op_sel_hi:[1,0,1]
	v_pk_fma_f16 v20, v10, v4, v20 op_sel:[0,1,0]
	s_waitcnt lgkmcnt(0)
	v_pk_fma_f16 v24, v10, v5, v24 op_sel_hi:[1,0,1]
	v_pk_fma_f16 v25, v10, v5, v25 op_sel:[0,1,0]
	v_pk_fma_f16 v11, v10, v6, v11 op_sel_hi:[1,0,1]
	v_pk_fma_f16 v12, v10, v6, v12 op_sel:[0,1,0]
	;; [unrolled: 2-line block ×4, first 2 shown]
	ds_load_2addr_b32 v[8:9], v0 offset0:192 offset1:224
	ds_load_b128 v[0:3], v98 offset:9952
	ds_load_b128 v[4:7], v98 offset:10976
	s_waitcnt lgkmcnt(1)
	v_pk_fma_f16 v16, v8, v0, v16 op_sel_hi:[1,0,1]
	v_pk_fma_f16 v17, v8, v0, v17 op_sel:[0,1,0]
	v_pk_fma_f16 v21, v8, v1, v21 op_sel_hi:[1,0,1]
	v_pk_fma_f16 v18, v8, v1, v18 op_sel:[0,1,0]
	;; [unrolled: 2-line block ×4, first 2 shown]
	s_waitcnt lgkmcnt(0)
	v_pk_fma_f16 v24, v8, v4, v24 op_sel_hi:[1,0,1]
	v_pk_fma_f16 v25, v8, v4, v25 op_sel:[0,1,0]
	v_pk_fma_f16 v11, v8, v5, v11 op_sel_hi:[1,0,1]
	v_pk_fma_f16 v12, v8, v5, v12 op_sel:[0,1,0]
	;; [unrolled: 2-line block ×4, first 2 shown]
	ds_load_b128 v[0:3], v98 offset:9968
	ds_load_b128 v[4:7], v98 offset:10992
	s_waitcnt lgkmcnt(1)
	v_pk_fma_f16 v10, v9, v0, v16 op_sel_hi:[1,0,1]
	v_pk_fma_f16 v16, v9, v0, v17 op_sel:[0,1,0]
	v_pk_fma_f16 v17, v9, v1, v21 op_sel_hi:[1,0,1]
	v_pk_fma_f16 v18, v9, v1, v18 op_sel:[0,1,0]
	;; [unrolled: 2-line block ×4, first 2 shown]
	s_waitcnt lgkmcnt(0)
	v_pk_fma_f16 v23, v9, v4, v24 op_sel_hi:[1,0,1]
	v_pk_fma_f16 v24, v9, v4, v25 op_sel:[0,1,0]
	v_pk_fma_f16 v11, v9, v5, v11 op_sel_hi:[1,0,1]
	v_pk_fma_f16 v12, v9, v5, v12 op_sel:[0,1,0]
	;; [unrolled: 2-line block ×4, first 2 shown]
	ds_load_2addr_b32 v[8:9], v26 offset1:32
	ds_load_b128 v[0:3], v98 offset:9984
	ds_load_b128 v[4:7], v98 offset:11008
	s_waitcnt lgkmcnt(1)
	v_pk_fma_f16 v10, v8, v0, v10 op_sel_hi:[1,0,1]
	v_pk_fma_f16 v16, v8, v0, v16 op_sel:[0,1,0]
	v_pk_fma_f16 v17, v8, v1, v17 op_sel_hi:[1,0,1]
	v_pk_fma_f16 v18, v8, v1, v18 op_sel:[0,1,0]
	v_pk_fma_f16 v21, v8, v2, v21 op_sel_hi:[1,0,1]
	v_pk_fma_f16 v19, v8, v2, v19 op_sel:[0,1,0]
	v_pk_fma_f16 v22, v8, v3, v22 op_sel_hi:[1,0,1]
	v_pk_fma_f16 v20, v8, v3, v20 op_sel:[0,1,0]
	s_waitcnt lgkmcnt(0)
	v_pk_fma_f16 v23, v8, v4, v23 op_sel_hi:[1,0,1]
	v_pk_fma_f16 v24, v8, v4, v24 op_sel:[0,1,0]
	v_pk_fma_f16 v11, v8, v5, v11 op_sel_hi:[1,0,1]
	v_pk_fma_f16 v12, v8, v5, v12 op_sel:[0,1,0]
	v_pk_fma_f16 v13, v8, v6, v13 op_sel_hi:[1,0,1]
	v_pk_fma_f16 v14, v8, v6, v14 op_sel:[0,1,0]
	v_pk_fma_f16 v15, v8, v7, v15 op_sel_hi:[1,0,1]
	v_pk_fma_f16 v8, v8, v7, v25 op_sel:[0,1,0]
	ds_load_b128 v[0:3], v98 offset:10000
	ds_load_b128 v[4:7], v98 offset:11024
	s_waitcnt lgkmcnt(1)
	v_pk_fma_f16 v10, v9, v0, v10 op_sel_hi:[1,0,1]
	v_pk_fma_f16 v16, v9, v0, v16 op_sel:[0,1,0]
	v_pk_fma_f16 v17, v9, v1, v17 op_sel_hi:[1,0,1]
	v_pk_fma_f16 v18, v9, v1, v18 op_sel:[0,1,0]
	v_pk_fma_f16 v21, v9, v2, v21 op_sel_hi:[1,0,1]
	v_pk_fma_f16 v19, v9, v2, v19 op_sel:[0,1,0]
	v_pk_fma_f16 v22, v9, v3, v22 op_sel_hi:[1,0,1]
	v_pk_fma_f16 v20, v9, v3, v20 op_sel:[0,1,0]
	s_waitcnt lgkmcnt(0)
	v_pk_fma_f16 v23, v9, v4, v23 op_sel_hi:[1,0,1]
	v_pk_fma_f16 v24, v9, v4, v24 op_sel:[0,1,0]
	v_pk_fma_f16 v11, v9, v5, v11 op_sel_hi:[1,0,1]
	v_pk_fma_f16 v12, v9, v5, v12 op_sel:[0,1,0]
	v_pk_fma_f16 v13, v9, v6, v13 op_sel_hi:[1,0,1]
	v_pk_fma_f16 v14, v9, v6, v14 op_sel:[0,1,0]
	v_pk_fma_f16 v15, v9, v7, v15 op_sel_hi:[1,0,1]
	v_pk_fma_f16 v25, v9, v7, v8 op_sel:[0,1,0]
	ds_load_2addr_b32 v[8:9], v26 offset0:64 offset1:96
	ds_load_b128 v[0:3], v98 offset:10016
	ds_load_b128 v[4:7], v98 offset:11040
	s_waitcnt lgkmcnt(1)
	v_pk_fma_f16 v10, v8, v0, v10 op_sel_hi:[1,0,1]
	v_pk_fma_f16 v16, v8, v0, v16 op_sel:[0,1,0]
	v_pk_fma_f16 v17, v8, v1, v17 op_sel_hi:[1,0,1]
	v_pk_fma_f16 v18, v8, v1, v18 op_sel:[0,1,0]
	v_pk_fma_f16 v21, v8, v2, v21 op_sel_hi:[1,0,1]
	v_pk_fma_f16 v19, v8, v2, v19 op_sel:[0,1,0]
	v_pk_fma_f16 v22, v8, v3, v22 op_sel_hi:[1,0,1]
	v_pk_fma_f16 v20, v8, v3, v20 op_sel:[0,1,0]
	s_waitcnt lgkmcnt(0)
	v_pk_fma_f16 v23, v8, v4, v23 op_sel_hi:[1,0,1]
	v_pk_fma_f16 v24, v8, v4, v24 op_sel:[0,1,0]
	v_pk_fma_f16 v11, v8, v5, v11 op_sel_hi:[1,0,1]
	v_pk_fma_f16 v12, v8, v5, v12 op_sel:[0,1,0]
	v_pk_fma_f16 v13, v8, v6, v13 op_sel_hi:[1,0,1]
	v_pk_fma_f16 v14, v8, v6, v14 op_sel:[0,1,0]
	v_pk_fma_f16 v15, v8, v7, v15 op_sel_hi:[1,0,1]
	v_pk_fma_f16 v8, v8, v7, v25 op_sel:[0,1,0]
	ds_load_b128 v[0:3], v98 offset:10032
	ds_load_b128 v[4:7], v98 offset:11056
	s_waitcnt lgkmcnt(1)
	v_pk_fma_f16 v10, v9, v0, v10 op_sel_hi:[1,0,1]
	v_pk_fma_f16 v16, v9, v0, v16 op_sel:[0,1,0]
	v_pk_fma_f16 v17, v9, v1, v17 op_sel_hi:[1,0,1]
	v_pk_fma_f16 v18, v9, v1, v18 op_sel:[0,1,0]
	v_pk_fma_f16 v21, v9, v2, v21 op_sel_hi:[1,0,1]
	v_pk_fma_f16 v19, v9, v2, v19 op_sel:[0,1,0]
	v_pk_fma_f16 v22, v9, v3, v22 op_sel_hi:[1,0,1]
	v_pk_fma_f16 v20, v9, v3, v20 op_sel:[0,1,0]
	s_waitcnt lgkmcnt(0)
	v_pk_fma_f16 v23, v9, v4, v23 op_sel_hi:[1,0,1]
	v_pk_fma_f16 v24, v9, v4, v24 op_sel:[0,1,0]
	v_pk_fma_f16 v11, v9, v5, v11 op_sel_hi:[1,0,1]
	v_pk_fma_f16 v12, v9, v5, v12 op_sel:[0,1,0]
	v_pk_fma_f16 v13, v9, v6, v13 op_sel_hi:[1,0,1]
	v_pk_fma_f16 v14, v9, v6, v14 op_sel:[0,1,0]
	v_pk_fma_f16 v15, v9, v7, v15 op_sel_hi:[1,0,1]
	v_pk_fma_f16 v25, v9, v7, v8 op_sel:[0,1,0]
	ds_load_2addr_b32 v[8:9], v26 offset0:128 offset1:160
	;; [unrolled: 41-line block ×3, first 2 shown]
	ds_load_b128 v[0:3], v98 offset:10080
	ds_load_b128 v[4:7], v98 offset:11104
	v_add_nc_u32_e32 v26, 0x1c00, v99
	s_waitcnt lgkmcnt(1)
	v_pk_fma_f16 v10, v8, v0, v10 op_sel_hi:[1,0,1]
	v_pk_fma_f16 v16, v8, v0, v16 op_sel:[0,1,0]
	v_pk_fma_f16 v17, v8, v1, v17 op_sel_hi:[1,0,1]
	v_pk_fma_f16 v18, v8, v1, v18 op_sel:[0,1,0]
	;; [unrolled: 2-line block ×4, first 2 shown]
	s_waitcnt lgkmcnt(0)
	v_pk_fma_f16 v23, v8, v4, v23 op_sel_hi:[1,0,1]
	v_pk_fma_f16 v24, v8, v4, v24 op_sel:[0,1,0]
	v_pk_fma_f16 v11, v8, v5, v11 op_sel_hi:[1,0,1]
	v_pk_fma_f16 v12, v8, v5, v12 op_sel:[0,1,0]
	;; [unrolled: 2-line block ×4, first 2 shown]
	ds_load_b128 v[0:3], v98 offset:10096
	ds_load_b128 v[4:7], v98 offset:11120
	s_waitcnt lgkmcnt(1)
	v_pk_fma_f16 v10, v9, v0, v10 op_sel_hi:[1,0,1]
	v_pk_fma_f16 v16, v9, v0, v16 op_sel:[0,1,0]
	v_pk_fma_f16 v17, v9, v1, v17 op_sel_hi:[1,0,1]
	v_pk_fma_f16 v18, v9, v1, v18 op_sel:[0,1,0]
	;; [unrolled: 2-line block ×4, first 2 shown]
	s_waitcnt lgkmcnt(0)
	v_pk_fma_f16 v23, v9, v4, v23 op_sel_hi:[1,0,1]
	v_pk_fma_f16 v24, v9, v4, v24 op_sel:[0,1,0]
	v_pk_fma_f16 v11, v9, v5, v11 op_sel_hi:[1,0,1]
	v_pk_fma_f16 v12, v9, v5, v12 op_sel:[0,1,0]
	;; [unrolled: 2-line block ×4, first 2 shown]
	ds_load_2addr_b32 v[8:9], v26 offset1:32
	ds_load_b128 v[0:3], v98 offset:10112
	ds_load_b128 v[4:7], v98 offset:11136
	s_waitcnt lgkmcnt(1)
	v_pk_fma_f16 v10, v8, v0, v10 op_sel_hi:[1,0,1]
	v_pk_fma_f16 v16, v8, v0, v16 op_sel:[0,1,0]
	v_pk_fma_f16 v17, v8, v1, v17 op_sel_hi:[1,0,1]
	v_pk_fma_f16 v18, v8, v1, v18 op_sel:[0,1,0]
	v_pk_fma_f16 v21, v8, v2, v21 op_sel_hi:[1,0,1]
	v_pk_fma_f16 v19, v8, v2, v19 op_sel:[0,1,0]
	v_pk_fma_f16 v22, v8, v3, v22 op_sel_hi:[1,0,1]
	v_pk_fma_f16 v20, v8, v3, v20 op_sel:[0,1,0]
	s_waitcnt lgkmcnt(0)
	v_pk_fma_f16 v23, v8, v4, v23 op_sel_hi:[1,0,1]
	v_pk_fma_f16 v24, v8, v4, v24 op_sel:[0,1,0]
	v_pk_fma_f16 v11, v8, v5, v11 op_sel_hi:[1,0,1]
	v_pk_fma_f16 v12, v8, v5, v12 op_sel:[0,1,0]
	v_pk_fma_f16 v13, v8, v6, v13 op_sel_hi:[1,0,1]
	v_pk_fma_f16 v14, v8, v6, v14 op_sel:[0,1,0]
	v_pk_fma_f16 v15, v8, v7, v15 op_sel_hi:[1,0,1]
	v_pk_fma_f16 v8, v8, v7, v25 op_sel:[0,1,0]
	ds_load_b128 v[0:3], v98 offset:10128
	ds_load_b128 v[4:7], v98 offset:11152
	s_waitcnt lgkmcnt(1)
	v_pk_fma_f16 v10, v9, v0, v10 op_sel_hi:[1,0,1]
	v_pk_fma_f16 v16, v9, v0, v16 op_sel:[0,1,0]
	v_pk_fma_f16 v17, v9, v1, v17 op_sel_hi:[1,0,1]
	v_pk_fma_f16 v18, v9, v1, v18 op_sel:[0,1,0]
	v_pk_fma_f16 v21, v9, v2, v21 op_sel_hi:[1,0,1]
	v_pk_fma_f16 v19, v9, v2, v19 op_sel:[0,1,0]
	v_pk_fma_f16 v22, v9, v3, v22 op_sel_hi:[1,0,1]
	v_pk_fma_f16 v20, v9, v3, v20 op_sel:[0,1,0]
	s_waitcnt lgkmcnt(0)
	v_pk_fma_f16 v23, v9, v4, v23 op_sel_hi:[1,0,1]
	v_pk_fma_f16 v24, v9, v4, v24 op_sel:[0,1,0]
	v_pk_fma_f16 v11, v9, v5, v11 op_sel_hi:[1,0,1]
	v_pk_fma_f16 v12, v9, v5, v12 op_sel:[0,1,0]
	v_pk_fma_f16 v13, v9, v6, v13 op_sel_hi:[1,0,1]
	v_pk_fma_f16 v14, v9, v6, v14 op_sel:[0,1,0]
	v_pk_fma_f16 v15, v9, v7, v15 op_sel_hi:[1,0,1]
	v_pk_fma_f16 v25, v9, v7, v8 op_sel:[0,1,0]
	ds_load_2addr_b32 v[8:9], v26 offset0:64 offset1:96
	ds_load_b128 v[0:3], v98 offset:10144
	ds_load_b128 v[4:7], v98 offset:11168
	s_waitcnt lgkmcnt(1)
	v_pk_fma_f16 v10, v8, v0, v10 op_sel_hi:[1,0,1]
	v_pk_fma_f16 v16, v8, v0, v16 op_sel:[0,1,0]
	v_pk_fma_f16 v17, v8, v1, v17 op_sel_hi:[1,0,1]
	v_pk_fma_f16 v18, v8, v1, v18 op_sel:[0,1,0]
	v_pk_fma_f16 v21, v8, v2, v21 op_sel_hi:[1,0,1]
	v_pk_fma_f16 v19, v8, v2, v19 op_sel:[0,1,0]
	v_pk_fma_f16 v22, v8, v3, v22 op_sel_hi:[1,0,1]
	v_pk_fma_f16 v20, v8, v3, v20 op_sel:[0,1,0]
	s_waitcnt lgkmcnt(0)
	v_pk_fma_f16 v23, v8, v4, v23 op_sel_hi:[1,0,1]
	v_pk_fma_f16 v24, v8, v4, v24 op_sel:[0,1,0]
	v_pk_fma_f16 v11, v8, v5, v11 op_sel_hi:[1,0,1]
	v_pk_fma_f16 v12, v8, v5, v12 op_sel:[0,1,0]
	v_pk_fma_f16 v13, v8, v6, v13 op_sel_hi:[1,0,1]
	v_pk_fma_f16 v14, v8, v6, v14 op_sel:[0,1,0]
	v_pk_fma_f16 v15, v8, v7, v15 op_sel_hi:[1,0,1]
	v_pk_fma_f16 v8, v8, v7, v25 op_sel:[0,1,0]
	ds_load_b128 v[0:3], v98 offset:10160
	ds_load_b128 v[4:7], v98 offset:11184
	s_waitcnt lgkmcnt(1)
	v_pk_fma_f16 v10, v9, v0, v10 op_sel_hi:[1,0,1]
	v_pk_fma_f16 v16, v9, v0, v16 op_sel:[0,1,0]
	v_pk_fma_f16 v17, v9, v1, v17 op_sel_hi:[1,0,1]
	v_pk_fma_f16 v18, v9, v1, v18 op_sel:[0,1,0]
	v_pk_fma_f16 v21, v9, v2, v21 op_sel_hi:[1,0,1]
	v_pk_fma_f16 v19, v9, v2, v19 op_sel:[0,1,0]
	v_pk_fma_f16 v22, v9, v3, v22 op_sel_hi:[1,0,1]
	v_pk_fma_f16 v20, v9, v3, v20 op_sel:[0,1,0]
	s_waitcnt lgkmcnt(0)
	v_pk_fma_f16 v23, v9, v4, v23 op_sel_hi:[1,0,1]
	v_pk_fma_f16 v24, v9, v4, v24 op_sel:[0,1,0]
	v_pk_fma_f16 v11, v9, v5, v11 op_sel_hi:[1,0,1]
	v_pk_fma_f16 v12, v9, v5, v12 op_sel:[0,1,0]
	v_pk_fma_f16 v13, v9, v6, v13 op_sel_hi:[1,0,1]
	v_pk_fma_f16 v14, v9, v6, v14 op_sel:[0,1,0]
	v_pk_fma_f16 v15, v9, v7, v15 op_sel_hi:[1,0,1]
	v_pk_fma_f16 v25, v9, v7, v8 op_sel:[0,1,0]
	ds_load_2addr_b32 v[8:9], v26 offset0:128 offset1:160
	;; [unrolled: 41-line block ×3, first 2 shown]
	ds_load_b128 v[0:3], v98 offset:10208
	ds_load_b128 v[4:7], v98 offset:11232
	s_waitcnt lgkmcnt(1)
	v_pk_fma_f16 v10, v8, v0, v10 op_sel_hi:[1,0,1]
	v_pk_fma_f16 v16, v8, v0, v16 op_sel:[0,1,0]
	v_pk_fma_f16 v17, v8, v1, v17 op_sel_hi:[1,0,1]
	v_pk_fma_f16 v18, v8, v1, v18 op_sel:[0,1,0]
	;; [unrolled: 2-line block ×4, first 2 shown]
	s_waitcnt lgkmcnt(0)
	v_pk_fma_f16 v23, v8, v4, v23 op_sel_hi:[1,0,1]
	v_pk_fma_f16 v24, v8, v4, v24 op_sel:[0,1,0]
	v_pk_fma_f16 v11, v8, v5, v11 op_sel_hi:[1,0,1]
	v_pk_fma_f16 v12, v8, v5, v12 op_sel:[0,1,0]
	v_pk_fma_f16 v13, v8, v6, v13 op_sel_hi:[1,0,1]
	v_pk_fma_f16 v14, v8, v6, v14 op_sel:[0,1,0]
	v_pk_fma_f16 v15, v8, v7, v15 op_sel_hi:[1,0,1]
	v_pk_fma_f16 v8, v8, v7, v25 op_sel:[0,1,0]
	ds_load_b128 v[0:3], v98 offset:10224
	ds_load_b128 v[4:7], v98 offset:11248
	s_waitcnt lgkmcnt(0)
	s_barrier
	buffer_gl0_inv
	v_pk_fma_f16 v127, v9, v0, v10 op_sel_hi:[1,0,1]
	v_pk_fma_f16 v126, v9, v0, v16 op_sel:[0,1,0]
	v_pk_fma_f16 v122, v9, v1, v17 op_sel_hi:[1,0,1]
	v_pk_fma_f16 v118, v9, v1, v18 op_sel:[0,1,0]
	;; [unrolled: 2-line block ×8, first 2 shown]
	v_dual_mov_b32 v0, v32 :: v_dual_mov_b32 v3, v35
	v_dual_mov_b32 v9, v41 :: v_dual_mov_b32 v16, v48
	;; [unrolled: 1-line block ×4, first 2 shown]
	v_mov_b32_e32 v12, v44
	v_dual_mov_b32 v6, v38 :: v_dual_mov_b32 v7, v39
	v_mov_b32_e32 v14, v46
	v_mov_b32_e32 v8, v40
	v_dual_mov_b32 v10, v42 :: v_dual_mov_b32 v11, v43
	v_dual_mov_b32 v18, v50 :: v_dual_mov_b32 v13, v45
	;; [unrolled: 1-line block ×9, first 2 shown]
	v_mov_b32_e32 v29, v61
	v_mov_b32_e32 v31, v63
.LBB52_240:
	v_cmp_lt_i32_e32 vcc_lo, v129, v134
	s_cmp_eq_u64 s[24:25], 0
	s_cselect_b32 s2, -1, 0
	s_cmp_lg_u32 s14, 0
	v_cndmask_b32_e32 v33, v32, v129, vcc_lo
	v_cmp_lt_i32_e32 vcc_lo, v130, v134
	s_cselect_b32 s3, -1, 0
	s_delay_alu instid0(SALU_CYCLE_1) | instskip(SKIP_2) | instid1(VALU_DEP_2)
	s_or_b32 s2, s3, s2
	v_cndmask_b32_e32 v34, v32, v130, vcc_lo
	v_cmp_lt_i32_e32 vcc_lo, v132, v134
	v_lshlrev_b32_e32 v34, 2, v34
	v_lshlrev_b32_e32 v33, 2, v33
	ds_bpermute_b32 v37, v33, v16
	ds_bpermute_b32 v39, v33, v18
	;; [unrolled: 1-line block ×7, first 2 shown]
	v_cndmask_b32_e32 v35, v32, v132, vcc_lo
	v_cmp_lt_i32_e32 vcc_lo, v133, v134
	ds_bpermute_b32 v43, v33, v22
	ds_bpermute_b32 v44, v33, v23
	;; [unrolled: 1-line block ×7, first 2 shown]
	s_waitcnt lgkmcnt(13)
	v_add_f32_e32 v16, v16, v37
	s_waitcnt lgkmcnt(12)
	v_add_f32_e32 v18, v18, v39
	v_dual_cndmask_b32 v36, v32, v133 :: v_dual_lshlrev_b32 v35, 2, v35
	v_cmp_lt_i32_e32 vcc_lo, v131, v134
	s_waitcnt lgkmcnt(11)
	v_add_f32_e32 v17, v17, v38
	s_waitcnt lgkmcnt(10)
	v_add_f32_e32 v19, v19, v40
	ds_bpermute_b32 v38, v34, v16
	s_waitcnt lgkmcnt(9)
	v_dual_add_f32 v21, v21, v42 :: v_dual_lshlrev_b32 v36, 2, v36
	v_cndmask_b32_e32 v32, v32, v131, vcc_lo
	ds_bpermute_b32 v37, v33, v30
	ds_bpermute_b32 v33, v33, v31
	ds_bpermute_b32 v39, v34, v17
	s_waitcnt lgkmcnt(9)
	v_dual_add_f32 v20, v20, v41 :: v_dual_add_f32 v23, v23, v44
	v_dual_add_f32 v25, v25, v46 :: v_dual_lshlrev_b32 v32, 2, v32
	ds_bpermute_b32 v40, v34, v18
	ds_bpermute_b32 v41, v34, v19
	s_waitcnt lgkmcnt(8)
	v_dual_add_f32 v22, v22, v43 :: v_dual_add_f32 v27, v27, v48
	s_waitcnt lgkmcnt(6)
	v_dual_add_f32 v26, v26, v47 :: v_dual_add_f32 v29, v29, v50
	ds_bpermute_b32 v42, v34, v20
	ds_bpermute_b32 v43, v34, v21
	;; [unrolled: 1-line block ×3, first 2 shown]
	s_waitcnt lgkmcnt(8)
	v_add_f32_e32 v16, v16, v38
	v_add_f32_e32 v24, v24, v45
	;; [unrolled: 1-line block ×3, first 2 shown]
	ds_bpermute_b32 v45, v34, v23
	s_waitcnt lgkmcnt(8)
	v_add_f32_e32 v30, v30, v37
	s_waitcnt lgkmcnt(7)
	v_add_f32_e32 v31, v31, v33
	;; [unrolled: 2-line block ×3, first 2 shown]
	ds_bpermute_b32 v44, v34, v22
	ds_bpermute_b32 v46, v34, v24
	;; [unrolled: 1-line block ×4, first 2 shown]
	s_waitcnt lgkmcnt(8)
	v_dual_add_f32 v18, v18, v40 :: v_dual_add_f32 v19, v19, v41
	ds_bpermute_b32 v40, v35, v16
	ds_bpermute_b32 v48, v35, v17
	;; [unrolled: 1-line block ×4, first 2 shown]
	s_waitcnt lgkmcnt(11)
	v_add_f32_e32 v20, v20, v42
	ds_bpermute_b32 v42, v35, v19
	s_waitcnt lgkmcnt(11)
	v_add_f32_e32 v21, v21, v43
	ds_bpermute_b32 v33, v34, v28
	;; [unrolled: 3-line block ×4, first 2 shown]
	s_and_b32 vcc_lo, exec_lo, s2
	s_waitcnt lgkmcnt(11)
	v_add_f32_e32 v22, v22, v44
	s_waitcnt lgkmcnt(10)
	v_add_f32_e32 v24, v24, v46
	s_waitcnt lgkmcnt(8)
	v_dual_add_f32 v26, v26, v38 :: v_dual_add_f32 v27, v27, v39
	ds_bpermute_b32 v39, v35, v21
	ds_bpermute_b32 v38, v35, v20
	s_waitcnt lgkmcnt(9)
	v_add_f32_e32 v16, v16, v40
	s_waitcnt lgkmcnt(8)
	v_add_f32_e32 v17, v17, v48
	;; [unrolled: 2-line block ×4, first 2 shown]
	ds_bpermute_b32 v41, v35, v24
	s_waitcnt lgkmcnt(6)
	v_add_f32_e32 v19, v19, v42
	ds_bpermute_b32 v37, v36, v16
	ds_bpermute_b32 v40, v36, v17
	s_waitcnt lgkmcnt(7)
	v_add_f32_e32 v28, v28, v33
	s_waitcnt lgkmcnt(6)
	v_add_f32_e32 v30, v30, v49
	ds_bpermute_b32 v44, v36, v19
	s_waitcnt lgkmcnt(6)
	v_add_f32_e32 v31, v31, v34
	ds_bpermute_b32 v34, v35, v23
	ds_bpermute_b32 v43, v35, v22
	;; [unrolled: 1-line block ×6, first 2 shown]
	s_waitcnt lgkmcnt(11)
	v_add_f32_e32 v21, v21, v39
	ds_bpermute_b32 v47, v35, v28
	s_waitcnt lgkmcnt(11)
	v_add_f32_e32 v20, v20, v38
	ds_bpermute_b32 v45, v35, v26
	ds_bpermute_b32 v39, v36, v21
	s_waitcnt lgkmcnt(12)
	v_add_f32_e32 v24, v24, v41
	s_waitcnt lgkmcnt(10)
	v_dual_add_f32 v16, v16, v37 :: v_dual_add_f32 v17, v17, v40
	ds_bpermute_b32 v49, v35, v30
	ds_bpermute_b32 v35, v35, v31
	s_waitcnt lgkmcnt(11)
	v_add_f32_e32 v19, v19, v44
	ds_bpermute_b32 v37, v36, v20
	s_waitcnt lgkmcnt(10)
	v_dual_add_f32 v23, v23, v34 :: v_dual_add_f32 v22, v22, v43
	s_waitcnt lgkmcnt(8)
	v_dual_add_f32 v18, v18, v33 :: v_dual_add_f32 v25, v25, v42
	s_waitcnt lgkmcnt(7)
	v_add_f32_e32 v27, v27, v46
	ds_bpermute_b32 v41, v36, v23
	s_waitcnt lgkmcnt(6)
	v_dual_add_f32 v29, v29, v48 :: v_dual_add_f32 v28, v28, v47
	ds_bpermute_b32 v43, v36, v25
	s_waitcnt lgkmcnt(6)
	v_add_f32_e32 v26, v26, v45
	ds_bpermute_b32 v40, v36, v22
	s_waitcnt lgkmcnt(6)
	v_add_f32_e32 v21, v21, v39
	ds_bpermute_b32 v42, v36, v24
	ds_bpermute_b32 v45, v36, v27
	;; [unrolled: 1-line block ×4, first 2 shown]
	s_waitcnt lgkmcnt(8)
	v_dual_add_f32 v30, v30, v49 :: v_dual_add_f32 v31, v31, v35
	ds_bpermute_b32 v44, v36, v26
	s_waitcnt lgkmcnt(8)
	v_add_f32_e32 v20, v20, v37
	ds_bpermute_b32 v35, v36, v29
	ds_bpermute_b32 v37, v36, v30
	;; [unrolled: 1-line block ×4, first 2 shown]
	s_waitcnt lgkmcnt(11)
	v_add_f32_e32 v23, v23, v41
	ds_bpermute_b32 v46, v36, v28
	ds_bpermute_b32 v36, v36, v31
	s_waitcnt lgkmcnt(12)
	v_add_f32_e32 v25, v25, v43
	ds_bpermute_b32 v41, v32, v21
	s_waitcnt lgkmcnt(12)
	v_add_f32_e32 v22, v22, v40
	ds_bpermute_b32 v40, v32, v20
	s_waitcnt lgkmcnt(11)
	v_dual_add_f32 v24, v24, v42 :: v_dual_add_f32 v27, v27, v45
	ds_bpermute_b32 v42, v32, v23
	ds_bpermute_b32 v47, v32, v22
	;; [unrolled: 1-line block ×3, first 2 shown]
	s_waitcnt lgkmcnt(13)
	v_add_f32_e32 v56, v16, v33
	ds_bpermute_b32 v51, v32, v27
	s_waitcnt lgkmcnt(11)
	v_add_f32_e32 v35, v29, v35
	s_waitcnt lgkmcnt(10)
	v_add_f32_e32 v37, v30, v37
	ds_bpermute_b32 v43, v32, v24
	s_waitcnt lgkmcnt(10)
	v_add_f32_e32 v52, v18, v34
	s_waitcnt lgkmcnt(9)
	v_add_f32_e32 v50, v19, v39
	s_waitcnt lgkmcnt(7)
	v_dual_add_f32 v28, v28, v46 :: v_dual_add_f32 v55, v31, v36
	ds_bpermute_b32 v36, v32, v35
	ds_bpermute_b32 v57, v32, v37
	s_waitcnt lgkmcnt(8)
	v_add_f32_e32 v46, v21, v41
	ds_bpermute_b32 v53, v32, v28
	v_add_f32_e32 v26, v26, v44
	ds_bpermute_b32 v16, v32, v55
	s_waitcnt lgkmcnt(9)
	v_add_f32_e32 v48, v20, v40
	s_waitcnt lgkmcnt(7)
	v_add_f32_e32 v44, v22, v47
	v_add_f32_e32 v42, v23, v42
	s_waitcnt lgkmcnt(5)
	v_add_f32_e32 v30, v27, v51
	s_waitcnt lgkmcnt(4)
	;; [unrolled: 2-line block ×5, first 2 shown]
	v_add_f32_e32 v31, v28, v53
	ds_bpermute_b32 v49, v32, v26
	v_add_f32_e32 v54, v17, v38
	v_add_f32_e32 v38, v25, v45
	s_waitcnt lgkmcnt(0)
	v_dual_add_f32 v32, v55, v16 :: v_dual_add_f32 v29, v26, v49
	s_cbranch_vccnz .LBB52_242
; %bb.241:
	s_lshl_b64 s[2:3], s[34:35], 2
	v_dual_mov_b32 v16, 0 :: v_dual_max_f32 v17, v1, v1
	s_add_u32 s2, s24, s2
	s_addc_u32 s3, s25, s3
	v_dual_max_f32 v20, v4, v4 :: v_dual_max_f32 v23, v7, v7
	global_load_b32 v33, v16, s[2:3]
	v_dual_max_f32 v16, v0, v0 :: v_dual_max_f32 v19, v3, v3
	v_max_f32_e32 v22, v6, v6
	v_dual_max_f32 v18, v2, v2 :: v_dual_max_f32 v21, v5, v5
	v_dual_max_f32 v24, v8, v8 :: v_dual_max_f32 v25, v9, v9
	;; [unrolled: 1-line block ×3, first 2 shown]
	s_waitcnt vmcnt(0)
	v_dual_max_f32 v35, v33, v33 :: v_dual_max_f32 v28, v12, v12
	s_delay_alu instid0(VALU_DEP_1) | instskip(SKIP_1) | instid1(VALU_DEP_2)
	v_max_f32_e32 v17, v17, v35
	v_max_f32_e32 v16, v16, v35
	v_dual_max_f32 v20, v20, v35 :: v_dual_sub_f32 v39, v33, v17
	s_delay_alu instid0(VALU_DEP_1)
	v_dual_max_f32 v23, v23, v35 :: v_dual_sub_f32 v4, v4, v20
	v_dual_max_f32 v24, v24, v35 :: v_dual_sub_f32 v45, v33, v20
	v_max_f32_e32 v27, v27, v35
	v_dual_sub_f32 v1, v1, v17 :: v_dual_max_f32 v18, v18, v35
	v_sub_f32_e32 v37, v33, v16
	v_dual_max_f32 v19, v19, v35 :: v_dual_sub_f32 v0, v0, v16
	s_delay_alu instid0(VALU_DEP_3) | instskip(SKIP_2) | instid1(VALU_DEP_3)
	v_dual_max_f32 v21, v21, v35 :: v_dual_sub_f32 v2, v2, v18
	v_dual_max_f32 v22, v22, v35 :: v_dual_sub_f32 v41, v33, v18
	v_max_f32_e32 v25, v25, v35
	v_dual_max_f32 v28, v28, v35 :: v_dual_sub_f32 v47, v33, v21
	v_dual_sub_f32 v51, v33, v23 :: v_dual_mul_f32 v68, 0x3fb8aa3b, v45
	v_sub_f32_e32 v8, v8, v24
	v_dual_sub_f32 v58, v33, v27 :: v_dual_mul_f32 v59, 0x3fb8aa3b, v0
	v_dual_max_f32 v26, v26, v35 :: v_dual_sub_f32 v5, v5, v21
	v_sub_f32_e32 v6, v6, v22
	v_dual_sub_f32 v49, v33, v22 :: v_dual_mul_f32 v60, 0x3fb8aa3b, v37
	v_dual_sub_f32 v53, v33, v24 :: v_dual_mul_f32 v62, 0x3fb8aa3b, v39
	;; [unrolled: 1-line block ×3, first 2 shown]
	v_dual_mul_f32 v61, 0x3fb8aa3b, v1 :: v_dual_mul_f32 v74, 0x3fb8aa3b, v51
	s_delay_alu instid0(VALU_DEP_2)
	v_dual_mul_f32 v63, 0x3fb8aa3b, v2 :: v_dual_mul_f32 v78, 0x3fb8aa3b, v55
	v_fma_f32 v113, 0x3fb8aa3b, v0, -v59
	v_rndne_f32_e32 v115, v59
	v_dual_sub_f32 v3, v3, v19 :: v_dual_sub_f32 v10, v10, v26
	v_dual_sub_f32 v11, v11, v27 :: v_dual_mul_f32 v76, 0x3fb8aa3b, v53
	v_fma_f32 v116, 0x3fb8aa3b, v37, -v60
	v_rndne_f32_e32 v117, v60
	v_mul_f32_e32 v71, 0x3fb8aa3b, v6
	v_rndne_f32_e32 v123, v62
	v_mul_f32_e32 v69, 0x3fb8aa3b, v5
	v_fma_f32 v124, 0x3fb8aa3b, v2, -v63
	v_fma_f32 v148, 0x3fb8aa3b, v51, -v74
	v_dual_fmac_f32 v113, 0x32a5705f, v0 :: v_dual_fmac_f32 v116, 0x32a5705f, v37
	s_delay_alu instid0(VALU_DEP_3) | instskip(SKIP_3) | instid1(VALU_DEP_3)
	v_dual_sub_f32 v59, v59, v115 :: v_dual_fmac_f32 v124, 0x32a5705f, v2
	v_dual_sub_f32 v43, v33, v19 :: v_dual_sub_f32 v12, v12, v28
	v_dual_sub_f32 v7, v7, v23 :: v_dual_mul_f32 v64, 0x3fb8aa3b, v41
	v_dual_sub_f32 v57, v33, v26 :: v_dual_mul_f32 v72, 0x3fb8aa3b, v49
	v_dual_mul_f32 v65, 0x3fb8aa3b, v3 :: v_dual_mul_f32 v112, 0x3fb8aa3b, v12
	v_dual_mul_f32 v67, 0x3fb8aa3b, v4 :: v_dual_mul_f32 v98, 0x3fb8aa3b, v11
	v_fma_f32 v119, 0x3fb8aa3b, v1, -v61
	v_rndne_f32_e32 v120, v61
	v_fma_f32 v121, 0x3fb8aa3b, v39, -v62
	v_sub_f32_e32 v60, v60, v117
	v_fma_f32 v142, 0x3fb8aa3b, v6, -v71
	v_rndne_f32_e32 v143, v71
	v_sub_f32_e32 v62, v62, v123
	v_rndne_f32_e32 v139, v69
	v_dual_fmac_f32 v148, 0x32a5705f, v51 :: v_dual_add_f32 v59, v59, v113
	v_dual_sub_f32 v9, v9, v25 :: v_dual_mul_f32 v66, 0x3fb8aa3b, v43
	v_dual_mul_f32 v97, 0x3fb8aa3b, v57 :: v_dual_add_f32 v60, v60, v116
	v_fma_f32 v128, 0x3fb8aa3b, v41, -v64
	v_rndne_f32_e32 v129, v64
	v_mul_f32_e32 v73, 0x3fb8aa3b, v7
	v_fma_f32 v130, 0x3fb8aa3b, v3, -v65
	v_fma_f32 v138, 0x3fb8aa3b, v5, -v69
	v_rndne_f32_e32 v141, v70
	v_dual_sub_f32 v64, v64, v129 :: v_dual_mul_f32 v99, 0x3fb8aa3b, v58
	v_fma_f32 v144, 0x3fb8aa3b, v49, -v72
	v_rndne_f32_e32 v153, v76
	v_fma_f32 v162, 0x3fb8aa3b, v11, -v98
	v_dual_fmac_f32 v119, 0x32a5705f, v1 :: v_dual_fmac_f32 v130, 0x32a5705f, v3
	v_dual_sub_f32 v61, v61, v120 :: v_dual_fmac_f32 v128, 0x32a5705f, v41
	v_dual_sub_f32 v69, v69, v139 :: v_dual_fmac_f32 v142, 0x32a5705f, v6
	;; [unrolled: 1-line block ×3, first 2 shown]
	v_exp_f32_e32 v59, v59
	v_rndne_f32_e32 v125, v63
	v_fma_f32 v134, 0x3fb8aa3b, v4, -v67
	v_fma_f32 v140, 0x3fb8aa3b, v47, -v70
	v_rndne_f32_e32 v145, v72
	v_fma_f32 v146, 0x3fb8aa3b, v7, -v73
	v_rndne_f32_e32 v147, v73
	;; [unrolled: 2-line block ×3, first 2 shown]
	v_mul_f32_e32 v77, 0x3fb8aa3b, v9
	v_cvt_i32_f32_e32 v115, v115
	v_dual_fmac_f32 v121, 0x32a5705f, v39 :: v_dual_fmac_f32 v134, 0x32a5705f, v4
	v_sub_f32_e32 v70, v70, v141
	v_rndne_f32_e32 v165, v99
	v_dual_sub_f32 v76, v76, v153 :: v_dual_add_f32 v61, v61, v119
	v_dual_fmac_f32 v162, 0x32a5705f, v11 :: v_dual_add_f32 v71, v71, v142
	v_exp_f32_e32 v60, v60
	v_fma_f32 v132, 0x3fb8aa3b, v43, -v66
	v_rndne_f32_e32 v133, v66
	v_mul_f32_e32 v75, 0x3fb8aa3b, v8
	v_fma_f32 v164, 0x3fb8aa3b, v58, -v99
	v_cvt_i32_f32_e32 v117, v117
	v_dual_sub_f32 v63, v63, v125 :: v_dual_fmac_f32 v132, 0x32a5705f, v43
	v_dual_sub_f32 v72, v72, v145 :: v_dual_sub_f32 v73, v73, v147
	v_dual_fmac_f32 v146, 0x32a5705f, v7 :: v_dual_sub_f32 v99, v99, v165
	v_sub_f32_e32 v98, v98, v163
	v_fma_f32 v154, 0x3fb8aa3b, v9, -v77
	s_delay_alu instid0(VALU_DEP_3)
	v_dual_add_f32 v62, v62, v121 :: v_dual_add_f32 v73, v73, v146
	v_exp_f32_e32 v61, v61
	v_exp_f32_e32 v71, v71
	v_ldexp_f32 v59, v59, v115
	v_cmp_ngt_f32_e32 vcc_lo, 0xc2ce8ed0, v0
	v_rndne_f32_e32 v131, v65
	v_rndne_f32_e32 v149, v74
	;; [unrolled: 1-line block ×3, first 2 shown]
	v_cvt_i32_f32_e32 v120, v120
	v_sub_f32_e32 v66, v66, v133
	v_fma_f32 v150, 0x3fb8aa3b, v8, -v75
	v_rndne_f32_e32 v151, v75
	v_cvt_i32_f32_e32 v143, v143
	v_dual_fmac_f32 v154, 0x32a5705f, v9 :: v_dual_add_f32 v63, v63, v124
	v_dual_fmac_f32 v164, 0x32a5705f, v58 :: v_dual_cndmask_b32 v59, 0, v59
	v_exp_f32_e32 v62, v62
	v_ldexp_f32 v60, v60, v117
	v_cmp_ngt_f32_e32 vcc_lo, 0xc2ce8ed0, v37
	v_fma_f32 v136, 0x3fb8aa3b, v45, -v68
	v_fma_f32 v156, 0x3fb8aa3b, v55, -v78
	v_rndne_f32_e32 v161, v97
	v_cvt_i32_f32_e32 v123, v123
	s_delay_alu instid0(VALU_DEP_4)
	v_dual_sub_f32 v65, v65, v131 :: v_dual_fmac_f32 v136, 0x32a5705f, v45
	v_fmac_f32_e32 v140, 0x32a5705f, v47
	v_dual_sub_f32 v74, v74, v149 :: v_dual_sub_f32 v75, v75, v151
	v_dual_fmac_f32 v150, 0x32a5705f, v8 :: v_dual_sub_f32 v77, v77, v155
	v_add_f32_e32 v64, v64, v128
	v_exp_f32_e32 v63, v63
	v_exp_f32_e32 v73, v73
	s_delay_alu instid0(VALU_DEP_2)
	v_add_f32_e32 v75, v75, v150
	v_ldexp_f32 v61, v61, v120
	v_ldexp_f32 v71, v71, v143
	v_cndmask_b32_e32 v60, 0, v60, vcc_lo
	v_cmp_ngt_f32_e32 vcc_lo, 0xc2ce8ed0, v1
	v_rndne_f32_e32 v135, v67
	v_fma_f32 v160, 0x3fb8aa3b, v57, -v97
	v_cvt_i32_f32_e32 v125, v125
	v_cvt_i32_f32_e32 v147, v147
	v_dual_fmac_f32 v156, 0x32a5705f, v55 :: v_dual_add_f32 v65, v65, v130
	v_dual_sub_f32 v97, v97, v161 :: v_dual_add_f32 v70, v70, v140
	v_cndmask_b32_e32 v61, 0, v61, vcc_lo
	v_exp_f32_e32 v64, v64
	v_ldexp_f32 v62, v62, v123
	v_cmp_ngt_f32_e32 vcc_lo, 0xc2ce8ed0, v39
	v_rndne_f32_e32 v137, v68
	v_mul_f32_e32 v79, 0x3fb8aa3b, v10
	v_rndne_f32_e32 v157, v78
	v_cvt_i32_f32_e32 v129, v129
	v_dual_sub_f32 v67, v67, v135 :: v_dual_fmac_f32 v138, 0x32a5705f, v5
	v_dual_add_f32 v66, v66, v132 :: v_dual_add_f32 v77, v77, v154
	v_exp_f32_e32 v65, v65
	v_exp_f32_e32 v75, v75
	v_ldexp_f32 v63, v63, v125
	v_ldexp_f32 v73, v73, v147
	v_cndmask_b32_e32 v62, 0, v62, vcc_lo
	v_cmp_ngt_f32_e32 vcc_lo, 0xc2ce8ed0, v2
	v_cvt_i32_f32_e32 v131, v131
	v_sub_f32_e32 v68, v68, v137
	v_fma_f32 v158, 0x3fb8aa3b, v10, -v79
	v_rndne_f32_e32 v159, v79
	v_cvt_i32_f32_e32 v151, v151
	v_dual_sub_f32 v78, v78, v157 :: v_dual_add_f32 v67, v67, v134
	v_dual_fmac_f32 v160, 0x32a5705f, v57 :: v_dual_add_f32 v69, v69, v138
	v_dual_add_f32 v72, v72, v144 :: v_dual_cndmask_b32 v63, 0, v63
	v_exp_f32_e32 v66, v66
	v_ldexp_f32 v64, v64, v129
	v_cmp_ngt_f32_e32 vcc_lo, 0xc2ce8ed0, v41
	v_cvt_i32_f32_e32 v133, v133
	v_dual_fmac_f32 v152, 0x32a5705f, v53 :: v_dual_sub_f32 v79, v79, v159
	v_dual_fmac_f32 v158, 0x32a5705f, v10 :: v_dual_add_f32 v97, v97, v160
	v_add_f32_e32 v68, v68, v136
	v_exp_f32_e32 v67, v67
	v_exp_f32_e32 v77, v77
	s_delay_alu instid0(VALU_DEP_2)
	v_add_f32_e32 v79, v79, v158
	v_ldexp_f32 v65, v65, v131
	v_ldexp_f32 v75, v75, v151
	v_cndmask_b32_e32 v64, 0, v64, vcc_lo
	v_cmp_ngt_f32_e32 vcc_lo, 0xc2ce8ed0, v3
	v_cvt_i32_f32_e32 v135, v135
	v_cvt_i32_f32_e32 v155, v155
	v_add_f32_e32 v74, v74, v148
	v_exp_f32_e32 v68, v68
	v_cndmask_b32_e32 v65, 0, v65, vcc_lo
	v_ldexp_f32 v66, v66, v133
	v_cmp_ngt_f32_e32 vcc_lo, 0xc2ce8ed0, v43
	v_cvt_i32_f32_e32 v137, v137
	v_exp_f32_e32 v69, v69
	v_exp_f32_e32 v79, v79
	v_ldexp_f32 v67, v67, v135
	v_ldexp_f32 v77, v77, v155
	v_cndmask_b32_e32 v66, 0, v66, vcc_lo
	v_cmp_ngt_f32_e32 vcc_lo, 0xc2ce8ed0, v4
	v_cvt_i32_f32_e32 v139, v139
	v_cvt_i32_f32_e32 v159, v159
	v_add_f32_e32 v76, v76, v152
	v_exp_f32_e32 v70, v70
	v_cndmask_b32_e32 v67, 0, v67, vcc_lo
	v_ldexp_f32 v68, v68, v137
	v_cmp_ngt_f32_e32 vcc_lo, 0xc2ce8ed0, v45
	v_cvt_i32_f32_e32 v141, v141
	v_exp_f32_e32 v97, v97
	v_ldexp_f32 v69, v69, v139
	v_ldexp_f32 v79, v79, v159
	v_cndmask_b32_e32 v68, 0, v68, vcc_lo
	v_cmp_ngt_f32_e32 vcc_lo, 0xc2ce8ed0, v5
	v_cvt_i32_f32_e32 v161, v161
	v_add_f32_e32 v78, v78, v156
	v_exp_f32_e32 v72, v72
	v_ldexp_f32 v70, v70, v141
	v_cndmask_b32_e32 v69, 0, v69, vcc_lo
	v_cmp_ngt_f32_e32 vcc_lo, 0xc2ce8ed0, v47
	v_cvt_i32_f32_e32 v145, v145
	v_ldexp_f32 v97, v97, v161
	v_exp_f32_e32 v74, v74
	v_cvt_i32_f32_e32 v149, v149
	v_cndmask_b32_e32 v70, 0, v70, vcc_lo
	v_cmp_ngt_f32_e32 vcc_lo, 0xc2ce8ed0, v6
	v_ldexp_f32 v72, v72, v145
	v_exp_f32_e32 v76, v76
	v_cvt_i32_f32_e32 v153, v153
	v_exp_f32_e32 v78, v78
	v_cndmask_b32_e32 v71, 0, v71, vcc_lo
	v_cmp_ngt_f32_e32 vcc_lo, 0xc2ce8ed0, v49
	v_ldexp_f32 v74, v74, v149
	v_cvt_i32_f32_e32 v157, v157
	v_dual_add_f32 v98, v98, v162 :: v_dual_add_f32 v99, v99, v164
	v_cndmask_b32_e32 v72, 0, v72, vcc_lo
	v_cmp_ngt_f32_e32 vcc_lo, 0xc2ce8ed0, v7
	v_ldexp_f32 v76, v76, v153
	s_delay_alu instid0(TRANS32_DEP_1)
	v_ldexp_f32 v78, v78, v157
	v_exp_f32_e32 v98, v98
	v_cvt_i32_f32_e32 v163, v163
	v_cndmask_b32_e32 v73, 0, v73, vcc_lo
	v_cmp_ngt_f32_e32 vcc_lo, 0xc2ce8ed0, v51
	v_exp_f32_e32 v99, v99
	v_cndmask_b32_e32 v74, 0, v74, vcc_lo
	v_cmp_ngt_f32_e32 vcc_lo, 0xc2ce8ed0, v8
	v_cndmask_b32_e32 v75, 0, v75, vcc_lo
	v_cmp_ngt_f32_e32 vcc_lo, 0xc2ce8ed0, v53
	;; [unrolled: 2-line block ×6, first 2 shown]
	v_cndmask_b32_e32 v97, 0, v97, vcc_lo
	v_cmp_nlt_f32_e32 vcc_lo, 0x42b17218, v0
	v_cndmask_b32_e32 v0, 0x7f800000, v59, vcc_lo
	v_cmp_nlt_f32_e32 vcc_lo, 0x42b17218, v37
	;; [unrolled: 2-line block ×9, first 2 shown]
	s_delay_alu instid0(VALU_DEP_2) | instskip(SKIP_3) | instid1(VALU_DEP_4)
	v_fmac_f32_e32 v43, v50, v3
	v_cndmask_b32_e32 v4, 0x7f800000, v67, vcc_lo
	v_cmp_nlt_f32_e32 vcc_lo, 0x42b17218, v45
	v_cvt_f16_f32_e32 v3, v3
	v_dual_mov_b32 v50, v43 :: v_dual_cndmask_b32 v45, 0x7f800000, v68
	v_cmp_nlt_f32_e32 vcc_lo, 0x42b17218, v5
	s_delay_alu instid0(VALU_DEP_3) | instskip(SKIP_1) | instid1(VALU_DEP_4)
	v_pk_mul_f16 v118, v118, v3 op_sel_hi:[1,0]
	v_rndne_f32_e32 v3, v112
	v_fmac_f32_e32 v45, v48, v4
	v_cndmask_b32_e32 v5, 0x7f800000, v69, vcc_lo
	v_cmp_nlt_f32_e32 vcc_lo, 0x42b17218, v47
	v_cvt_f16_f32_e32 v4, v4
	s_delay_alu instid0(VALU_DEP_4) | instskip(SKIP_1) | instid1(VALU_DEP_3)
	v_dual_mov_b32 v48, v45 :: v_dual_cndmask_b32 v47, 0x7f800000, v70
	v_cmp_nlt_f32_e32 vcc_lo, 0x42b17218, v6
	v_pk_mul_f16 v114, v114, v4 op_sel_hi:[1,0]
	v_sub_f32_e32 v4, v112, v3
	v_fmac_f32_e32 v37, v56, v0
	v_fmac_f32_e32 v47, v46, v5
	v_fmac_f32_e32 v41, v52, v2
	v_cvt_f16_f32_e32 v2, v2
	v_cndmask_b32_e32 v6, 0x7f800000, v71, vcc_lo
	v_cmp_nlt_f32_e32 vcc_lo, 0x42b17218, v49
	v_cvt_f16_f32_e32 v0, v0
	v_cvt_i32_f32_e32 v3, v3
	v_pk_mul_f16 v122, v122, v2 op_sel_hi:[1,0]
	v_fma_f32 v2, 0x3fb8aa3b, v12, -v112
	v_mov_b32_e32 v56, v37
	v_pk_mul_f16 v127, v127, v0 op_sel_hi:[1,0]
	v_ldexp_f32 v0, v98, v163
	v_mov_b32_e32 v52, v41
	v_fmac_f32_e32 v2, 0x32a5705f, v12
	v_mov_b32_e32 v46, v47
	s_delay_alu instid0(VALU_DEP_2) | instskip(SKIP_3) | instid1(VALU_DEP_4)
	v_dual_add_f32 v2, v4, v2 :: v_dual_fmac_f32 v39, v54, v1
	v_cndmask_b32_e32 v49, 0x7f800000, v72, vcc_lo
	v_cmp_nlt_f32_e32 vcc_lo, 0x42b17218, v7
	v_cvt_f16_f32_e32 v1, v1
	v_dual_mov_b32 v54, v39 :: v_dual_cndmask_b32 v7, 0x7f800000, v73
	v_cmp_nlt_f32_e32 vcc_lo, 0x42b17218, v51
	s_delay_alu instid0(VALU_DEP_3) | instskip(SKIP_3) | instid1(VALU_DEP_3)
	v_pk_mul_f16 v126, v126, v1 op_sel_hi:[1,0]
	v_cvt_i32_f32_e32 v1, v165
	v_cndmask_b32_e32 v51, 0x7f800000, v74, vcc_lo
	v_cmp_nlt_f32_e32 vcc_lo, 0x42b17218, v8
	v_ldexp_f32 v1, v99, v1
	v_cndmask_b32_e32 v8, 0x7f800000, v75, vcc_lo
	v_cmp_nlt_f32_e32 vcc_lo, 0x42b17218, v53
	v_cndmask_b32_e32 v53, 0x7f800000, v76, vcc_lo
	v_cmp_nlt_f32_e32 vcc_lo, 0x42b17218, v9
	;; [unrolled: 2-line block ×4, first 2 shown]
	s_delay_alu instid0(VALU_DEP_2)
	v_dual_fmac_f32 v55, v38, v9 :: v_dual_cndmask_b32 v10, 0x7f800000, v79
	v_cmp_nlt_f32_e32 vcc_lo, 0x42b17218, v57
	v_fmac_f32_e32 v53, v40, v8
	v_fmac_f32_e32 v49, v44, v6
	v_cvt_f16_f32_e32 v6, v6
	v_cvt_f16_f32_e32 v8, v8
	v_cndmask_b32_e32 v57, 0x7f800000, v97, vcc_lo
	v_cmp_ngt_f32_e32 vcc_lo, 0xc2ce8ed0, v11
	v_cvt_f16_f32_e32 v9, v9
	v_pk_mul_f16 v110, v110, v6 op_sel_hi:[1,0]
	v_max_f32_e32 v6, v13, v13
	v_dual_fmac_f32 v57, v29, v10 :: v_dual_cndmask_b32 v0, 0, v0
	v_cmp_nlt_f32_e32 vcc_lo, 0x42b17218, v11
	v_pk_mul_f16 v107, v107, v8 op_sel_hi:[1,0]
	s_delay_alu instid0(VALU_DEP_4)
	v_max_f32_e32 v29, v6, v35
	v_pk_mul_f16 v106, v106, v9 op_sel_hi:[1,0]
	v_mov_b32_e32 v44, v49
	v_cndmask_b32_e32 v0, 0x7f800000, v0, vcc_lo
	v_cmp_ngt_f32_e32 vcc_lo, 0xc2ce8ed0, v58
	v_sub_f32_e32 v8, v13, v29
	v_mov_b32_e32 v40, v53
	v_mov_b32_e32 v38, v55
	v_cvt_f16_f32_e32 v6, v0
	v_cndmask_b32_e32 v1, 0, v1, vcc_lo
	v_cmp_nlt_f32_e32 vcc_lo, 0x42b17218, v58
	s_delay_alu instid0(VALU_DEP_3) | instskip(NEXT) | instid1(VALU_DEP_3)
	v_pk_mul_f16 v104, v104, v6 op_sel_hi:[1,0]
	v_cndmask_b32_e32 v58, 0x7f800000, v1, vcc_lo
	v_exp_f32_e32 v1, v2
	v_cmp_ngt_f32_e32 vcc_lo, 0xc2ce8ed0, v12
	s_delay_alu instid0(VALU_DEP_2) | instskip(SKIP_2) | instid1(VALU_DEP_1)
	v_fmac_f32_e32 v58, v30, v0
	s_waitcnt_depctr 0xfff
	v_ldexp_f32 v0, v1, v3
	v_dual_sub_f32 v3, v33, v29 :: v_dual_cndmask_b32 v0, 0, v0
	s_delay_alu instid0(VALU_DEP_1) | instskip(SKIP_3) | instid1(VALU_DEP_4)
	v_mul_f32_e32 v9, 0x3fb8aa3b, v3
	v_cmp_nlt_f32_e32 vcc_lo, 0x42b17218, v12
	v_max_f32_e32 v12, v14, v14
	v_cvt_f16_f32_e32 v5, v5
	v_rndne_f32_e32 v11, v9
	v_cndmask_b32_e32 v0, 0x7f800000, v0, vcc_lo
	s_delay_alu instid0(VALU_DEP_4) | instskip(NEXT) | instid1(VALU_DEP_4)
	v_max_f32_e32 v30, v12, v35
	v_pk_mul_f16 v111, v111, v5 op_sel_hi:[1,0]
	v_sub_f32_e32 v5, v33, v28
	v_fmac_f32_e32 v51, v42, v7
	v_cvt_f16_f32_e32 v7, v7
	v_cvt_f16_f32_e32 v10, v10
	s_delay_alu instid0(VALU_DEP_4) | instskip(SKIP_1) | instid1(VALU_DEP_4)
	v_mul_f32_e32 v4, 0x3fb8aa3b, v5
	v_cmp_ngt_f32_e32 vcc_lo, 0xc2ce8ed0, v5
	v_pk_mul_f16 v109, v109, v7 op_sel_hi:[1,0]
	s_delay_alu instid0(VALU_DEP_4) | instskip(SKIP_4) | instid1(VALU_DEP_3)
	v_pk_mul_f16 v105, v105, v10 op_sel_hi:[1,0]
	v_fma_f32 v10, 0x3fb8aa3b, v3, -v9
	v_fma_f32 v2, 0x3fb8aa3b, v5, -v4
	v_rndne_f32_e32 v7, v4
	v_mov_b32_e32 v42, v51
	v_fmac_f32_e32 v2, 0x32a5705f, v5
	s_delay_alu instid0(VALU_DEP_3) | instskip(SKIP_1) | instid1(VALU_DEP_2)
	v_sub_f32_e32 v4, v4, v7
	v_cvt_i32_f32_e32 v7, v7
	v_dual_add_f32 v1, v4, v2 :: v_dual_mul_f32 v2, 0x3fb8aa3b, v8
	s_delay_alu instid0(VALU_DEP_1) | instskip(NEXT) | instid1(VALU_DEP_1)
	v_exp_f32_e32 v1, v1
	v_fma_f32 v4, 0x3fb8aa3b, v8, -v2
	v_rndne_f32_e32 v6, v2
	s_delay_alu instid0(VALU_DEP_1) | instskip(SKIP_3) | instid1(VALU_DEP_1)
	v_sub_f32_e32 v2, v2, v6
	s_waitcnt_depctr 0xfff
	v_ldexp_f32 v1, v1, v7
	v_dual_fmac_f32 v4, 0x32a5705f, v8 :: v_dual_sub_f32 v7, v14, v30
	v_dual_cndmask_b32 v1, 0, v1 :: v_dual_add_f32 v2, v2, v4
	v_cmp_nlt_f32_e32 vcc_lo, 0x42b17218, v5
	v_sub_f32_e32 v4, v9, v11
	v_cvt_i32_f32_e32 v5, v6
	s_delay_alu instid0(VALU_DEP_4) | instskip(SKIP_4) | instid1(VALU_DEP_3)
	v_exp_f32_e32 v2, v2
	v_cndmask_b32_e32 v59, 0x7f800000, v1, vcc_lo
	v_fmac_f32_e32 v10, 0x32a5705f, v3
	v_cvt_f16_f32_e32 v1, v0
	v_cmp_ngt_f32_e32 vcc_lo, 0xc2ce8ed0, v8
	v_dual_fmac_f32 v59, v31, v0 :: v_dual_add_f32 v4, v4, v10
	s_delay_alu instid0(VALU_DEP_3) | instskip(SKIP_1) | instid1(TRANS32_DEP_1)
	v_pk_mul_f16 v103, v103, v1 op_sel_hi:[1,0]
	v_cvt_i32_f32_e32 v1, v11
	v_ldexp_f32 v0, v2, v5
	v_max_f32_e32 v5, v15, v15
	v_exp_f32_e32 v4, v4
	s_delay_alu instid0(VALU_DEP_1) | instskip(SKIP_1) | instid1(VALU_DEP_2)
	v_dual_cndmask_b32 v0, 0, v0 :: v_dual_max_f32 v31, v5, v35
	v_cmp_nlt_f32_e32 vcc_lo, 0x42b17218, v8
	v_sub_f32_e32 v5, v15, v31
	s_waitcnt_depctr 0xfff
	v_ldexp_f32 v1, v4, v1
	v_cndmask_b32_e32 v0, 0x7f800000, v0, vcc_lo
	v_cmp_ngt_f32_e32 vcc_lo, 0xc2ce8ed0, v3
	s_delay_alu instid0(VALU_DEP_3) | instskip(NEXT) | instid1(VALU_DEP_1)
	v_dual_mul_f32 v6, 0x3fb8aa3b, v7 :: v_dual_cndmask_b32 v1, 0, v1
	v_fma_f32 v2, 0x3fb8aa3b, v7, -v6
	v_rndne_f32_e32 v9, v6
	v_cmp_nlt_f32_e32 vcc_lo, 0x42b17218, v3
	s_delay_alu instid0(VALU_DEP_3) | instskip(NEXT) | instid1(VALU_DEP_3)
	v_fmac_f32_e32 v2, 0x32a5705f, v7
	v_sub_f32_e32 v4, v6, v9
	v_mul_f32_e32 v6, 0x3fb8aa3b, v5
	v_cndmask_b32_e32 v35, 0x7f800000, v1, vcc_lo
	v_sub_f32_e32 v1, v33, v31
	v_cvt_i32_f32_e32 v9, v9
	v_add_f32_e32 v2, v4, v2
	v_fma_f32 v8, 0x3fb8aa3b, v5, -v6
	v_rndne_f32_e32 v10, v6
	v_cmp_ngt_f32_e32 vcc_lo, 0xc2ce8ed0, v7
	v_sub_f32_e32 v4, v33, v30
	v_exp_f32_e32 v2, v2
	v_fmac_f32_e32 v8, 0x32a5705f, v5
	v_sub_f32_e32 v6, v6, v10
	s_delay_alu instid0(VALU_DEP_1)
	v_add_f32_e32 v6, v6, v8
	s_waitcnt_depctr 0xfff
	v_ldexp_f32 v2, v2, v9
	v_mul_f32_e32 v11, 0x3fb8aa3b, v1
	v_exp_f32_e32 v6, v6
	v_cvt_i32_f32_e32 v9, v10
	s_delay_alu instid0(VALU_DEP_3) | instskip(NEXT) | instid1(VALU_DEP_3)
	v_cndmask_b32_e32 v2, 0, v2, vcc_lo
	v_fma_f32 v14, 0x3fb8aa3b, v1, -v11
	v_rndne_f32_e32 v15, v11
	v_cmp_nlt_f32_e32 vcc_lo, 0x42b17218, v7
	s_delay_alu instid0(VALU_DEP_3) | instskip(NEXT) | instid1(VALU_DEP_3)
	v_fmac_f32_e32 v14, 0x32a5705f, v1
	v_dual_sub_f32 v8, v11, v15 :: v_dual_mul_f32 v3, 0x3fb8aa3b, v4
	s_delay_alu instid0(TRANS32_DEP_1) | instskip(SKIP_2) | instid1(VALU_DEP_4)
	v_ldexp_f32 v6, v6, v9
	v_cndmask_b32_e32 v2, 0x7f800000, v2, vcc_lo
	v_cmp_ngt_f32_e32 vcc_lo, 0xc2ce8ed0, v5
	v_add_f32_e32 v8, v8, v14
	v_fma_f32 v12, 0x3fb8aa3b, v4, -v3
	v_rndne_f32_e32 v13, v3
	v_cvt_i32_f32_e32 v9, v15
	v_cndmask_b32_e32 v6, 0, v6, vcc_lo
	v_cmp_ngt_f32_e32 vcc_lo, 0xc2ce8ed0, v4
	s_delay_alu instid0(VALU_DEP_4)
	v_dual_fmac_f32 v12, 0x32a5705f, v4 :: v_dual_sub_f32 v3, v3, v13
	v_cvt_i32_f32_e32 v10, v13
	v_exp_f32_e32 v8, v8
	v_fmac_f32_e32 v35, v36, v0
	v_cvt_f16_f32_e32 v0, v0
	v_add_f32_e32 v3, v3, v12
	s_delay_alu instid0(VALU_DEP_3) | instskip(NEXT) | instid1(VALU_DEP_3)
	v_mov_b32_e32 v36, v35
	v_pk_mul_f16 v102, v102, v0 op_sel_hi:[1,0]
	s_delay_alu instid0(VALU_DEP_3) | instskip(NEXT) | instid1(TRANS32_DEP_2)
	v_exp_f32_e32 v3, v3
	v_ldexp_f32 v7, v8, v9
	s_waitcnt_depctr 0xfff
	v_ldexp_f32 v3, v3, v10
	s_delay_alu instid0(VALU_DEP_1)
	v_cndmask_b32_e32 v3, 0, v3, vcc_lo
	v_cmp_nlt_f32_e32 vcc_lo, 0x42b17218, v5
	v_cndmask_b32_e32 v5, 0x7f800000, v6, vcc_lo
	v_cmp_ngt_f32_e32 vcc_lo, 0xc2ce8ed0, v1
	v_cndmask_b32_e32 v6, 0, v7, vcc_lo
	v_cmp_nlt_f32_e32 vcc_lo, 0x42b17218, v4
	v_cndmask_b32_e32 v33, 0x7f800000, v3, vcc_lo
	v_cmp_nlt_f32_e32 vcc_lo, 0x42b17218, v1
	v_cvt_f16_f32_e32 v3, v2
	v_cvt_f16_f32_e32 v1, v5
	s_delay_alu instid0(VALU_DEP_4) | instskip(SKIP_1) | instid1(VALU_DEP_4)
	v_fmac_f32_e32 v33, v34, v2
	v_cndmask_b32_e32 v60, 0x7f800000, v6, vcc_lo
	v_pk_mul_f16 v101, v101, v3 op_sel_hi:[1,0]
	s_delay_alu instid0(VALU_DEP_4) | instskip(NEXT) | instid1(VALU_DEP_4)
	v_pk_mul_f16 v100, v100, v1 op_sel_hi:[1,0]
	v_mov_b32_e32 v34, v33
	s_delay_alu instid0(VALU_DEP_4)
	v_fmac_f32_e32 v60, v32, v5
	v_dual_mov_b32 v0, v16 :: v_dual_mov_b32 v7, v23
	v_dual_mov_b32 v1, v17 :: v_dual_mov_b32 v2, v18
	;; [unrolled: 1-line block ×3, first 2 shown]
	v_mov_b32_e32 v9, v25
	v_dual_mov_b32 v5, v21 :: v_dual_mov_b32 v6, v22
	v_dual_mov_b32 v11, v27 :: v_dual_mov_b32 v8, v24
	;; [unrolled: 1-line block ×6, first 2 shown]
	v_mov_b32_e32 v32, v60
.LBB52_242:
	s_mov_b32 s2, exec_lo
	v_cmpx_gt_i32_e64 s10, v96
	s_cbranch_execz .LBB52_322
; %bb.243:
	s_load_b32 s1, s[0:1], 0xd4
	v_mov_b32_e32 v18, 1.0
	s_waitcnt lgkmcnt(0)
	s_cmp_lg_u32 s1, 1
	s_cselect_b32 s4, -1, 0
	s_cmp_eq_u32 s1, 1
	s_cselect_b32 s3, -1, 0
	s_and_b32 vcc_lo, exec_lo, s4
	s_cbranch_vccnz .LBB52_245
; %bb.244:
	v_div_scale_f32 v16, null, v56, v56, 1.0
	s_delay_alu instid0(VALU_DEP_1) | instskip(SKIP_2) | instid1(VALU_DEP_1)
	v_rcp_f32_e32 v17, v16
	s_waitcnt_depctr 0xfff
	v_fma_f32 v18, -v16, v17, 1.0
	v_fmac_f32_e32 v17, v18, v17
	v_div_scale_f32 v18, vcc_lo, 1.0, v56, 1.0
	s_delay_alu instid0(VALU_DEP_1) | instskip(NEXT) | instid1(VALU_DEP_1)
	v_mul_f32_e32 v19, v18, v17
	v_fma_f32 v20, -v16, v19, v18
	s_delay_alu instid0(VALU_DEP_1) | instskip(NEXT) | instid1(VALU_DEP_1)
	v_fmac_f32_e32 v19, v20, v17
	v_fma_f32 v16, -v16, v19, v18
	s_delay_alu instid0(VALU_DEP_1) | instskip(NEXT) | instid1(VALU_DEP_1)
	v_div_fmas_f32 v16, v16, v17, v19
	v_div_fixup_f32 v18, v16, v56, 1.0
.LBB52_245:
	s_mul_i32 s2, s33, s10
	v_cvt_f32_f16_e32 v21, v127
	s_add_i32 s2, s2, s15
	v_cmp_eq_u32_e32 vcc_lo, 0, v93
	v_add_nc_u32_e32 v16, s2, v94
	s_delay_alu instid0(VALU_DEP_1) | instskip(SKIP_1) | instid1(VALU_DEP_2)
	v_mad_u64_u32 v[19:20], null, v16, s11, s[34:35]
	v_mov_b32_e32 v20, 0
	v_mad_u64_u32 v[16:17], null, s1, v19, s[14:15]
	v_lshrrev_b32_e32 v17, 16, v127
	s_delay_alu instid0(VALU_DEP_1) | instskip(SKIP_1) | instid1(VALU_DEP_4)
	v_cvt_f32_f16_e32 v22, v17
	v_mul_f32_e32 v17, v18, v21
	v_lshl_add_u32 v19, v16, 6, v108
	s_delay_alu instid0(VALU_DEP_3) | instskip(NEXT) | instid1(VALU_DEP_2)
	v_mul_f32_e32 v18, v18, v22
	v_lshlrev_b64 v[19:20], 2, v[19:20]
	s_delay_alu instid0(VALU_DEP_1) | instskip(NEXT) | instid1(VALU_DEP_1)
	v_add_co_u32 v19, s0, s28, v19
	v_add_co_ci_u32_e64 v20, s0, s29, v20, s0
	s_and_b32 s0, vcc_lo, s4
	global_store_b64 v[19:20], v[17:18], off
	s_and_saveexec_b32 s4, s0
	s_cbranch_execz .LBB52_247
; %bb.246:
	v_ashrrev_i32_e32 v17, 31, v16
	v_mov_b32_e32 v55, v0
	s_delay_alu instid0(VALU_DEP_2) | instskip(NEXT) | instid1(VALU_DEP_1)
	v_lshlrev_b64 v[16:17], 3, v[16:17]
	v_add_co_u32 v16, vcc_lo, s30, v16
	s_delay_alu instid0(VALU_DEP_2)
	v_add_co_ci_u32_e32 v17, vcc_lo, s31, v17, vcc_lo
	global_store_b64 v[16:17], v[55:56], off
.LBB52_247:
	s_or_b32 exec_lo, exec_lo, s4
	v_cmp_gt_i32_e32 vcc_lo, s10, v95
	s_and_b32 exec_lo, exec_lo, vcc_lo
	s_cbranch_execz .LBB52_322
; %bb.248:
	v_cndmask_b32_e64 v18, 0, 1, s3
	v_mov_b32_e32 v0, 1.0
	s_and_not1_b32 vcc_lo, exec_lo, s3
	s_cbranch_vccnz .LBB52_250
; %bb.249:
	v_div_scale_f32 v0, null, v54, v54, 1.0
	s_delay_alu instid0(VALU_DEP_1) | instskip(SKIP_2) | instid1(VALU_DEP_1)
	v_rcp_f32_e32 v16, v0
	s_waitcnt_depctr 0xfff
	v_fma_f32 v17, -v0, v16, 1.0
	v_fmac_f32_e32 v16, v17, v16
	v_div_scale_f32 v17, vcc_lo, 1.0, v54, 1.0
	s_delay_alu instid0(VALU_DEP_1) | instskip(NEXT) | instid1(VALU_DEP_1)
	v_mul_f32_e32 v19, v17, v16
	v_fma_f32 v20, -v0, v19, v17
	s_delay_alu instid0(VALU_DEP_1) | instskip(NEXT) | instid1(VALU_DEP_1)
	v_fmac_f32_e32 v19, v20, v16
	v_fma_f32 v0, -v0, v19, v17
	s_delay_alu instid0(VALU_DEP_1) | instskip(NEXT) | instid1(VALU_DEP_1)
	v_div_fmas_f32 v0, v0, v16, v19
	v_div_fixup_f32 v0, v0, v54, 1.0
.LBB52_250:
	scratch_load_b32 v16, off, off offset:16 ; 4-byte Folded Reload
	v_cvt_f32_f16_e32 v21, v126
	s_waitcnt vmcnt(0)
	s_delay_alu instid0(VALU_DEP_1) | instskip(NEXT) | instid1(VALU_DEP_1)
	v_dual_mul_f32 v21, v0, v21 :: v_dual_add_nc_u32 v16, s2, v16
	v_mad_u64_u32 v[19:20], null, v16, s11, s[34:35]
	v_mov_b32_e32 v20, 0
	s_delay_alu instid0(VALU_DEP_2) | instskip(SKIP_1) | instid1(VALU_DEP_1)
	v_mad_u64_u32 v[16:17], null, s1, v19, s[14:15]
	v_lshrrev_b32_e32 v17, 16, v126
	v_cvt_f32_f16_e32 v17, v17
	s_delay_alu instid0(VALU_DEP_3) | instskip(NEXT) | instid1(VALU_DEP_2)
	v_lshl_add_u32 v19, v16, 6, v108
	v_mul_f32_e32 v22, v0, v17
	s_delay_alu instid0(VALU_DEP_2) | instskip(NEXT) | instid1(VALU_DEP_1)
	v_lshlrev_b64 v[19:20], 2, v[19:20]
	v_add_co_u32 v19, vcc_lo, s28, v19
	s_delay_alu instid0(VALU_DEP_2)
	v_add_co_ci_u32_e32 v20, vcc_lo, s29, v20, vcc_lo
	global_store_b64 v[19:20], v[21:22], off
	s_and_saveexec_b32 s3, s0
	s_cbranch_execz .LBB52_252
; %bb.251:
	v_ashrrev_i32_e32 v17, 31, v16
	v_mov_b32_e32 v53, v1
	s_delay_alu instid0(VALU_DEP_2) | instskip(NEXT) | instid1(VALU_DEP_1)
	v_lshlrev_b64 v[16:17], 3, v[16:17]
	v_add_co_u32 v16, vcc_lo, s30, v16
	s_delay_alu instid0(VALU_DEP_2)
	v_add_co_ci_u32_e32 v17, vcc_lo, s31, v17, vcc_lo
	global_store_b64 v[16:17], v[53:54], off
.LBB52_252:
	s_or_b32 exec_lo, exec_lo, s3
	v_cmp_gt_i32_e32 vcc_lo, s10, v92
	s_and_b32 exec_lo, exec_lo, vcc_lo
	s_cbranch_execz .LBB52_322
; %bb.253:
	v_cmp_ne_u32_e32 vcc_lo, 1, v18
	v_mov_b32_e32 v16, 1.0
	s_cbranch_vccnz .LBB52_255
; %bb.254:
	v_div_scale_f32 v0, null, v52, v52, 1.0
	s_delay_alu instid0(VALU_DEP_1) | instskip(SKIP_2) | instid1(VALU_DEP_1)
	v_rcp_f32_e32 v1, v0
	s_waitcnt_depctr 0xfff
	v_fma_f32 v16, -v0, v1, 1.0
	v_fmac_f32_e32 v1, v16, v1
	v_div_scale_f32 v16, vcc_lo, 1.0, v52, 1.0
	s_delay_alu instid0(VALU_DEP_1) | instskip(NEXT) | instid1(VALU_DEP_1)
	v_mul_f32_e32 v17, v16, v1
	v_fma_f32 v19, -v0, v17, v16
	s_delay_alu instid0(VALU_DEP_1) | instskip(NEXT) | instid1(VALU_DEP_1)
	v_fmac_f32_e32 v17, v19, v1
	v_fma_f32 v0, -v0, v17, v16
	s_delay_alu instid0(VALU_DEP_1) | instskip(NEXT) | instid1(VALU_DEP_1)
	v_div_fmas_f32 v0, v0, v1, v17
	v_div_fixup_f32 v16, v0, v52, 1.0
.LBB52_255:
	scratch_load_b32 v0, off, off offset:20 ; 4-byte Folded Reload
	v_cvt_f32_f16_e32 v17, v122
	s_waitcnt vmcnt(0)
	s_delay_alu instid0(VALU_DEP_1) | instskip(NEXT) | instid1(VALU_DEP_1)
	v_dual_mul_f32 v21, v16, v17 :: v_dual_add_nc_u32 v0, s2, v0
	v_mad_u64_u32 v[19:20], null, v0, s11, s[34:35]
	v_mov_b32_e32 v20, 0
	s_delay_alu instid0(VALU_DEP_2) | instskip(SKIP_1) | instid1(VALU_DEP_1)
	v_mad_u64_u32 v[0:1], null, s1, v19, s[14:15]
	v_lshrrev_b32_e32 v1, 16, v122
	v_cvt_f32_f16_e32 v1, v1
	s_delay_alu instid0(VALU_DEP_3) | instskip(NEXT) | instid1(VALU_DEP_2)
	v_lshl_add_u32 v19, v0, 6, v108
	v_mul_f32_e32 v22, v16, v1
	s_delay_alu instid0(VALU_DEP_2) | instskip(NEXT) | instid1(VALU_DEP_1)
	v_lshlrev_b64 v[19:20], 2, v[19:20]
	v_add_co_u32 v16, vcc_lo, s28, v19
	s_delay_alu instid0(VALU_DEP_2)
	v_add_co_ci_u32_e32 v17, vcc_lo, s29, v20, vcc_lo
	global_store_b64 v[16:17], v[21:22], off
	s_and_saveexec_b32 s3, s0
	s_cbranch_execz .LBB52_257
; %bb.256:
	v_ashrrev_i32_e32 v1, 31, v0
	v_mov_b32_e32 v51, v2
	s_delay_alu instid0(VALU_DEP_2) | instskip(NEXT) | instid1(VALU_DEP_1)
	v_lshlrev_b64 v[0:1], 3, v[0:1]
	v_add_co_u32 v0, vcc_lo, s30, v0
	s_delay_alu instid0(VALU_DEP_2)
	v_add_co_ci_u32_e32 v1, vcc_lo, s31, v1, vcc_lo
	global_store_b64 v[0:1], v[51:52], off
.LBB52_257:
	s_or_b32 exec_lo, exec_lo, s3
	v_cmp_gt_i32_e32 vcc_lo, s10, v89
	s_and_b32 exec_lo, exec_lo, vcc_lo
	s_cbranch_execz .LBB52_322
; %bb.258:
	v_cmp_ne_u32_e32 vcc_lo, 1, v18
	v_mov_b32_e32 v2, 1.0
	s_cbranch_vccnz .LBB52_260
; %bb.259:
	v_div_scale_f32 v0, null, v50, v50, 1.0
	s_delay_alu instid0(VALU_DEP_1) | instskip(SKIP_2) | instid1(VALU_DEP_1)
	v_rcp_f32_e32 v1, v0
	s_waitcnt_depctr 0xfff
	v_fma_f32 v2, -v0, v1, 1.0
	v_fmac_f32_e32 v1, v2, v1
	v_div_scale_f32 v2, vcc_lo, 1.0, v50, 1.0
	s_delay_alu instid0(VALU_DEP_1) | instskip(NEXT) | instid1(VALU_DEP_1)
	v_mul_f32_e32 v16, v2, v1
	v_fma_f32 v17, -v0, v16, v2
	s_delay_alu instid0(VALU_DEP_1) | instskip(NEXT) | instid1(VALU_DEP_1)
	v_fmac_f32_e32 v16, v17, v1
	v_fma_f32 v0, -v0, v16, v2
	s_delay_alu instid0(VALU_DEP_1) | instskip(NEXT) | instid1(VALU_DEP_1)
	v_div_fmas_f32 v0, v0, v1, v16
	v_div_fixup_f32 v2, v0, v50, 1.0
.LBB52_260:
	scratch_load_b32 v0, off, off offset:24 ; 4-byte Folded Reload
	v_cvt_f32_f16_e32 v19, v118
	s_waitcnt vmcnt(0)
	v_add_nc_u32_e32 v0, s2, v0
	s_delay_alu instid0(VALU_DEP_1) | instskip(SKIP_1) | instid1(VALU_DEP_2)
	v_mad_u64_u32 v[16:17], null, v0, s11, s[34:35]
	v_mov_b32_e32 v17, 0
	v_mad_u64_u32 v[0:1], null, s1, v16, s[14:15]
	v_lshrrev_b32_e32 v1, 16, v118
	s_delay_alu instid0(VALU_DEP_1) | instskip(NEXT) | instid1(VALU_DEP_3)
	v_cvt_f32_f16_e32 v20, v1
	v_lshl_add_u32 v16, v0, 6, v108
	v_mul_f32_e32 v1, v2, v19
	s_delay_alu instid0(VALU_DEP_3) | instskip(NEXT) | instid1(VALU_DEP_3)
	v_mul_f32_e32 v2, v2, v20
	v_lshlrev_b64 v[16:17], 2, v[16:17]
	s_delay_alu instid0(VALU_DEP_1) | instskip(NEXT) | instid1(VALU_DEP_2)
	v_add_co_u32 v16, vcc_lo, s28, v16
	v_add_co_ci_u32_e32 v17, vcc_lo, s29, v17, vcc_lo
	global_store_b64 v[16:17], v[1:2], off
	s_and_saveexec_b32 s3, s0
	s_cbranch_execz .LBB52_262
; %bb.261:
	v_ashrrev_i32_e32 v1, 31, v0
	v_mov_b32_e32 v49, v3
	s_delay_alu instid0(VALU_DEP_2) | instskip(NEXT) | instid1(VALU_DEP_1)
	v_lshlrev_b64 v[0:1], 3, v[0:1]
	v_add_co_u32 v0, vcc_lo, s30, v0
	s_delay_alu instid0(VALU_DEP_2)
	v_add_co_ci_u32_e32 v1, vcc_lo, s31, v1, vcc_lo
	global_store_b64 v[0:1], v[49:50], off
.LBB52_262:
	s_or_b32 exec_lo, exec_lo, s3
	v_cmp_gt_i32_e32 vcc_lo, s10, v88
	s_and_b32 exec_lo, exec_lo, vcc_lo
	s_cbranch_execz .LBB52_322
; %bb.263:
	v_cmp_ne_u32_e32 vcc_lo, 1, v18
	v_mov_b32_e32 v2, 1.0
	s_cbranch_vccnz .LBB52_265
; %bb.264:
	v_div_scale_f32 v0, null, v48, v48, 1.0
	s_delay_alu instid0(VALU_DEP_1) | instskip(SKIP_2) | instid1(VALU_DEP_1)
	v_rcp_f32_e32 v1, v0
	s_waitcnt_depctr 0xfff
	v_fma_f32 v2, -v0, v1, 1.0
	v_fmac_f32_e32 v1, v2, v1
	v_div_scale_f32 v2, vcc_lo, 1.0, v48, 1.0
	s_delay_alu instid0(VALU_DEP_1) | instskip(NEXT) | instid1(VALU_DEP_1)
	v_mul_f32_e32 v3, v2, v1
	v_fma_f32 v16, -v0, v3, v2
	s_delay_alu instid0(VALU_DEP_1) | instskip(NEXT) | instid1(VALU_DEP_1)
	v_fmac_f32_e32 v3, v16, v1
	v_fma_f32 v0, -v0, v3, v2
	s_delay_alu instid0(VALU_DEP_1) | instskip(NEXT) | instid1(VALU_DEP_1)
	v_div_fmas_f32 v0, v0, v1, v3
	v_div_fixup_f32 v2, v0, v48, 1.0
.LBB52_265:
	scratch_load_b32 v0, off, off offset:28 ; 4-byte Folded Reload
	v_cvt_f32_f16_e32 v3, v114
	s_waitcnt vmcnt(0)
	v_add_nc_u32_e32 v0, s2, v0
	s_delay_alu instid0(VALU_DEP_1) | instskip(SKIP_1) | instid1(VALU_DEP_2)
	v_mad_u64_u32 v[16:17], null, v0, s11, s[34:35]
	v_mov_b32_e32 v17, 0
	v_mad_u64_u32 v[0:1], null, s1, v16, s[14:15]
	v_lshrrev_b32_e32 v1, 16, v114
	s_delay_alu instid0(VALU_DEP_1) | instskip(NEXT) | instid1(VALU_DEP_3)
	v_cvt_f32_f16_e32 v19, v1
	v_lshl_add_u32 v16, v0, 6, v108
	v_mul_f32_e32 v1, v2, v3
	s_delay_alu instid0(VALU_DEP_3) | instskip(NEXT) | instid1(VALU_DEP_3)
	v_mul_f32_e32 v2, v2, v19
	v_lshlrev_b64 v[16:17], 2, v[16:17]
	s_delay_alu instid0(VALU_DEP_1) | instskip(NEXT) | instid1(VALU_DEP_2)
	v_add_co_u32 v16, vcc_lo, s28, v16
	v_add_co_ci_u32_e32 v17, vcc_lo, s29, v17, vcc_lo
	global_store_b64 v[16:17], v[1:2], off
	s_and_saveexec_b32 s3, s0
	s_cbranch_execz .LBB52_267
; %bb.266:
	v_ashrrev_i32_e32 v1, 31, v0
	v_mov_b32_e32 v47, v4
	s_delay_alu instid0(VALU_DEP_2) | instskip(NEXT) | instid1(VALU_DEP_1)
	v_lshlrev_b64 v[0:1], 3, v[0:1]
	v_add_co_u32 v0, vcc_lo, s30, v0
	s_delay_alu instid0(VALU_DEP_2)
	v_add_co_ci_u32_e32 v1, vcc_lo, s31, v1, vcc_lo
	global_store_b64 v[0:1], v[47:48], off
.LBB52_267:
	s_or_b32 exec_lo, exec_lo, s3
	v_cmp_gt_i32_e32 vcc_lo, s10, v86
	s_and_b32 exec_lo, exec_lo, vcc_lo
	s_cbranch_execz .LBB52_322
; %bb.268:
	v_cmp_ne_u32_e32 vcc_lo, 1, v18
	v_mov_b32_e32 v2, 1.0
	s_cbranch_vccnz .LBB52_270
; %bb.269:
	v_div_scale_f32 v0, null, v46, v46, 1.0
	s_delay_alu instid0(VALU_DEP_1) | instskip(SKIP_2) | instid1(VALU_DEP_1)
	v_rcp_f32_e32 v1, v0
	s_waitcnt_depctr 0xfff
	v_fma_f32 v2, -v0, v1, 1.0
	v_fmac_f32_e32 v1, v2, v1
	v_div_scale_f32 v2, vcc_lo, 1.0, v46, 1.0
	s_delay_alu instid0(VALU_DEP_1) | instskip(NEXT) | instid1(VALU_DEP_1)
	v_mul_f32_e32 v3, v2, v1
	v_fma_f32 v4, -v0, v3, v2
	s_delay_alu instid0(VALU_DEP_1) | instskip(NEXT) | instid1(VALU_DEP_1)
	v_fmac_f32_e32 v3, v4, v1
	v_fma_f32 v0, -v0, v3, v2
	s_delay_alu instid0(VALU_DEP_1) | instskip(NEXT) | instid1(VALU_DEP_1)
	v_div_fmas_f32 v0, v0, v1, v3
	v_div_fixup_f32 v2, v0, v46, 1.0
.LBB52_270:
	scratch_load_b32 v0, off, off offset:32 ; 4-byte Folded Reload
	v_cvt_f32_f16_e32 v16, v111
	s_waitcnt vmcnt(0)
	v_add_nc_u32_e32 v0, s2, v0
	s_delay_alu instid0(VALU_DEP_1) | instskip(SKIP_1) | instid1(VALU_DEP_2)
	v_mad_u64_u32 v[3:4], null, v0, s11, s[34:35]
	v_mov_b32_e32 v4, 0
	v_mad_u64_u32 v[0:1], null, s1, v3, s[14:15]
	v_lshrrev_b32_e32 v1, 16, v111
	s_delay_alu instid0(VALU_DEP_1) | instskip(SKIP_1) | instid1(VALU_DEP_4)
	v_cvt_f32_f16_e32 v17, v1
	v_mul_f32_e32 v1, v2, v16
	v_lshl_add_u32 v3, v0, 6, v108
	s_delay_alu instid0(VALU_DEP_3) | instskip(NEXT) | instid1(VALU_DEP_2)
	v_mul_f32_e32 v2, v2, v17
	v_lshlrev_b64 v[3:4], 2, v[3:4]
	s_delay_alu instid0(VALU_DEP_1) | instskip(NEXT) | instid1(VALU_DEP_2)
	v_add_co_u32 v3, vcc_lo, s28, v3
	v_add_co_ci_u32_e32 v4, vcc_lo, s29, v4, vcc_lo
	global_store_b64 v[3:4], v[1:2], off
	s_and_saveexec_b32 s3, s0
	s_cbranch_execz .LBB52_272
; %bb.271:
	v_ashrrev_i32_e32 v1, 31, v0
	v_mov_b32_e32 v45, v5
	s_delay_alu instid0(VALU_DEP_2) | instskip(NEXT) | instid1(VALU_DEP_1)
	v_lshlrev_b64 v[0:1], 3, v[0:1]
	v_add_co_u32 v0, vcc_lo, s30, v0
	s_delay_alu instid0(VALU_DEP_2)
	v_add_co_ci_u32_e32 v1, vcc_lo, s31, v1, vcc_lo
	global_store_b64 v[0:1], v[45:46], off
.LBB52_272:
	s_or_b32 exec_lo, exec_lo, s3
	v_cmp_gt_i32_e32 vcc_lo, s10, v84
	s_and_b32 exec_lo, exec_lo, vcc_lo
	s_cbranch_execz .LBB52_322
; %bb.273:
	v_cmp_ne_u32_e32 vcc_lo, 1, v18
	v_mov_b32_e32 v2, 1.0
	s_cbranch_vccnz .LBB52_275
; %bb.274:
	v_div_scale_f32 v0, null, v44, v44, 1.0
	s_delay_alu instid0(VALU_DEP_1) | instskip(SKIP_2) | instid1(VALU_DEP_1)
	v_rcp_f32_e32 v1, v0
	s_waitcnt_depctr 0xfff
	v_fma_f32 v2, -v0, v1, 1.0
	v_fmac_f32_e32 v1, v2, v1
	v_div_scale_f32 v2, vcc_lo, 1.0, v44, 1.0
	s_delay_alu instid0(VALU_DEP_1) | instskip(NEXT) | instid1(VALU_DEP_1)
	v_mul_f32_e32 v3, v2, v1
	v_fma_f32 v4, -v0, v3, v2
	s_delay_alu instid0(VALU_DEP_1) | instskip(NEXT) | instid1(VALU_DEP_1)
	v_fmac_f32_e32 v3, v4, v1
	v_fma_f32 v0, -v0, v3, v2
	s_delay_alu instid0(VALU_DEP_1) | instskip(NEXT) | instid1(VALU_DEP_1)
	v_div_fmas_f32 v0, v0, v1, v3
	v_div_fixup_f32 v2, v0, v44, 1.0
.LBB52_275:
	scratch_load_b32 v0, off, off offset:36 ; 4-byte Folded Reload
	v_cvt_f32_f16_e32 v5, v110
	s_waitcnt vmcnt(0)
	v_add_nc_u32_e32 v0, s2, v0
	s_delay_alu instid0(VALU_DEP_1) | instskip(SKIP_1) | instid1(VALU_DEP_2)
	v_mad_u64_u32 v[3:4], null, v0, s11, s[34:35]
	v_mov_b32_e32 v4, 0
	v_mad_u64_u32 v[0:1], null, s1, v3, s[14:15]
	v_lshrrev_b32_e32 v1, 16, v110
	s_delay_alu instid0(VALU_DEP_1) | instskip(SKIP_1) | instid1(VALU_DEP_4)
	v_cvt_f32_f16_e32 v16, v1
	v_mul_f32_e32 v1, v2, v5
	v_lshl_add_u32 v3, v0, 6, v108
	s_delay_alu instid0(VALU_DEP_3) | instskip(NEXT) | instid1(VALU_DEP_2)
	;; [unrolled: 58-line block ×5, first 2 shown]
	v_mul_f32_e32 v2, v2, v6
	v_lshlrev_b64 v[3:4], 2, v[3:4]
	s_delay_alu instid0(VALU_DEP_1) | instskip(NEXT) | instid1(VALU_DEP_2)
	v_add_co_u32 v3, vcc_lo, s28, v3
	v_add_co_ci_u32_e32 v4, vcc_lo, s29, v4, vcc_lo
	global_store_b64 v[3:4], v[1:2], off
	s_and_saveexec_b32 s3, s0
	s_cbranch_execz .LBB52_292
; %bb.291:
	v_ashrrev_i32_e32 v1, 31, v0
	v_mov_b32_e32 v37, v9
	s_delay_alu instid0(VALU_DEP_2) | instskip(NEXT) | instid1(VALU_DEP_1)
	v_lshlrev_b64 v[0:1], 3, v[0:1]
	v_add_co_u32 v0, vcc_lo, s30, v0
	s_delay_alu instid0(VALU_DEP_2)
	v_add_co_ci_u32_e32 v1, vcc_lo, s31, v1, vcc_lo
	global_store_b64 v[0:1], v[37:38], off
.LBB52_292:
	s_or_b32 exec_lo, exec_lo, s3
	v_cmp_gt_i32_e32 vcc_lo, s10, v87
	s_and_b32 exec_lo, exec_lo, vcc_lo
	s_cbranch_execz .LBB52_322
; %bb.293:
	v_cmp_ne_u32_e32 vcc_lo, 1, v18
	v_mov_b32_e32 v2, 1.0
	s_cbranch_vccnz .LBB52_295
; %bb.294:
	v_div_scale_f32 v0, null, v29, v29, 1.0
	s_delay_alu instid0(VALU_DEP_1) | instskip(SKIP_2) | instid1(VALU_DEP_1)
	v_rcp_f32_e32 v1, v0
	s_waitcnt_depctr 0xfff
	v_fma_f32 v2, -v0, v1, 1.0
	v_fmac_f32_e32 v1, v2, v1
	v_div_scale_f32 v2, vcc_lo, 1.0, v29, 1.0
	s_delay_alu instid0(VALU_DEP_1) | instskip(NEXT) | instid1(VALU_DEP_1)
	v_mul_f32_e32 v3, v2, v1
	v_fma_f32 v4, -v0, v3, v2
	s_delay_alu instid0(VALU_DEP_1) | instskip(NEXT) | instid1(VALU_DEP_1)
	v_fmac_f32_e32 v3, v4, v1
	v_fma_f32 v0, -v0, v3, v2
	s_delay_alu instid0(VALU_DEP_1) | instskip(NEXT) | instid1(VALU_DEP_1)
	v_div_fmas_f32 v0, v0, v1, v3
	v_div_fixup_f32 v2, v0, v29, 1.0
.LBB52_295:
	v_cvt_f32_f16_e32 v5, v105
	v_add_nc_u32_e32 v0, s2, v223
	s_delay_alu instid0(VALU_DEP_1) | instskip(SKIP_1) | instid1(VALU_DEP_2)
	v_mad_u64_u32 v[3:4], null, v0, s11, s[34:35]
	v_mov_b32_e32 v4, 0
	v_mad_u64_u32 v[0:1], null, s1, v3, s[14:15]
	v_lshrrev_b32_e32 v1, 16, v105
	s_delay_alu instid0(VALU_DEP_1) | instskip(SKIP_1) | instid1(VALU_DEP_4)
	v_cvt_f32_f16_e32 v6, v1
	v_mul_f32_e32 v1, v2, v5
	v_lshl_add_u32 v3, v0, 6, v108
	s_delay_alu instid0(VALU_DEP_3) | instskip(NEXT) | instid1(VALU_DEP_2)
	v_mul_f32_e32 v2, v2, v6
	v_lshlrev_b64 v[3:4], 2, v[3:4]
	s_delay_alu instid0(VALU_DEP_1) | instskip(NEXT) | instid1(VALU_DEP_2)
	v_add_co_u32 v3, vcc_lo, s28, v3
	v_add_co_ci_u32_e32 v4, vcc_lo, s29, v4, vcc_lo
	global_store_b64 v[3:4], v[1:2], off
	s_and_saveexec_b32 s3, s0
	s_cbranch_execz .LBB52_297
; %bb.296:
	v_ashrrev_i32_e32 v1, 31, v0
	v_mov_b32_e32 v28, v10
	s_delay_alu instid0(VALU_DEP_2) | instskip(NEXT) | instid1(VALU_DEP_1)
	v_lshlrev_b64 v[0:1], 3, v[0:1]
	v_add_co_u32 v0, vcc_lo, s30, v0
	s_delay_alu instid0(VALU_DEP_2)
	v_add_co_ci_u32_e32 v1, vcc_lo, s31, v1, vcc_lo
	global_store_b64 v[0:1], v[28:29], off
.LBB52_297:
	s_or_b32 exec_lo, exec_lo, s3
	v_cmp_gt_i32_e32 vcc_lo, s10, v83
	s_and_b32 exec_lo, exec_lo, vcc_lo
	s_cbranch_execz .LBB52_322
; %bb.298:
	v_cmp_ne_u32_e32 vcc_lo, 1, v18
	v_mov_b32_e32 v2, 1.0
	s_cbranch_vccnz .LBB52_300
; %bb.299:
	v_div_scale_f32 v0, null, v30, v30, 1.0
	s_delay_alu instid0(VALU_DEP_1) | instskip(SKIP_2) | instid1(VALU_DEP_1)
	v_rcp_f32_e32 v1, v0
	s_waitcnt_depctr 0xfff
	v_fma_f32 v2, -v0, v1, 1.0
	v_fmac_f32_e32 v1, v2, v1
	v_div_scale_f32 v2, vcc_lo, 1.0, v30, 1.0
	s_delay_alu instid0(VALU_DEP_1) | instskip(NEXT) | instid1(VALU_DEP_1)
	v_mul_f32_e32 v3, v2, v1
	v_fma_f32 v4, -v0, v3, v2
	s_delay_alu instid0(VALU_DEP_1) | instskip(NEXT) | instid1(VALU_DEP_1)
	v_fmac_f32_e32 v3, v4, v1
	v_fma_f32 v0, -v0, v3, v2
	s_delay_alu instid0(VALU_DEP_1) | instskip(NEXT) | instid1(VALU_DEP_1)
	v_div_fmas_f32 v0, v0, v1, v3
	v_div_fixup_f32 v2, v0, v30, 1.0
.LBB52_300:
	v_cvt_f32_f16_e32 v5, v104
	v_add_nc_u32_e32 v0, s2, v222
	s_delay_alu instid0(VALU_DEP_1) | instskip(SKIP_1) | instid1(VALU_DEP_2)
	v_mad_u64_u32 v[3:4], null, v0, s11, s[34:35]
	v_mov_b32_e32 v4, 0
	v_mad_u64_u32 v[0:1], null, s1, v3, s[14:15]
	v_lshrrev_b32_e32 v1, 16, v104
	s_delay_alu instid0(VALU_DEP_1) | instskip(SKIP_1) | instid1(VALU_DEP_4)
	v_cvt_f32_f16_e32 v6, v1
	v_mul_f32_e32 v1, v2, v5
	v_lshl_add_u32 v3, v0, 6, v108
	s_delay_alu instid0(VALU_DEP_3) | instskip(NEXT) | instid1(VALU_DEP_2)
	v_mul_f32_e32 v2, v2, v6
	v_lshlrev_b64 v[3:4], 2, v[3:4]
	s_delay_alu instid0(VALU_DEP_1) | instskip(NEXT) | instid1(VALU_DEP_2)
	v_add_co_u32 v3, vcc_lo, s28, v3
	v_add_co_ci_u32_e32 v4, vcc_lo, s29, v4, vcc_lo
	global_store_b64 v[3:4], v[1:2], off
	s_and_saveexec_b32 s3, s0
	s_cbranch_execz .LBB52_302
; %bb.301:
	v_ashrrev_i32_e32 v1, 31, v0
	v_mov_b32_e32 v29, v11
	s_delay_alu instid0(VALU_DEP_2) | instskip(NEXT) | instid1(VALU_DEP_1)
	v_lshlrev_b64 v[0:1], 3, v[0:1]
	v_add_co_u32 v0, vcc_lo, s30, v0
	s_delay_alu instid0(VALU_DEP_2)
	v_add_co_ci_u32_e32 v1, vcc_lo, s31, v1, vcc_lo
	global_store_b64 v[0:1], v[29:30], off
.LBB52_302:
	s_or_b32 exec_lo, exec_lo, s3
	v_cmp_gt_i32_e32 vcc_lo, s10, v82
	s_and_b32 exec_lo, exec_lo, vcc_lo
	s_cbranch_execz .LBB52_322
; %bb.303:
	v_cmp_ne_u32_e32 vcc_lo, 1, v18
	v_mov_b32_e32 v2, 1.0
	s_cbranch_vccnz .LBB52_305
; %bb.304:
	v_div_scale_f32 v0, null, v31, v31, 1.0
	s_delay_alu instid0(VALU_DEP_1) | instskip(SKIP_2) | instid1(VALU_DEP_1)
	v_rcp_f32_e32 v1, v0
	s_waitcnt_depctr 0xfff
	v_fma_f32 v2, -v0, v1, 1.0
	v_fmac_f32_e32 v1, v2, v1
	v_div_scale_f32 v2, vcc_lo, 1.0, v31, 1.0
	s_delay_alu instid0(VALU_DEP_1) | instskip(NEXT) | instid1(VALU_DEP_1)
	v_mul_f32_e32 v3, v2, v1
	v_fma_f32 v4, -v0, v3, v2
	s_delay_alu instid0(VALU_DEP_1) | instskip(NEXT) | instid1(VALU_DEP_1)
	v_fmac_f32_e32 v3, v4, v1
	v_fma_f32 v0, -v0, v3, v2
	s_delay_alu instid0(VALU_DEP_1) | instskip(NEXT) | instid1(VALU_DEP_1)
	v_div_fmas_f32 v0, v0, v1, v3
	v_div_fixup_f32 v2, v0, v31, 1.0
.LBB52_305:
	v_add_nc_u32_e32 v0, s2, v221
	v_cvt_f32_f16_e32 v5, v103
	s_delay_alu instid0(VALU_DEP_2) | instskip(SKIP_1) | instid1(VALU_DEP_2)
	v_mad_u64_u32 v[3:4], null, v0, s11, s[34:35]
	v_mov_b32_e32 v4, 0
	v_mad_u64_u32 v[0:1], null, s1, v3, s[14:15]
	v_lshrrev_b32_e32 v1, 16, v103
	s_delay_alu instid0(VALU_DEP_1) | instskip(SKIP_1) | instid1(VALU_DEP_4)
	v_cvt_f32_f16_e32 v6, v1
	v_mul_f32_e32 v1, v2, v5
	v_lshl_add_u32 v3, v0, 6, v108
	s_delay_alu instid0(VALU_DEP_3) | instskip(NEXT) | instid1(VALU_DEP_2)
	v_mul_f32_e32 v2, v2, v6
	v_lshlrev_b64 v[3:4], 2, v[3:4]
	s_delay_alu instid0(VALU_DEP_1) | instskip(NEXT) | instid1(VALU_DEP_2)
	v_add_co_u32 v3, vcc_lo, s28, v3
	v_add_co_ci_u32_e32 v4, vcc_lo, s29, v4, vcc_lo
	global_store_b64 v[3:4], v[1:2], off
	s_and_saveexec_b32 s3, s0
	s_cbranch_execz .LBB52_307
; %bb.306:
	v_ashrrev_i32_e32 v1, 31, v0
	v_mov_b32_e32 v30, v12
	s_delay_alu instid0(VALU_DEP_2) | instskip(NEXT) | instid1(VALU_DEP_1)
	v_lshlrev_b64 v[0:1], 3, v[0:1]
	v_add_co_u32 v0, vcc_lo, s30, v0
	s_delay_alu instid0(VALU_DEP_2)
	v_add_co_ci_u32_e32 v1, vcc_lo, s31, v1, vcc_lo
	global_store_b64 v[0:1], v[30:31], off
.LBB52_307:
	s_or_b32 exec_lo, exec_lo, s3
	v_cmp_gt_i32_e32 vcc_lo, s10, v80
	s_and_b32 exec_lo, exec_lo, vcc_lo
	s_cbranch_execz .LBB52_322
; %bb.308:
	v_cmp_ne_u32_e32 vcc_lo, 1, v18
	v_mov_b32_e32 v2, 1.0
	s_cbranch_vccnz .LBB52_310
; %bb.309:
	v_div_scale_f32 v0, null, v36, v36, 1.0
	s_delay_alu instid0(VALU_DEP_1) | instskip(SKIP_2) | instid1(VALU_DEP_1)
	v_rcp_f32_e32 v1, v0
	s_waitcnt_depctr 0xfff
	v_fma_f32 v2, -v0, v1, 1.0
	v_fmac_f32_e32 v1, v2, v1
	v_div_scale_f32 v2, vcc_lo, 1.0, v36, 1.0
	s_delay_alu instid0(VALU_DEP_1) | instskip(NEXT) | instid1(VALU_DEP_1)
	v_mul_f32_e32 v3, v2, v1
	v_fma_f32 v4, -v0, v3, v2
	s_delay_alu instid0(VALU_DEP_1) | instskip(NEXT) | instid1(VALU_DEP_1)
	v_fmac_f32_e32 v3, v4, v1
	v_fma_f32 v0, -v0, v3, v2
	s_delay_alu instid0(VALU_DEP_1) | instskip(NEXT) | instid1(VALU_DEP_1)
	v_div_fmas_f32 v0, v0, v1, v3
	v_div_fixup_f32 v2, v0, v36, 1.0
.LBB52_310:
	v_cvt_f32_f16_e32 v5, v102
	v_add_nc_u32_e32 v0, s2, v220
	s_delay_alu instid0(VALU_DEP_1) | instskip(SKIP_1) | instid1(VALU_DEP_2)
	v_mad_u64_u32 v[3:4], null, v0, s11, s[34:35]
	v_mov_b32_e32 v4, 0
	v_mad_u64_u32 v[0:1], null, s1, v3, s[14:15]
	v_lshrrev_b32_e32 v1, 16, v102
	s_delay_alu instid0(VALU_DEP_1) | instskip(SKIP_1) | instid1(VALU_DEP_4)
	v_cvt_f32_f16_e32 v6, v1
	v_mul_f32_e32 v1, v2, v5
	v_lshl_add_u32 v3, v0, 6, v108
	s_delay_alu instid0(VALU_DEP_3) | instskip(NEXT) | instid1(VALU_DEP_2)
	v_mul_f32_e32 v2, v2, v6
	v_lshlrev_b64 v[3:4], 2, v[3:4]
	s_delay_alu instid0(VALU_DEP_1) | instskip(NEXT) | instid1(VALU_DEP_2)
	v_add_co_u32 v3, vcc_lo, s28, v3
	v_add_co_ci_u32_e32 v4, vcc_lo, s29, v4, vcc_lo
	global_store_b64 v[3:4], v[1:2], off
	s_and_saveexec_b32 s3, s0
	s_cbranch_execz .LBB52_312
; %bb.311:
	v_ashrrev_i32_e32 v1, 31, v0
	v_mov_b32_e32 v35, v13
	s_delay_alu instid0(VALU_DEP_2) | instskip(NEXT) | instid1(VALU_DEP_1)
	v_lshlrev_b64 v[0:1], 3, v[0:1]
	v_add_co_u32 v0, vcc_lo, s30, v0
	s_delay_alu instid0(VALU_DEP_2)
	v_add_co_ci_u32_e32 v1, vcc_lo, s31, v1, vcc_lo
	global_store_b64 v[0:1], v[35:36], off
.LBB52_312:
	s_or_b32 exec_lo, exec_lo, s3
	v_cmp_gt_i32_e32 vcc_lo, s10, v85
	s_and_b32 exec_lo, exec_lo, vcc_lo
	s_cbranch_execz .LBB52_322
; %bb.313:
	v_cmp_ne_u32_e32 vcc_lo, 1, v18
	v_mov_b32_e32 v2, 1.0
	s_cbranch_vccnz .LBB52_315
; %bb.314:
	v_div_scale_f32 v0, null, v34, v34, 1.0
	s_delay_alu instid0(VALU_DEP_1) | instskip(SKIP_2) | instid1(VALU_DEP_1)
	v_rcp_f32_e32 v1, v0
	s_waitcnt_depctr 0xfff
	v_fma_f32 v2, -v0, v1, 1.0
	v_fmac_f32_e32 v1, v2, v1
	v_div_scale_f32 v2, vcc_lo, 1.0, v34, 1.0
	s_delay_alu instid0(VALU_DEP_1) | instskip(NEXT) | instid1(VALU_DEP_1)
	v_mul_f32_e32 v3, v2, v1
	v_fma_f32 v4, -v0, v3, v2
	s_delay_alu instid0(VALU_DEP_1) | instskip(NEXT) | instid1(VALU_DEP_1)
	v_fmac_f32_e32 v3, v4, v1
	v_fma_f32 v0, -v0, v3, v2
	s_delay_alu instid0(VALU_DEP_1) | instskip(NEXT) | instid1(VALU_DEP_1)
	v_div_fmas_f32 v0, v0, v1, v3
	v_div_fixup_f32 v2, v0, v34, 1.0
.LBB52_315:
	scratch_load_b32 v0, off, off offset:52 ; 4-byte Folded Reload
	v_cvt_f32_f16_e32 v5, v101
	s_waitcnt vmcnt(0)
	v_add_nc_u32_e32 v0, s2, v0
	s_delay_alu instid0(VALU_DEP_1) | instskip(SKIP_1) | instid1(VALU_DEP_2)
	v_mad_u64_u32 v[3:4], null, v0, s11, s[34:35]
	v_mov_b32_e32 v4, 0
	v_mad_u64_u32 v[0:1], null, s1, v3, s[14:15]
	v_lshrrev_b32_e32 v1, 16, v101
	s_delay_alu instid0(VALU_DEP_1) | instskip(SKIP_1) | instid1(VALU_DEP_4)
	v_cvt_f32_f16_e32 v6, v1
	v_mul_f32_e32 v1, v2, v5
	v_lshl_add_u32 v3, v0, 6, v108
	s_delay_alu instid0(VALU_DEP_3) | instskip(NEXT) | instid1(VALU_DEP_2)
	v_mul_f32_e32 v2, v2, v6
	v_lshlrev_b64 v[3:4], 2, v[3:4]
	s_delay_alu instid0(VALU_DEP_1) | instskip(NEXT) | instid1(VALU_DEP_2)
	v_add_co_u32 v3, vcc_lo, s28, v3
	v_add_co_ci_u32_e32 v4, vcc_lo, s29, v4, vcc_lo
	global_store_b64 v[3:4], v[1:2], off
	s_and_saveexec_b32 s3, s0
	s_cbranch_execz .LBB52_317
; %bb.316:
	v_ashrrev_i32_e32 v1, 31, v0
	v_mov_b32_e32 v33, v14
	s_delay_alu instid0(VALU_DEP_2) | instskip(NEXT) | instid1(VALU_DEP_1)
	v_lshlrev_b64 v[0:1], 3, v[0:1]
	v_add_co_u32 v0, vcc_lo, s30, v0
	s_delay_alu instid0(VALU_DEP_2)
	v_add_co_ci_u32_e32 v1, vcc_lo, s31, v1, vcc_lo
	global_store_b64 v[0:1], v[33:34], off
.LBB52_317:
	s_or_b32 exec_lo, exec_lo, s3
	v_cmp_gt_i32_e32 vcc_lo, s10, v255
	s_and_b32 exec_lo, exec_lo, vcc_lo
	s_cbranch_execz .LBB52_322
; %bb.318:
	v_cmp_ne_u32_e32 vcc_lo, 1, v18
	v_mov_b32_e32 v2, 1.0
	s_cbranch_vccnz .LBB52_320
; %bb.319:
	v_div_scale_f32 v0, null, v32, v32, 1.0
	s_delay_alu instid0(VALU_DEP_1) | instskip(SKIP_2) | instid1(VALU_DEP_1)
	v_rcp_f32_e32 v1, v0
	s_waitcnt_depctr 0xfff
	v_fma_f32 v2, -v0, v1, 1.0
	v_fmac_f32_e32 v1, v2, v1
	v_div_scale_f32 v2, vcc_lo, 1.0, v32, 1.0
	s_delay_alu instid0(VALU_DEP_1) | instskip(NEXT) | instid1(VALU_DEP_1)
	v_mul_f32_e32 v3, v2, v1
	v_fma_f32 v4, -v0, v3, v2
	s_delay_alu instid0(VALU_DEP_1) | instskip(NEXT) | instid1(VALU_DEP_1)
	v_fmac_f32_e32 v3, v4, v1
	v_fma_f32 v0, -v0, v3, v2
	s_delay_alu instid0(VALU_DEP_1) | instskip(NEXT) | instid1(VALU_DEP_1)
	v_div_fmas_f32 v0, v0, v1, v3
	v_div_fixup_f32 v2, v0, v32, 1.0
.LBB52_320:
	scratch_load_b32 v0, off, off offset:56 ; 4-byte Folded Reload
	v_cvt_f32_f16_e32 v5, v100
	s_waitcnt vmcnt(0)
	v_add_nc_u32_e32 v0, s2, v0
	s_delay_alu instid0(VALU_DEP_1) | instskip(SKIP_1) | instid1(VALU_DEP_2)
	v_mad_u64_u32 v[3:4], null, v0, s11, s[34:35]
	v_mov_b32_e32 v4, 0
	v_mad_u64_u32 v[0:1], null, s1, v3, s[14:15]
	v_lshrrev_b32_e32 v1, 16, v100
	s_delay_alu instid0(VALU_DEP_1) | instskip(SKIP_1) | instid1(VALU_DEP_4)
	v_cvt_f32_f16_e32 v6, v1
	v_mul_f32_e32 v1, v2, v5
	v_lshl_add_u32 v3, v0, 6, v108
	s_delay_alu instid0(VALU_DEP_3) | instskip(NEXT) | instid1(VALU_DEP_2)
	v_mul_f32_e32 v2, v2, v6
	v_lshlrev_b64 v[3:4], 2, v[3:4]
	s_delay_alu instid0(VALU_DEP_1) | instskip(NEXT) | instid1(VALU_DEP_2)
	v_add_co_u32 v3, vcc_lo, s28, v3
	v_add_co_ci_u32_e32 v4, vcc_lo, s29, v4, vcc_lo
	global_store_b64 v[3:4], v[1:2], off
	s_and_b32 exec_lo, exec_lo, s0
	s_cbranch_execz .LBB52_322
; %bb.321:
	v_ashrrev_i32_e32 v1, 31, v0
	v_mov_b32_e32 v31, v15
	s_delay_alu instid0(VALU_DEP_2) | instskip(NEXT) | instid1(VALU_DEP_1)
	v_lshlrev_b64 v[0:1], 3, v[0:1]
	v_add_co_u32 v0, vcc_lo, s30, v0
	s_delay_alu instid0(VALU_DEP_2)
	v_add_co_ci_u32_e32 v1, vcc_lo, s31, v1, vcc_lo
	global_store_b64 v[0:1], v[31:32], off
.LBB52_322:
	s_nop 0
	s_sendmsg sendmsg(MSG_DEALLOC_VGPRS)
	s_endpgm
	.section	.rodata,"a",@progbits
	.p2align	6, 0x0
	.amdhsa_kernel _ZL15flash_attn_tileILi64ELi64ELi64ELi1ELb0EEvPKcS1_S1_S1_S1_PKiPfP15HIP_vector_typeIfLj2EEffffjfiS5_IjLj3EEiiiiiiiiiiiliiliiiiil
		.amdhsa_group_segment_fixed_size 25600
		.amdhsa_private_segment_fixed_size 64
		.amdhsa_kernarg_size 464
		.amdhsa_user_sgpr_count 13
		.amdhsa_user_sgpr_dispatch_ptr 0
		.amdhsa_user_sgpr_queue_ptr 0
		.amdhsa_user_sgpr_kernarg_segment_ptr 1
		.amdhsa_user_sgpr_dispatch_id 0
		.amdhsa_user_sgpr_private_segment_size 0
		.amdhsa_wavefront_size32 1
		.amdhsa_uses_dynamic_stack 0
		.amdhsa_enable_private_segment 1
		.amdhsa_system_sgpr_workgroup_id_x 1
		.amdhsa_system_sgpr_workgroup_id_y 1
		.amdhsa_system_sgpr_workgroup_id_z 1
		.amdhsa_system_sgpr_workgroup_info 0
		.amdhsa_system_vgpr_workitem_id 1
		.amdhsa_next_free_vgpr 256
		.amdhsa_next_free_sgpr 72
		.amdhsa_reserve_vcc 1
		.amdhsa_float_round_mode_32 0
		.amdhsa_float_round_mode_16_64 0
		.amdhsa_float_denorm_mode_32 3
		.amdhsa_float_denorm_mode_16_64 3
		.amdhsa_dx10_clamp 1
		.amdhsa_ieee_mode 1
		.amdhsa_fp16_overflow 0
		.amdhsa_workgroup_processor_mode 1
		.amdhsa_memory_ordered 1
		.amdhsa_forward_progress 0
		.amdhsa_shared_vgpr_count 0
		.amdhsa_exception_fp_ieee_invalid_op 0
		.amdhsa_exception_fp_denorm_src 0
		.amdhsa_exception_fp_ieee_div_zero 0
		.amdhsa_exception_fp_ieee_overflow 0
		.amdhsa_exception_fp_ieee_underflow 0
		.amdhsa_exception_fp_ieee_inexact 0
		.amdhsa_exception_int_div_zero 0
	.end_amdhsa_kernel
	.section	.text._ZL15flash_attn_tileILi64ELi64ELi64ELi1ELb0EEvPKcS1_S1_S1_S1_PKiPfP15HIP_vector_typeIfLj2EEffffjfiS5_IjLj3EEiiiiiiiiiiiliiliiiiil,"axG",@progbits,_ZL15flash_attn_tileILi64ELi64ELi64ELi1ELb0EEvPKcS1_S1_S1_S1_PKiPfP15HIP_vector_typeIfLj2EEffffjfiS5_IjLj3EEiiiiiiiiiiiliiliiiiil,comdat
.Lfunc_end52:
	.size	_ZL15flash_attn_tileILi64ELi64ELi64ELi1ELb0EEvPKcS1_S1_S1_S1_PKiPfP15HIP_vector_typeIfLj2EEffffjfiS5_IjLj3EEiiiiiiiiiiiliiliiiiil, .Lfunc_end52-_ZL15flash_attn_tileILi64ELi64ELi64ELi1ELb0EEvPKcS1_S1_S1_S1_PKiPfP15HIP_vector_typeIfLj2EEffffjfiS5_IjLj3EEiiiiiiiiiiiliiliiiiil
                                        ; -- End function
	.section	.AMDGPU.csdata,"",@progbits
; Kernel info:
; codeLenInByte = 105096
; NumSgprs: 74
; NumVgprs: 256
; ScratchSize: 64
; MemoryBound: 0
; FloatMode: 240
; IeeeMode: 1
; LDSByteSize: 25600 bytes/workgroup (compile time only)
; SGPRBlocks: 9
; VGPRBlocks: 31
; NumSGPRsForWavesPerEU: 74
; NumVGPRsForWavesPerEU: 256
; Occupancy: 5
; WaveLimiterHint : 0
; COMPUTE_PGM_RSRC2:SCRATCH_EN: 1
; COMPUTE_PGM_RSRC2:USER_SGPR: 13
; COMPUTE_PGM_RSRC2:TRAP_HANDLER: 0
; COMPUTE_PGM_RSRC2:TGID_X_EN: 1
; COMPUTE_PGM_RSRC2:TGID_Y_EN: 1
; COMPUTE_PGM_RSRC2:TGID_Z_EN: 1
; COMPUTE_PGM_RSRC2:TIDIG_COMP_CNT: 1
	.section	.text._ZL25flash_attn_mask_to_KV_maxILi64EEvPK7__half2Piiii,"axG",@progbits,_ZL25flash_attn_mask_to_KV_maxILi64EEvPK7__half2Piiii,comdat
	.globl	_ZL25flash_attn_mask_to_KV_maxILi64EEvPK7__half2Piiii ; -- Begin function _ZL25flash_attn_mask_to_KV_maxILi64EEvPK7__half2Piiii
	.p2align	8
	.type	_ZL25flash_attn_mask_to_KV_maxILi64EEvPK7__half2Piiii,@function
_ZL25flash_attn_mask_to_KV_maxILi64EEvPK7__half2Piiii: ; @_ZL25flash_attn_mask_to_KV_maxILi64EEvPK7__half2Piiii
; %bb.0:
	s_load_b128 s[4:7], s[0:1], 0x0
	s_mov_b32 s2, exec_lo
	v_cmpx_gt_u32_e32 32, v0
	s_cbranch_execz .LBB53_2
; %bb.1:
	v_dual_mov_b32 v2, 1 :: v_dual_lshlrev_b32 v1, 2, v0
	ds_store_b32 v1, v2
.LBB53_2:
	s_or_b32 exec_lo, exec_lo, s2
	s_clause 0x1
	s_load_b128 s[8:11], s[0:1], 0x10
	s_load_b32 s1, s[0:1], 0x20
	v_dual_mov_b32 v2, 0 :: v_dual_and_b32 v1, 31, v0
	v_lshrrev_b32_e32 v5, 3, v0
	s_waitcnt lgkmcnt(0)
	s_barrier
	s_delay_alu instid0(VALU_DEP_2) | instskip(SKIP_4) | instid1(SALU_CYCLE_1)
	v_lshlrev_b32_e32 v6, 2, v1
	buffer_gl0_inv
	s_mul_i32 s0, s14, s9
	s_mul_i32 s2, s15, s10
	s_lshl_b32 s0, s0, 6
	s_add_i32 s2, s2, s0
	v_cmp_eq_u32_e64 s0, 0, v1
	s_ashr_i32 s3, s2, 31
	s_delay_alu instid0(SALU_CYCLE_1) | instskip(NEXT) | instid1(SALU_CYCLE_1)
	s_lshl_b64 s[10:11], s[2:3], 2
	s_add_u32 s3, s4, s10
	s_addc_u32 s4, s5, s11
	s_lshl_b32 s5, s8, 8
	s_branch .LBB53_4
.LBB53_3:                               ;   in Loop: Header=BB53_4 Depth=1
	s_or_b32 exec_lo, exec_lo, s10
	s_waitcnt lgkmcnt(0)
	s_barrier
	buffer_gl0_inv
	ds_load_b32 v1, v6
	s_waitcnt lgkmcnt(0)
	s_barrier
	buffer_gl0_inv
	;;#ASMSTART
	;;#ASMEND
	v_cmp_ne_u32_e32 vcc_lo, 0, v1
	s_cmp_lg_u32 vcc_lo, exec_lo
	s_cselect_b32 s8, -1, 0
	s_delay_alu instid0(SALU_CYCLE_1)
	s_and_b32 vcc_lo, exec_lo, s8
	s_cbranch_vccnz .LBB53_260
.LBB53_4:                               ; =>This Inner Loop Header: Depth=1
	s_mov_b32 s2, s5
	s_addk_i32 s5, 0xff00
	s_delay_alu instid0(SALU_CYCLE_1)
	s_cmp_lt_i32 s5, 0
	s_cbranch_scc1 .LBB53_259
; %bb.5:                                ;   in Loop: Header=BB53_4 Depth=1
	s_lshr_b32 s8, s5, 1
	s_mov_b32 s10, 0
	v_add_nc_u32_e32 v1, s8, v0
	s_delay_alu instid0(VALU_DEP_1) | instskip(NEXT) | instid1(VALU_DEP_1)
	v_lshlrev_b64 v[3:4], 2, v[1:2]
	v_add_co_u32 v3, vcc_lo, s3, v3
	s_delay_alu instid0(VALU_DEP_2) | instskip(SKIP_4) | instid1(VALU_DEP_2)
	v_add_co_ci_u32_e32 v4, vcc_lo, s4, v4, vcc_lo
	global_load_b32 v3, v[3:4], off
	s_waitcnt vmcnt(0)
	v_lshrrev_b32_e32 v4, 16, v3
	v_cmp_class_f16_e64 s8, v3, 0x204
	v_and_b32_e32 v4, 0x7fff, v4
	s_delay_alu instid0(VALU_DEP_1) | instskip(NEXT) | instid1(VALU_DEP_3)
	v_cmp_eq_f16_e32 vcc_lo, 0x7c00, v4
	s_and_b32 s11, s8, vcc_lo
	s_delay_alu instid0(SALU_CYCLE_1)
	s_and_saveexec_b32 s8, s11
	s_cbranch_execz .LBB53_257
; %bb.6:                                ;   in Loop: Header=BB53_4 Depth=1
	v_add_nc_u32_e32 v3, s9, v1
	s_mov_b32 s11, 0
	s_delay_alu instid0(VALU_DEP_1) | instskip(NEXT) | instid1(VALU_DEP_1)
	v_ashrrev_i32_e32 v4, 31, v3
	v_lshlrev_b64 v[7:8], 2, v[3:4]
	s_delay_alu instid0(VALU_DEP_1) | instskip(NEXT) | instid1(VALU_DEP_2)
	v_add_co_u32 v7, vcc_lo, s3, v7
	v_add_co_ci_u32_e32 v8, vcc_lo, s4, v8, vcc_lo
	global_load_b32 v1, v[7:8], off
	s_waitcnt vmcnt(0)
	v_cmp_class_f16_e64 s12, v1, 0x204
	s_delay_alu instid0(VALU_DEP_1)
	s_and_saveexec_b32 s10, s12
	s_cbranch_execz .LBB53_256
; %bb.7:                                ;   in Loop: Header=BB53_4 Depth=1
	v_lshrrev_b32_e32 v1, 16, v1
	s_mov_b32 s12, 0
	s_delay_alu instid0(VALU_DEP_1) | instskip(NEXT) | instid1(VALU_DEP_1)
	v_cmp_class_f16_e64 s13, v1, 0x204
	s_and_saveexec_b32 s11, s13
	s_cbranch_execz .LBB53_255
; %bb.8:                                ;   in Loop: Header=BB53_4 Depth=1
	v_add_nc_u32_e32 v3, s9, v3
	s_mov_b32 s13, 0
	s_delay_alu instid0(VALU_DEP_1) | instskip(NEXT) | instid1(VALU_DEP_1)
	v_ashrrev_i32_e32 v4, 31, v3
	v_lshlrev_b64 v[7:8], 2, v[3:4]
	s_delay_alu instid0(VALU_DEP_1) | instskip(NEXT) | instid1(VALU_DEP_2)
	v_add_co_u32 v7, vcc_lo, s3, v7
	v_add_co_ci_u32_e32 v8, vcc_lo, s4, v8, vcc_lo
	global_load_b32 v1, v[7:8], off
	s_waitcnt vmcnt(0)
	v_cmp_class_f16_e64 s16, v1, 0x204
	s_delay_alu instid0(VALU_DEP_1)
	s_and_saveexec_b32 s12, s16
	s_cbranch_execz .LBB53_254
; %bb.9:                                ;   in Loop: Header=BB53_4 Depth=1
	v_lshrrev_b32_e32 v1, 16, v1
	s_mov_b32 s16, 0
	s_delay_alu instid0(VALU_DEP_1) | instskip(NEXT) | instid1(VALU_DEP_1)
	v_cmp_class_f16_e64 s17, v1, 0x204
	s_and_saveexec_b32 s13, s17
	s_cbranch_execz .LBB53_253
; %bb.10:                               ;   in Loop: Header=BB53_4 Depth=1
	v_add_nc_u32_e32 v3, s9, v3
	s_mov_b32 s17, 0
	s_delay_alu instid0(VALU_DEP_1) | instskip(NEXT) | instid1(VALU_DEP_1)
	v_ashrrev_i32_e32 v4, 31, v3
	v_lshlrev_b64 v[7:8], 2, v[3:4]
	s_delay_alu instid0(VALU_DEP_1) | instskip(NEXT) | instid1(VALU_DEP_2)
	v_add_co_u32 v7, vcc_lo, s3, v7
	v_add_co_ci_u32_e32 v8, vcc_lo, s4, v8, vcc_lo
	global_load_b32 v1, v[7:8], off
	s_waitcnt vmcnt(0)
	v_cmp_class_f16_e64 s18, v1, 0x204
	s_delay_alu instid0(VALU_DEP_1)
	s_and_saveexec_b32 s16, s18
	s_cbranch_execz .LBB53_252
; %bb.11:                               ;   in Loop: Header=BB53_4 Depth=1
	v_lshrrev_b32_e32 v1, 16, v1
	s_mov_b32 s18, 0
	s_delay_alu instid0(VALU_DEP_1) | instskip(NEXT) | instid1(VALU_DEP_1)
	v_cmp_class_f16_e64 s19, v1, 0x204
	s_and_saveexec_b32 s17, s19
	s_cbranch_execz .LBB53_251
; %bb.12:                               ;   in Loop: Header=BB53_4 Depth=1
	v_add_nc_u32_e32 v3, s9, v3
	s_mov_b32 s19, 0
	s_delay_alu instid0(VALU_DEP_1) | instskip(NEXT) | instid1(VALU_DEP_1)
	v_ashrrev_i32_e32 v4, 31, v3
	v_lshlrev_b64 v[7:8], 2, v[3:4]
	s_delay_alu instid0(VALU_DEP_1) | instskip(NEXT) | instid1(VALU_DEP_2)
	v_add_co_u32 v7, vcc_lo, s3, v7
	v_add_co_ci_u32_e32 v8, vcc_lo, s4, v8, vcc_lo
	global_load_b32 v1, v[7:8], off
	s_waitcnt vmcnt(0)
	v_cmp_class_f16_e64 s20, v1, 0x204
	s_delay_alu instid0(VALU_DEP_1)
	s_and_saveexec_b32 s18, s20
	s_cbranch_execz .LBB53_250
; %bb.13:                               ;   in Loop: Header=BB53_4 Depth=1
	;; [unrolled: 22-line block ×24, first 2 shown]
	v_lshrrev_b32_e32 v1, 16, v1
	s_mov_b32 s65, 0
	s_delay_alu instid0(VALU_DEP_1) | instskip(NEXT) | instid1(VALU_DEP_1)
	v_cmp_class_f16_e64 s66, v1, 0x204
	s_and_saveexec_b32 s64, s66
	s_cbranch_execz .LBB53_205
; %bb.58:                               ;   in Loop: Header=BB53_4 Depth=1
	v_add_nc_u32_e32 v3, s9, v3
	s_delay_alu instid0(VALU_DEP_1) | instskip(NEXT) | instid1(VALU_DEP_1)
	v_ashrrev_i32_e32 v4, 31, v3
	v_lshlrev_b64 v[7:8], 2, v[3:4]
	s_delay_alu instid0(VALU_DEP_1) | instskip(NEXT) | instid1(VALU_DEP_2)
	v_add_co_u32 v7, vcc_lo, s3, v7
	v_add_co_ci_u32_e32 v8, vcc_lo, s4, v8, vcc_lo
	global_load_b32 v1, v[7:8], off
	s_waitcnt vmcnt(0)
	v_cmp_class_f16_e64 s66, v1, 0x204
	s_mov_b32 s67, exec_lo
	s_delay_alu instid0(VALU_DEP_1) | instid1(SALU_CYCLE_1)
	s_and_b32 s66, s67, s66
                                        ; implicit-def: $vgpr10 : SGPR spill to VGPR lane
	v_writelane_b32 v10, s67, 0
	s_mov_b32 exec_lo, s66
	s_cbranch_execz .LBB53_204
; %bb.59:                               ;   in Loop: Header=BB53_4 Depth=1
	v_lshrrev_b32_e32 v1, 16, v1
	s_delay_alu instid0(VALU_DEP_1)
	v_cmp_class_f16_e64 s66, v1, 0x204
	s_mov_b32 s67, exec_lo
	s_delay_alu instid0(VALU_DEP_1) | instid1(SALU_CYCLE_1)
	s_and_b32 s66, s67, s66
	v_writelane_b32 v10, s67, 1
	s_mov_b32 exec_lo, s66
	s_cbranch_execz .LBB53_203
; %bb.60:                               ;   in Loop: Header=BB53_4 Depth=1
	v_add_nc_u32_e32 v3, s9, v3
	s_delay_alu instid0(VALU_DEP_1) | instskip(NEXT) | instid1(VALU_DEP_1)
	v_ashrrev_i32_e32 v4, 31, v3
	v_lshlrev_b64 v[7:8], 2, v[3:4]
	s_delay_alu instid0(VALU_DEP_1) | instskip(NEXT) | instid1(VALU_DEP_2)
	v_add_co_u32 v7, vcc_lo, s3, v7
	v_add_co_ci_u32_e32 v8, vcc_lo, s4, v8, vcc_lo
	global_load_b32 v1, v[7:8], off
	s_waitcnt vmcnt(0)
	v_cmp_class_f16_e64 s66, v1, 0x204
	s_mov_b32 s67, exec_lo
	s_delay_alu instid0(VALU_DEP_1) | instid1(SALU_CYCLE_1)
	s_and_b32 s66, s67, s66
	v_writelane_b32 v10, s67, 2
	s_mov_b32 exec_lo, s66
	s_cbranch_execz .LBB53_202
; %bb.61:                               ;   in Loop: Header=BB53_4 Depth=1
	v_lshrrev_b32_e32 v1, 16, v1
	s_delay_alu instid0(VALU_DEP_1)
	v_cmp_class_f16_e64 s66, v1, 0x204
	s_mov_b32 s67, exec_lo
	s_delay_alu instid0(VALU_DEP_1) | instid1(SALU_CYCLE_1)
	s_and_b32 s66, s67, s66
	v_writelane_b32 v10, s67, 3
	s_mov_b32 exec_lo, s66
	s_cbranch_execz .LBB53_201
; %bb.62:                               ;   in Loop: Header=BB53_4 Depth=1
	v_add_nc_u32_e32 v3, s9, v3
	s_delay_alu instid0(VALU_DEP_1) | instskip(NEXT) | instid1(VALU_DEP_1)
	v_ashrrev_i32_e32 v4, 31, v3
	v_lshlrev_b64 v[7:8], 2, v[3:4]
	s_delay_alu instid0(VALU_DEP_1) | instskip(NEXT) | instid1(VALU_DEP_2)
	v_add_co_u32 v7, vcc_lo, s3, v7
	v_add_co_ci_u32_e32 v8, vcc_lo, s4, v8, vcc_lo
	global_load_b32 v1, v[7:8], off
	s_waitcnt vmcnt(0)
	v_cmp_class_f16_e64 s66, v1, 0x204
	s_mov_b32 s67, exec_lo
	s_delay_alu instid0(VALU_DEP_1) | instid1(SALU_CYCLE_1)
	s_and_b32 s66, s67, s66
	;; [unrolled: 27-line block ×16, first 2 shown]
                                        ; implicit-def: $vgpr9 : SGPR spill to VGPR lane
	v_writelane_b32 v9, s67, 0
	s_mov_b32 exec_lo, s66
	s_cbranch_execz .LBB53_172
; %bb.91:                               ;   in Loop: Header=BB53_4 Depth=1
	v_lshrrev_b32_e32 v1, 16, v1
	s_delay_alu instid0(VALU_DEP_1) | instskip(NEXT) | instid1(VALU_DEP_1)
	v_cmp_class_f16_e64 s66, v1, 0x204
	s_and_saveexec_b32 s98, s66
	s_cbranch_execz .LBB53_171
; %bb.92:                               ;   in Loop: Header=BB53_4 Depth=1
	v_add_nc_u32_e32 v3, s9, v3
	s_delay_alu instid0(VALU_DEP_1) | instskip(NEXT) | instid1(VALU_DEP_1)
	v_ashrrev_i32_e32 v4, 31, v3
	v_lshlrev_b64 v[7:8], 2, v[3:4]
	s_delay_alu instid0(VALU_DEP_1) | instskip(NEXT) | instid1(VALU_DEP_2)
	v_add_co_u32 v7, vcc_lo, s3, v7
	v_add_co_ci_u32_e32 v8, vcc_lo, s4, v8, vcc_lo
	global_load_b32 v1, v[7:8], off
	s_waitcnt vmcnt(0)
	v_cmp_class_f16_e64 s66, v1, 0x204
	s_delay_alu instid0(VALU_DEP_1)
	s_and_saveexec_b32 s99, s66
	s_cbranch_execz .LBB53_170
; %bb.93:                               ;   in Loop: Header=BB53_4 Depth=1
	v_lshrrev_b32_e32 v1, 16, v1
	s_delay_alu instid0(VALU_DEP_1) | instskip(NEXT) | instid1(VALU_DEP_1)
	v_cmp_class_f16_e64 s66, v1, 0x204
	s_and_saveexec_b32 s100, s66
	s_cbranch_execz .LBB53_169
; %bb.94:                               ;   in Loop: Header=BB53_4 Depth=1
	v_add_nc_u32_e32 v3, s9, v3
	s_delay_alu instid0(VALU_DEP_1) | instskip(NEXT) | instid1(VALU_DEP_1)
	v_ashrrev_i32_e32 v4, 31, v3
	v_lshlrev_b64 v[7:8], 2, v[3:4]
	s_delay_alu instid0(VALU_DEP_1) | instskip(NEXT) | instid1(VALU_DEP_2)
	v_add_co_u32 v7, vcc_lo, s3, v7
	v_add_co_ci_u32_e32 v8, vcc_lo, s4, v8, vcc_lo
	global_load_b32 v1, v[7:8], off
	s_waitcnt vmcnt(0)
	v_cmp_class_f16_e64 s66, v1, 0x204
	s_delay_alu instid0(VALU_DEP_1)
	s_and_saveexec_b32 s101, s66
	;; [unrolled: 20-line block ×3, first 2 shown]
	s_cbranch_execz .LBB53_166
; %bb.97:                               ;   in Loop: Header=BB53_4 Depth=1
	v_lshrrev_b32_e32 v1, 16, v1
	s_delay_alu instid0(VALU_DEP_1) | instskip(NEXT) | instid1(VALU_DEP_1)
	v_cmp_class_f16_e64 s66, v1, 0x204
	s_and_saveexec_b32 s104, s66
	s_cbranch_execz .LBB53_165
; %bb.98:                               ;   in Loop: Header=BB53_4 Depth=1
	v_add_nc_u32_e32 v3, s9, v3
	s_delay_alu instid0(VALU_DEP_1) | instskip(NEXT) | instid1(VALU_DEP_1)
	v_ashrrev_i32_e32 v4, 31, v3
	v_lshlrev_b64 v[7:8], 2, v[3:4]
	s_delay_alu instid0(VALU_DEP_1) | instskip(NEXT) | instid1(VALU_DEP_2)
	v_add_co_u32 v7, vcc_lo, s3, v7
	v_add_co_ci_u32_e32 v8, vcc_lo, s4, v8, vcc_lo
	global_load_b32 v1, v[7:8], off
	s_waitcnt vmcnt(0)
	v_cmp_class_f16_e64 s66, v1, 0x204
	s_delay_alu instid0(VALU_DEP_1)
	s_and_saveexec_b32 vcc_hi, s66
	s_cbranch_execz .LBB53_164
; %bb.99:                               ;   in Loop: Header=BB53_4 Depth=1
	v_lshrrev_b32_e32 v1, 16, v1
	s_mov_b32 s66, 0
	s_delay_alu instid0(VALU_DEP_1) | instskip(NEXT) | instid1(VALU_DEP_1)
	v_cmp_class_f16_e64 s67, v1, 0x204
	s_and_saveexec_b32 s65, s67
	s_cbranch_execz .LBB53_163
; %bb.100:                              ;   in Loop: Header=BB53_4 Depth=1
	v_add_nc_u32_e32 v3, s9, v3
	s_mov_b32 s67, 0
	s_delay_alu instid0(VALU_DEP_1) | instskip(NEXT) | instid1(VALU_DEP_1)
	v_ashrrev_i32_e32 v4, 31, v3
	v_lshlrev_b64 v[7:8], 2, v[3:4]
	s_delay_alu instid0(VALU_DEP_1) | instskip(NEXT) | instid1(VALU_DEP_2)
	v_add_co_u32 v7, vcc_lo, s3, v7
	v_add_co_ci_u32_e32 v8, vcc_lo, s4, v8, vcc_lo
	global_load_b32 v1, v[7:8], off
	s_waitcnt vmcnt(0)
	v_cmp_class_f16_e64 s68, v1, 0x204
	s_delay_alu instid0(VALU_DEP_1)
	s_and_saveexec_b32 s66, s68
	s_cbranch_execz .LBB53_162
; %bb.101:                              ;   in Loop: Header=BB53_4 Depth=1
	v_lshrrev_b32_e32 v1, 16, v1
	s_mov_b32 s68, 0
	s_delay_alu instid0(VALU_DEP_1) | instskip(NEXT) | instid1(VALU_DEP_1)
	v_cmp_class_f16_e64 s69, v1, 0x204
	s_and_saveexec_b32 s67, s69
	s_cbranch_execz .LBB53_161
; %bb.102:                              ;   in Loop: Header=BB53_4 Depth=1
	v_add_nc_u32_e32 v3, s9, v3
	s_mov_b32 s69, 0
	s_delay_alu instid0(VALU_DEP_1) | instskip(NEXT) | instid1(VALU_DEP_1)
	v_ashrrev_i32_e32 v4, 31, v3
	v_lshlrev_b64 v[7:8], 2, v[3:4]
	s_delay_alu instid0(VALU_DEP_1) | instskip(NEXT) | instid1(VALU_DEP_2)
	v_add_co_u32 v7, vcc_lo, s3, v7
	v_add_co_ci_u32_e32 v8, vcc_lo, s4, v8, vcc_lo
	global_load_b32 v1, v[7:8], off
	s_waitcnt vmcnt(0)
	v_cmp_class_f16_e64 s70, v1, 0x204
	s_delay_alu instid0(VALU_DEP_1)
	s_and_saveexec_b32 s68, s70
	s_cbranch_execz .LBB53_160
; %bb.103:                              ;   in Loop: Header=BB53_4 Depth=1
	;; [unrolled: 22-line block ×15, first 2 shown]
	v_lshrrev_b32_e32 v1, 16, v1
	s_mov_b32 vcc_lo, 0
	s_delay_alu instid0(VALU_DEP_1) | instskip(NEXT) | instid1(VALU_DEP_1)
	v_cmp_class_f16_e64 s96, v1, 0x204
	s_and_saveexec_b32 s95, s96
	s_cbranch_execz .LBB53_133
; %bb.130:                              ;   in Loop: Header=BB53_4 Depth=1
	v_add_nc_u32_e32 v3, s9, v3
	s_delay_alu instid0(VALU_DEP_1) | instskip(NEXT) | instid1(VALU_DEP_1)
	v_ashrrev_i32_e32 v4, 31, v3
	v_lshlrev_b64 v[3:4], 2, v[3:4]
	s_delay_alu instid0(VALU_DEP_1) | instskip(NEXT) | instid1(VALU_DEP_2)
	v_add_co_u32 v3, vcc_lo, s3, v3
	v_add_co_ci_u32_e32 v4, vcc_lo, s4, v4, vcc_lo
	s_mov_b32 vcc_lo, 0
	global_load_b32 v1, v[3:4], off
	s_waitcnt vmcnt(0)
	v_cmp_class_f16_e64 s97, v1, 0x204
	s_delay_alu instid0(VALU_DEP_1)
	s_and_saveexec_b32 s96, s97
; %bb.131:                              ;   in Loop: Header=BB53_4 Depth=1
	v_lshrrev_b32_e32 v1, 16, v1
	s_delay_alu instid0(VALU_DEP_1) | instskip(NEXT) | instid1(VALU_DEP_1)
	v_cmp_class_f16_e64 s97, v1, 0x204
	s_and_b32 vcc_lo, s97, exec_lo
; %bb.132:                              ;   in Loop: Header=BB53_4 Depth=1
	s_or_b32 exec_lo, exec_lo, s96
	s_delay_alu instid0(SALU_CYCLE_1)
	s_and_b32 vcc_lo, vcc_lo, exec_lo
.LBB53_133:                             ;   in Loop: Header=BB53_4 Depth=1
	s_or_b32 exec_lo, exec_lo, s95
	s_delay_alu instid0(SALU_CYCLE_1)
	s_and_b32 s95, vcc_lo, exec_lo
.LBB53_134:                             ;   in Loop: Header=BB53_4 Depth=1
	s_or_b32 exec_lo, exec_lo, s94
	s_delay_alu instid0(SALU_CYCLE_1)
	s_and_b32 s94, s95, exec_lo
.LBB53_135:                             ;   in Loop: Header=BB53_4 Depth=1
	s_or_b32 exec_lo, exec_lo, s93
	s_delay_alu instid0(SALU_CYCLE_1)
	s_and_b32 s93, s94, exec_lo
.LBB53_136:                             ;   in Loop: Header=BB53_4 Depth=1
	s_or_b32 exec_lo, exec_lo, s92
	s_delay_alu instid0(SALU_CYCLE_1)
	s_and_b32 s92, s93, exec_lo
.LBB53_137:                             ;   in Loop: Header=BB53_4 Depth=1
	s_or_b32 exec_lo, exec_lo, s91
	s_delay_alu instid0(SALU_CYCLE_1)
	s_and_b32 s91, s92, exec_lo
.LBB53_138:                             ;   in Loop: Header=BB53_4 Depth=1
	s_or_b32 exec_lo, exec_lo, s90
	s_delay_alu instid0(SALU_CYCLE_1)
	s_and_b32 s90, s91, exec_lo
.LBB53_139:                             ;   in Loop: Header=BB53_4 Depth=1
	s_or_b32 exec_lo, exec_lo, s89
	s_delay_alu instid0(SALU_CYCLE_1)
	s_and_b32 s89, s90, exec_lo
.LBB53_140:                             ;   in Loop: Header=BB53_4 Depth=1
	s_or_b32 exec_lo, exec_lo, s88
	s_delay_alu instid0(SALU_CYCLE_1)
	s_and_b32 s88, s89, exec_lo
.LBB53_141:                             ;   in Loop: Header=BB53_4 Depth=1
	s_or_b32 exec_lo, exec_lo, s87
	s_delay_alu instid0(SALU_CYCLE_1)
	s_and_b32 s87, s88, exec_lo
.LBB53_142:                             ;   in Loop: Header=BB53_4 Depth=1
	s_or_b32 exec_lo, exec_lo, s86
	s_delay_alu instid0(SALU_CYCLE_1)
	s_and_b32 s86, s87, exec_lo
.LBB53_143:                             ;   in Loop: Header=BB53_4 Depth=1
	s_or_b32 exec_lo, exec_lo, s85
	s_delay_alu instid0(SALU_CYCLE_1)
	s_and_b32 s85, s86, exec_lo
.LBB53_144:                             ;   in Loop: Header=BB53_4 Depth=1
	s_or_b32 exec_lo, exec_lo, s84
	s_delay_alu instid0(SALU_CYCLE_1)
	s_and_b32 s84, s85, exec_lo
.LBB53_145:                             ;   in Loop: Header=BB53_4 Depth=1
	s_or_b32 exec_lo, exec_lo, s83
	s_delay_alu instid0(SALU_CYCLE_1)
	s_and_b32 s83, s84, exec_lo
.LBB53_146:                             ;   in Loop: Header=BB53_4 Depth=1
	s_or_b32 exec_lo, exec_lo, s82
	s_delay_alu instid0(SALU_CYCLE_1)
	s_and_b32 s82, s83, exec_lo
.LBB53_147:                             ;   in Loop: Header=BB53_4 Depth=1
	s_or_b32 exec_lo, exec_lo, s81
	s_delay_alu instid0(SALU_CYCLE_1)
	s_and_b32 s81, s82, exec_lo
.LBB53_148:                             ;   in Loop: Header=BB53_4 Depth=1
	s_or_b32 exec_lo, exec_lo, s80
	s_delay_alu instid0(SALU_CYCLE_1)
	s_and_b32 s80, s81, exec_lo
.LBB53_149:                             ;   in Loop: Header=BB53_4 Depth=1
	s_or_b32 exec_lo, exec_lo, s79
	s_delay_alu instid0(SALU_CYCLE_1)
	s_and_b32 s79, s80, exec_lo
.LBB53_150:                             ;   in Loop: Header=BB53_4 Depth=1
	s_or_b32 exec_lo, exec_lo, s78
	s_delay_alu instid0(SALU_CYCLE_1)
	s_and_b32 s78, s79, exec_lo
.LBB53_151:                             ;   in Loop: Header=BB53_4 Depth=1
	s_or_b32 exec_lo, exec_lo, s77
	s_delay_alu instid0(SALU_CYCLE_1)
	s_and_b32 s77, s78, exec_lo
.LBB53_152:                             ;   in Loop: Header=BB53_4 Depth=1
	s_or_b32 exec_lo, exec_lo, s76
	s_delay_alu instid0(SALU_CYCLE_1)
	s_and_b32 s76, s77, exec_lo
.LBB53_153:                             ;   in Loop: Header=BB53_4 Depth=1
	s_or_b32 exec_lo, exec_lo, s75
	s_delay_alu instid0(SALU_CYCLE_1)
	s_and_b32 s75, s76, exec_lo
.LBB53_154:                             ;   in Loop: Header=BB53_4 Depth=1
	s_or_b32 exec_lo, exec_lo, s74
	s_delay_alu instid0(SALU_CYCLE_1)
	s_and_b32 s74, s75, exec_lo
.LBB53_155:                             ;   in Loop: Header=BB53_4 Depth=1
	s_or_b32 exec_lo, exec_lo, s73
	s_delay_alu instid0(SALU_CYCLE_1)
	s_and_b32 s73, s74, exec_lo
.LBB53_156:                             ;   in Loop: Header=BB53_4 Depth=1
	s_or_b32 exec_lo, exec_lo, s72
	s_delay_alu instid0(SALU_CYCLE_1)
	s_and_b32 s72, s73, exec_lo
.LBB53_157:                             ;   in Loop: Header=BB53_4 Depth=1
	s_or_b32 exec_lo, exec_lo, s71
	s_delay_alu instid0(SALU_CYCLE_1)
	s_and_b32 s71, s72, exec_lo
.LBB53_158:                             ;   in Loop: Header=BB53_4 Depth=1
	s_or_b32 exec_lo, exec_lo, s70
	s_delay_alu instid0(SALU_CYCLE_1)
	s_and_b32 s70, s71, exec_lo
.LBB53_159:                             ;   in Loop: Header=BB53_4 Depth=1
	s_or_b32 exec_lo, exec_lo, s69
	s_delay_alu instid0(SALU_CYCLE_1)
	s_and_b32 s69, s70, exec_lo
.LBB53_160:                             ;   in Loop: Header=BB53_4 Depth=1
	s_or_b32 exec_lo, exec_lo, s68
	s_delay_alu instid0(SALU_CYCLE_1)
	s_and_b32 s68, s69, exec_lo
.LBB53_161:                             ;   in Loop: Header=BB53_4 Depth=1
	s_or_b32 exec_lo, exec_lo, s67
	s_delay_alu instid0(SALU_CYCLE_1)
	s_and_b32 s67, s68, exec_lo
.LBB53_162:                             ;   in Loop: Header=BB53_4 Depth=1
	s_or_b32 exec_lo, exec_lo, s66
	s_delay_alu instid0(SALU_CYCLE_1)
	s_and_b32 s66, s67, exec_lo
.LBB53_163:                             ;   in Loop: Header=BB53_4 Depth=1
	s_or_b32 exec_lo, exec_lo, s65
	s_delay_alu instid0(SALU_CYCLE_1)
	s_and_b32 s65, s66, exec_lo
.LBB53_164:                             ;   in Loop: Header=BB53_4 Depth=1
	s_or_b32 exec_lo, exec_lo, vcc_hi
	s_delay_alu instid0(SALU_CYCLE_1)
	s_and_b32 s65, s65, exec_lo
.LBB53_165:                             ;   in Loop: Header=BB53_4 Depth=1
	s_or_b32 exec_lo, exec_lo, s104
	s_delay_alu instid0(SALU_CYCLE_1)
	s_and_b32 s65, s65, exec_lo
.LBB53_166:                             ;   in Loop: Header=BB53_4 Depth=1
	s_or_b32 exec_lo, exec_lo, s103
	s_delay_alu instid0(SALU_CYCLE_1)
	s_and_b32 s65, s65, exec_lo
.LBB53_167:                             ;   in Loop: Header=BB53_4 Depth=1
	s_or_b32 exec_lo, exec_lo, s102
	s_delay_alu instid0(SALU_CYCLE_1)
	s_and_b32 s65, s65, exec_lo
.LBB53_168:                             ;   in Loop: Header=BB53_4 Depth=1
	s_or_b32 exec_lo, exec_lo, s101
	s_delay_alu instid0(SALU_CYCLE_1)
	s_and_b32 s65, s65, exec_lo
.LBB53_169:                             ;   in Loop: Header=BB53_4 Depth=1
	s_or_b32 exec_lo, exec_lo, s100
	s_delay_alu instid0(SALU_CYCLE_1)
	s_and_b32 s65, s65, exec_lo
.LBB53_170:                             ;   in Loop: Header=BB53_4 Depth=1
	s_or_b32 exec_lo, exec_lo, s99
	s_delay_alu instid0(SALU_CYCLE_1)
	s_and_b32 s65, s65, exec_lo
.LBB53_171:                             ;   in Loop: Header=BB53_4 Depth=1
	s_or_b32 exec_lo, exec_lo, s98
	s_delay_alu instid0(SALU_CYCLE_1)
	s_and_b32 s65, s65, exec_lo
.LBB53_172:                             ;   in Loop: Header=BB53_4 Depth=1
	s_delay_alu instid0(VALU_DEP_1) | instskip(NEXT) | instid1(VALU_DEP_1)
	v_readlane_b32 s66, v9, 0
	s_or_b32 exec_lo, exec_lo, s66
	s_delay_alu instid0(SALU_CYCLE_1)
	s_and_b32 s65, s65, exec_lo
.LBB53_173:                             ;   in Loop: Header=BB53_4 Depth=1
	s_delay_alu instid0(VALU_DEP_1) | instskip(NEXT) | instid1(VALU_DEP_1)
	v_readlane_b32 s66, v10, 31
	s_or_b32 exec_lo, exec_lo, s66
	s_delay_alu instid0(SALU_CYCLE_1)
	s_and_b32 s65, s65, exec_lo
.LBB53_174:                             ;   in Loop: Header=BB53_4 Depth=1
	s_delay_alu instid0(VALU_DEP_1) | instskip(NEXT) | instid1(VALU_DEP_1)
	v_readlane_b32 s66, v10, 30
	s_or_b32 exec_lo, exec_lo, s66
	s_delay_alu instid0(SALU_CYCLE_1)
	s_and_b32 s65, s65, exec_lo
.LBB53_175:                             ;   in Loop: Header=BB53_4 Depth=1
	s_delay_alu instid0(VALU_DEP_1) | instskip(NEXT) | instid1(VALU_DEP_1)
	v_readlane_b32 s66, v10, 29
	s_or_b32 exec_lo, exec_lo, s66
	s_delay_alu instid0(SALU_CYCLE_1)
	s_and_b32 s65, s65, exec_lo
.LBB53_176:                             ;   in Loop: Header=BB53_4 Depth=1
	s_delay_alu instid0(VALU_DEP_1) | instskip(NEXT) | instid1(VALU_DEP_1)
	v_readlane_b32 s66, v10, 28
	s_or_b32 exec_lo, exec_lo, s66
	s_delay_alu instid0(SALU_CYCLE_1)
	s_and_b32 s65, s65, exec_lo
.LBB53_177:                             ;   in Loop: Header=BB53_4 Depth=1
	s_delay_alu instid0(VALU_DEP_1) | instskip(NEXT) | instid1(VALU_DEP_1)
	v_readlane_b32 s66, v10, 27
	s_or_b32 exec_lo, exec_lo, s66
	s_delay_alu instid0(SALU_CYCLE_1)
	s_and_b32 s65, s65, exec_lo
.LBB53_178:                             ;   in Loop: Header=BB53_4 Depth=1
	s_delay_alu instid0(VALU_DEP_1) | instskip(NEXT) | instid1(VALU_DEP_1)
	v_readlane_b32 s66, v10, 26
	s_or_b32 exec_lo, exec_lo, s66
	s_delay_alu instid0(SALU_CYCLE_1)
	s_and_b32 s65, s65, exec_lo
.LBB53_179:                             ;   in Loop: Header=BB53_4 Depth=1
	s_delay_alu instid0(VALU_DEP_1) | instskip(NEXT) | instid1(VALU_DEP_1)
	v_readlane_b32 s66, v10, 25
	s_or_b32 exec_lo, exec_lo, s66
	s_delay_alu instid0(SALU_CYCLE_1)
	s_and_b32 s65, s65, exec_lo
.LBB53_180:                             ;   in Loop: Header=BB53_4 Depth=1
	s_delay_alu instid0(VALU_DEP_1) | instskip(NEXT) | instid1(VALU_DEP_1)
	v_readlane_b32 s66, v10, 24
	s_or_b32 exec_lo, exec_lo, s66
	s_delay_alu instid0(SALU_CYCLE_1)
	s_and_b32 s65, s65, exec_lo
.LBB53_181:                             ;   in Loop: Header=BB53_4 Depth=1
	s_delay_alu instid0(VALU_DEP_1) | instskip(NEXT) | instid1(VALU_DEP_1)
	v_readlane_b32 s66, v10, 23
	s_or_b32 exec_lo, exec_lo, s66
	s_delay_alu instid0(SALU_CYCLE_1)
	s_and_b32 s65, s65, exec_lo
.LBB53_182:                             ;   in Loop: Header=BB53_4 Depth=1
	s_delay_alu instid0(VALU_DEP_1) | instskip(NEXT) | instid1(VALU_DEP_1)
	v_readlane_b32 s66, v10, 22
	s_or_b32 exec_lo, exec_lo, s66
	s_delay_alu instid0(SALU_CYCLE_1)
	s_and_b32 s65, s65, exec_lo
.LBB53_183:                             ;   in Loop: Header=BB53_4 Depth=1
	s_delay_alu instid0(VALU_DEP_1) | instskip(NEXT) | instid1(VALU_DEP_1)
	v_readlane_b32 s66, v10, 21
	s_or_b32 exec_lo, exec_lo, s66
	s_delay_alu instid0(SALU_CYCLE_1)
	s_and_b32 s65, s65, exec_lo
.LBB53_184:                             ;   in Loop: Header=BB53_4 Depth=1
	s_delay_alu instid0(VALU_DEP_1) | instskip(NEXT) | instid1(VALU_DEP_1)
	v_readlane_b32 s66, v10, 20
	s_or_b32 exec_lo, exec_lo, s66
	s_delay_alu instid0(SALU_CYCLE_1)
	s_and_b32 s65, s65, exec_lo
.LBB53_185:                             ;   in Loop: Header=BB53_4 Depth=1
	s_delay_alu instid0(VALU_DEP_1) | instskip(NEXT) | instid1(VALU_DEP_1)
	v_readlane_b32 s66, v10, 19
	s_or_b32 exec_lo, exec_lo, s66
	s_delay_alu instid0(SALU_CYCLE_1)
	s_and_b32 s65, s65, exec_lo
.LBB53_186:                             ;   in Loop: Header=BB53_4 Depth=1
	s_delay_alu instid0(VALU_DEP_1) | instskip(NEXT) | instid1(VALU_DEP_1)
	v_readlane_b32 s66, v10, 18
	s_or_b32 exec_lo, exec_lo, s66
	s_delay_alu instid0(SALU_CYCLE_1)
	s_and_b32 s65, s65, exec_lo
.LBB53_187:                             ;   in Loop: Header=BB53_4 Depth=1
	s_delay_alu instid0(VALU_DEP_1) | instskip(NEXT) | instid1(VALU_DEP_1)
	v_readlane_b32 s66, v10, 17
	s_or_b32 exec_lo, exec_lo, s66
	s_delay_alu instid0(SALU_CYCLE_1)
	s_and_b32 s65, s65, exec_lo
.LBB53_188:                             ;   in Loop: Header=BB53_4 Depth=1
	s_delay_alu instid0(VALU_DEP_1) | instskip(NEXT) | instid1(VALU_DEP_1)
	v_readlane_b32 s66, v10, 16
	s_or_b32 exec_lo, exec_lo, s66
	s_delay_alu instid0(SALU_CYCLE_1)
	s_and_b32 s65, s65, exec_lo
.LBB53_189:                             ;   in Loop: Header=BB53_4 Depth=1
	s_delay_alu instid0(VALU_DEP_1) | instskip(NEXT) | instid1(VALU_DEP_1)
	v_readlane_b32 s66, v10, 15
	s_or_b32 exec_lo, exec_lo, s66
	s_delay_alu instid0(SALU_CYCLE_1)
	s_and_b32 s65, s65, exec_lo
.LBB53_190:                             ;   in Loop: Header=BB53_4 Depth=1
	s_delay_alu instid0(VALU_DEP_1) | instskip(NEXT) | instid1(VALU_DEP_1)
	v_readlane_b32 s66, v10, 14
	s_or_b32 exec_lo, exec_lo, s66
	s_delay_alu instid0(SALU_CYCLE_1)
	s_and_b32 s65, s65, exec_lo
.LBB53_191:                             ;   in Loop: Header=BB53_4 Depth=1
	s_delay_alu instid0(VALU_DEP_1) | instskip(NEXT) | instid1(VALU_DEP_1)
	v_readlane_b32 s66, v10, 13
	s_or_b32 exec_lo, exec_lo, s66
	s_delay_alu instid0(SALU_CYCLE_1)
	s_and_b32 s65, s65, exec_lo
.LBB53_192:                             ;   in Loop: Header=BB53_4 Depth=1
	s_delay_alu instid0(VALU_DEP_1) | instskip(NEXT) | instid1(VALU_DEP_1)
	v_readlane_b32 s66, v10, 12
	s_or_b32 exec_lo, exec_lo, s66
	s_delay_alu instid0(SALU_CYCLE_1)
	s_and_b32 s65, s65, exec_lo
.LBB53_193:                             ;   in Loop: Header=BB53_4 Depth=1
	s_delay_alu instid0(VALU_DEP_1) | instskip(NEXT) | instid1(VALU_DEP_1)
	v_readlane_b32 s66, v10, 11
	s_or_b32 exec_lo, exec_lo, s66
	s_delay_alu instid0(SALU_CYCLE_1)
	s_and_b32 s65, s65, exec_lo
.LBB53_194:                             ;   in Loop: Header=BB53_4 Depth=1
	s_delay_alu instid0(VALU_DEP_1) | instskip(NEXT) | instid1(VALU_DEP_1)
	v_readlane_b32 s66, v10, 10
	s_or_b32 exec_lo, exec_lo, s66
	s_delay_alu instid0(SALU_CYCLE_1)
	s_and_b32 s65, s65, exec_lo
.LBB53_195:                             ;   in Loop: Header=BB53_4 Depth=1
	s_delay_alu instid0(VALU_DEP_1) | instskip(NEXT) | instid1(VALU_DEP_1)
	v_readlane_b32 s66, v10, 9
	s_or_b32 exec_lo, exec_lo, s66
	s_delay_alu instid0(SALU_CYCLE_1)
	s_and_b32 s65, s65, exec_lo
.LBB53_196:                             ;   in Loop: Header=BB53_4 Depth=1
	s_delay_alu instid0(VALU_DEP_1) | instskip(NEXT) | instid1(VALU_DEP_1)
	v_readlane_b32 s66, v10, 8
	s_or_b32 exec_lo, exec_lo, s66
	s_delay_alu instid0(SALU_CYCLE_1)
	s_and_b32 s65, s65, exec_lo
.LBB53_197:                             ;   in Loop: Header=BB53_4 Depth=1
	s_delay_alu instid0(VALU_DEP_1) | instskip(NEXT) | instid1(VALU_DEP_1)
	v_readlane_b32 s66, v10, 7
	s_or_b32 exec_lo, exec_lo, s66
	s_delay_alu instid0(SALU_CYCLE_1)
	s_and_b32 s65, s65, exec_lo
.LBB53_198:                             ;   in Loop: Header=BB53_4 Depth=1
	s_delay_alu instid0(VALU_DEP_1) | instskip(NEXT) | instid1(VALU_DEP_1)
	v_readlane_b32 s66, v10, 6
	s_or_b32 exec_lo, exec_lo, s66
	s_delay_alu instid0(SALU_CYCLE_1)
	s_and_b32 s65, s65, exec_lo
.LBB53_199:                             ;   in Loop: Header=BB53_4 Depth=1
	s_delay_alu instid0(VALU_DEP_1) | instskip(NEXT) | instid1(VALU_DEP_1)
	v_readlane_b32 s66, v10, 5
	s_or_b32 exec_lo, exec_lo, s66
	s_delay_alu instid0(SALU_CYCLE_1)
	s_and_b32 s65, s65, exec_lo
.LBB53_200:                             ;   in Loop: Header=BB53_4 Depth=1
	s_delay_alu instid0(VALU_DEP_1) | instskip(NEXT) | instid1(VALU_DEP_1)
	v_readlane_b32 s66, v10, 4
	s_or_b32 exec_lo, exec_lo, s66
	s_delay_alu instid0(SALU_CYCLE_1)
	s_and_b32 s65, s65, exec_lo
.LBB53_201:                             ;   in Loop: Header=BB53_4 Depth=1
	s_delay_alu instid0(VALU_DEP_1) | instskip(NEXT) | instid1(VALU_DEP_1)
	v_readlane_b32 s66, v10, 3
	s_or_b32 exec_lo, exec_lo, s66
	s_delay_alu instid0(SALU_CYCLE_1)
	s_and_b32 s65, s65, exec_lo
.LBB53_202:                             ;   in Loop: Header=BB53_4 Depth=1
	s_delay_alu instid0(VALU_DEP_1) | instskip(NEXT) | instid1(VALU_DEP_1)
	v_readlane_b32 s66, v10, 2
	s_or_b32 exec_lo, exec_lo, s66
	s_delay_alu instid0(SALU_CYCLE_1)
	s_and_b32 s65, s65, exec_lo
.LBB53_203:                             ;   in Loop: Header=BB53_4 Depth=1
	s_delay_alu instid0(VALU_DEP_1) | instskip(NEXT) | instid1(VALU_DEP_1)
	v_readlane_b32 s66, v10, 1
	s_or_b32 exec_lo, exec_lo, s66
	s_delay_alu instid0(SALU_CYCLE_1)
	s_and_b32 s65, s65, exec_lo
.LBB53_204:                             ;   in Loop: Header=BB53_4 Depth=1
	s_delay_alu instid0(VALU_DEP_1) | instskip(NEXT) | instid1(VALU_DEP_1)
	v_readlane_b32 s66, v10, 0
	s_or_b32 exec_lo, exec_lo, s66
	s_delay_alu instid0(SALU_CYCLE_1)
	s_and_b32 s65, s65, exec_lo
.LBB53_205:                             ;   in Loop: Header=BB53_4 Depth=1
	s_or_b32 exec_lo, exec_lo, s64
	s_delay_alu instid0(SALU_CYCLE_1)
	s_and_b32 s64, s65, exec_lo
.LBB53_206:                             ;   in Loop: Header=BB53_4 Depth=1
	s_or_b32 exec_lo, exec_lo, s63
	s_delay_alu instid0(SALU_CYCLE_1)
	s_and_b32 s63, s64, exec_lo
.LBB53_207:                             ;   in Loop: Header=BB53_4 Depth=1
	s_or_b32 exec_lo, exec_lo, s62
	s_delay_alu instid0(SALU_CYCLE_1)
	s_and_b32 s62, s63, exec_lo
.LBB53_208:                             ;   in Loop: Header=BB53_4 Depth=1
	s_or_b32 exec_lo, exec_lo, s61
	s_delay_alu instid0(SALU_CYCLE_1)
	s_and_b32 s61, s62, exec_lo
.LBB53_209:                             ;   in Loop: Header=BB53_4 Depth=1
	s_or_b32 exec_lo, exec_lo, s60
	s_delay_alu instid0(SALU_CYCLE_1)
	s_and_b32 s60, s61, exec_lo
.LBB53_210:                             ;   in Loop: Header=BB53_4 Depth=1
	s_or_b32 exec_lo, exec_lo, s59
	s_delay_alu instid0(SALU_CYCLE_1)
	s_and_b32 s59, s60, exec_lo
.LBB53_211:                             ;   in Loop: Header=BB53_4 Depth=1
	s_or_b32 exec_lo, exec_lo, s58
	s_delay_alu instid0(SALU_CYCLE_1)
	s_and_b32 s58, s59, exec_lo
.LBB53_212:                             ;   in Loop: Header=BB53_4 Depth=1
	s_or_b32 exec_lo, exec_lo, s57
	s_delay_alu instid0(SALU_CYCLE_1)
	s_and_b32 s57, s58, exec_lo
.LBB53_213:                             ;   in Loop: Header=BB53_4 Depth=1
	s_or_b32 exec_lo, exec_lo, s56
	s_delay_alu instid0(SALU_CYCLE_1)
	s_and_b32 s56, s57, exec_lo
.LBB53_214:                             ;   in Loop: Header=BB53_4 Depth=1
	s_or_b32 exec_lo, exec_lo, s55
	s_delay_alu instid0(SALU_CYCLE_1)
	s_and_b32 s55, s56, exec_lo
.LBB53_215:                             ;   in Loop: Header=BB53_4 Depth=1
	s_or_b32 exec_lo, exec_lo, s54
	s_delay_alu instid0(SALU_CYCLE_1)
	s_and_b32 s54, s55, exec_lo
.LBB53_216:                             ;   in Loop: Header=BB53_4 Depth=1
	s_or_b32 exec_lo, exec_lo, s53
	s_delay_alu instid0(SALU_CYCLE_1)
	s_and_b32 s53, s54, exec_lo
.LBB53_217:                             ;   in Loop: Header=BB53_4 Depth=1
	s_or_b32 exec_lo, exec_lo, s52
	s_delay_alu instid0(SALU_CYCLE_1)
	s_and_b32 s52, s53, exec_lo
.LBB53_218:                             ;   in Loop: Header=BB53_4 Depth=1
	s_or_b32 exec_lo, exec_lo, s51
	s_delay_alu instid0(SALU_CYCLE_1)
	s_and_b32 s51, s52, exec_lo
.LBB53_219:                             ;   in Loop: Header=BB53_4 Depth=1
	s_or_b32 exec_lo, exec_lo, s50
	s_delay_alu instid0(SALU_CYCLE_1)
	s_and_b32 s50, s51, exec_lo
.LBB53_220:                             ;   in Loop: Header=BB53_4 Depth=1
	s_or_b32 exec_lo, exec_lo, s49
	s_delay_alu instid0(SALU_CYCLE_1)
	s_and_b32 s49, s50, exec_lo
.LBB53_221:                             ;   in Loop: Header=BB53_4 Depth=1
	s_or_b32 exec_lo, exec_lo, s48
	s_delay_alu instid0(SALU_CYCLE_1)
	s_and_b32 s48, s49, exec_lo
.LBB53_222:                             ;   in Loop: Header=BB53_4 Depth=1
	s_or_b32 exec_lo, exec_lo, s47
	s_delay_alu instid0(SALU_CYCLE_1)
	s_and_b32 s47, s48, exec_lo
.LBB53_223:                             ;   in Loop: Header=BB53_4 Depth=1
	s_or_b32 exec_lo, exec_lo, s46
	s_delay_alu instid0(SALU_CYCLE_1)
	s_and_b32 s46, s47, exec_lo
.LBB53_224:                             ;   in Loop: Header=BB53_4 Depth=1
	s_or_b32 exec_lo, exec_lo, s45
	s_delay_alu instid0(SALU_CYCLE_1)
	s_and_b32 s45, s46, exec_lo
.LBB53_225:                             ;   in Loop: Header=BB53_4 Depth=1
	s_or_b32 exec_lo, exec_lo, s44
	s_delay_alu instid0(SALU_CYCLE_1)
	s_and_b32 s44, s45, exec_lo
.LBB53_226:                             ;   in Loop: Header=BB53_4 Depth=1
	s_or_b32 exec_lo, exec_lo, s43
	s_delay_alu instid0(SALU_CYCLE_1)
	s_and_b32 s43, s44, exec_lo
.LBB53_227:                             ;   in Loop: Header=BB53_4 Depth=1
	s_or_b32 exec_lo, exec_lo, s42
	s_delay_alu instid0(SALU_CYCLE_1)
	s_and_b32 s42, s43, exec_lo
.LBB53_228:                             ;   in Loop: Header=BB53_4 Depth=1
	s_or_b32 exec_lo, exec_lo, s41
	s_delay_alu instid0(SALU_CYCLE_1)
	s_and_b32 s41, s42, exec_lo
.LBB53_229:                             ;   in Loop: Header=BB53_4 Depth=1
	s_or_b32 exec_lo, exec_lo, s40
	s_delay_alu instid0(SALU_CYCLE_1)
	s_and_b32 s40, s41, exec_lo
.LBB53_230:                             ;   in Loop: Header=BB53_4 Depth=1
	s_or_b32 exec_lo, exec_lo, s39
	s_delay_alu instid0(SALU_CYCLE_1)
	s_and_b32 s39, s40, exec_lo
.LBB53_231:                             ;   in Loop: Header=BB53_4 Depth=1
	s_or_b32 exec_lo, exec_lo, s38
	s_delay_alu instid0(SALU_CYCLE_1)
	s_and_b32 s38, s39, exec_lo
.LBB53_232:                             ;   in Loop: Header=BB53_4 Depth=1
	s_or_b32 exec_lo, exec_lo, s37
	s_delay_alu instid0(SALU_CYCLE_1)
	s_and_b32 s37, s38, exec_lo
.LBB53_233:                             ;   in Loop: Header=BB53_4 Depth=1
	s_or_b32 exec_lo, exec_lo, s36
	s_delay_alu instid0(SALU_CYCLE_1)
	s_and_b32 s36, s37, exec_lo
.LBB53_234:                             ;   in Loop: Header=BB53_4 Depth=1
	s_or_b32 exec_lo, exec_lo, s35
	s_delay_alu instid0(SALU_CYCLE_1)
	s_and_b32 s35, s36, exec_lo
.LBB53_235:                             ;   in Loop: Header=BB53_4 Depth=1
	s_or_b32 exec_lo, exec_lo, s34
	s_delay_alu instid0(SALU_CYCLE_1)
	s_and_b32 s34, s35, exec_lo
.LBB53_236:                             ;   in Loop: Header=BB53_4 Depth=1
	s_or_b32 exec_lo, exec_lo, s33
	s_delay_alu instid0(SALU_CYCLE_1)
	s_and_b32 s33, s34, exec_lo
.LBB53_237:                             ;   in Loop: Header=BB53_4 Depth=1
	s_or_b32 exec_lo, exec_lo, s31
	s_delay_alu instid0(SALU_CYCLE_1)
	s_and_b32 s31, s33, exec_lo
.LBB53_238:                             ;   in Loop: Header=BB53_4 Depth=1
	s_or_b32 exec_lo, exec_lo, s30
	s_delay_alu instid0(SALU_CYCLE_1)
	s_and_b32 s30, s31, exec_lo
.LBB53_239:                             ;   in Loop: Header=BB53_4 Depth=1
	s_or_b32 exec_lo, exec_lo, s29
	s_delay_alu instid0(SALU_CYCLE_1)
	s_and_b32 s29, s30, exec_lo
.LBB53_240:                             ;   in Loop: Header=BB53_4 Depth=1
	s_or_b32 exec_lo, exec_lo, s28
	s_delay_alu instid0(SALU_CYCLE_1)
	s_and_b32 s28, s29, exec_lo
.LBB53_241:                             ;   in Loop: Header=BB53_4 Depth=1
	s_or_b32 exec_lo, exec_lo, s27
	s_delay_alu instid0(SALU_CYCLE_1)
	s_and_b32 s27, s28, exec_lo
.LBB53_242:                             ;   in Loop: Header=BB53_4 Depth=1
	s_or_b32 exec_lo, exec_lo, s26
	s_delay_alu instid0(SALU_CYCLE_1)
	s_and_b32 s26, s27, exec_lo
.LBB53_243:                             ;   in Loop: Header=BB53_4 Depth=1
	s_or_b32 exec_lo, exec_lo, s25
	s_delay_alu instid0(SALU_CYCLE_1)
	s_and_b32 s25, s26, exec_lo
.LBB53_244:                             ;   in Loop: Header=BB53_4 Depth=1
	s_or_b32 exec_lo, exec_lo, s24
	s_delay_alu instid0(SALU_CYCLE_1)
	s_and_b32 s24, s25, exec_lo
.LBB53_245:                             ;   in Loop: Header=BB53_4 Depth=1
	s_or_b32 exec_lo, exec_lo, s23
	s_delay_alu instid0(SALU_CYCLE_1)
	s_and_b32 s23, s24, exec_lo
.LBB53_246:                             ;   in Loop: Header=BB53_4 Depth=1
	s_or_b32 exec_lo, exec_lo, s22
	s_delay_alu instid0(SALU_CYCLE_1)
	s_and_b32 s22, s23, exec_lo
.LBB53_247:                             ;   in Loop: Header=BB53_4 Depth=1
	s_or_b32 exec_lo, exec_lo, s21
	s_delay_alu instid0(SALU_CYCLE_1)
	s_and_b32 s21, s22, exec_lo
.LBB53_248:                             ;   in Loop: Header=BB53_4 Depth=1
	s_or_b32 exec_lo, exec_lo, s20
	s_delay_alu instid0(SALU_CYCLE_1)
	s_and_b32 s20, s21, exec_lo
.LBB53_249:                             ;   in Loop: Header=BB53_4 Depth=1
	s_or_b32 exec_lo, exec_lo, s19
	s_delay_alu instid0(SALU_CYCLE_1)
	s_and_b32 s19, s20, exec_lo
.LBB53_250:                             ;   in Loop: Header=BB53_4 Depth=1
	s_or_b32 exec_lo, exec_lo, s18
	s_delay_alu instid0(SALU_CYCLE_1)
	s_and_b32 s18, s19, exec_lo
.LBB53_251:                             ;   in Loop: Header=BB53_4 Depth=1
	s_or_b32 exec_lo, exec_lo, s17
	s_delay_alu instid0(SALU_CYCLE_1)
	s_and_b32 s17, s18, exec_lo
.LBB53_252:                             ;   in Loop: Header=BB53_4 Depth=1
	s_or_b32 exec_lo, exec_lo, s16
	s_delay_alu instid0(SALU_CYCLE_1)
	s_and_b32 s16, s17, exec_lo
.LBB53_253:                             ;   in Loop: Header=BB53_4 Depth=1
	s_or_b32 exec_lo, exec_lo, s13
	s_delay_alu instid0(SALU_CYCLE_1)
	s_and_b32 s13, s16, exec_lo
.LBB53_254:                             ;   in Loop: Header=BB53_4 Depth=1
	s_or_b32 exec_lo, exec_lo, s12
	s_delay_alu instid0(SALU_CYCLE_1)
	s_and_b32 s12, s13, exec_lo
.LBB53_255:                             ;   in Loop: Header=BB53_4 Depth=1
	s_or_b32 exec_lo, exec_lo, s11
	s_delay_alu instid0(SALU_CYCLE_1)
	s_and_b32 s11, s12, exec_lo
.LBB53_256:                             ;   in Loop: Header=BB53_4 Depth=1
	s_or_b32 exec_lo, exec_lo, s10
	s_delay_alu instid0(SALU_CYCLE_1)
	s_and_b32 s10, s11, exec_lo
.LBB53_257:                             ;   in Loop: Header=BB53_4 Depth=1
	s_or_b32 exec_lo, exec_lo, s8
	v_cndmask_b32_e64 v1, 0, 1, s10
	;;#ASMSTART
	;;#ASMEND
	s_delay_alu instid0(VALU_DEP_1)
	v_cmp_ne_u32_e32 vcc_lo, 0, v1
	s_mov_b32 s8, exec_lo
	s_and_saveexec_b32 s10, s0
	s_cbranch_execz .LBB53_3
; %bb.258:                              ;   in Loop: Header=BB53_4 Depth=1
	s_cmp_eq_u32 vcc_lo, s8
	s_cselect_b32 s8, -1, 0
	s_delay_alu instid0(SALU_CYCLE_1)
	v_cndmask_b32_e64 v1, 0, 1, s8
	ds_store_b32 v5, v1
	s_branch .LBB53_3
.LBB53_259:                             ;   in Loop: Header=BB53_4 Depth=1
                                        ; implicit-def: $sgpr5
	s_cbranch_execz .LBB53_4
.LBB53_260:
	s_mov_b32 s0, exec_lo
	v_cmpx_eq_u32_e32 0, v0
	s_cbranch_execz .LBB53_262
; %bb.261:
	s_mul_i32 s0, s1, s15
	v_dual_mov_b32 v0, 0 :: v_dual_mov_b32 v1, s2
	s_add_i32 s0, s0, s14
	s_delay_alu instid0(SALU_CYCLE_1) | instskip(NEXT) | instid1(SALU_CYCLE_1)
	s_ashr_i32 s1, s0, 31
	s_lshl_b64 s[0:1], s[0:1], 2
	s_delay_alu instid0(SALU_CYCLE_1)
	s_add_u32 s0, s6, s0
	s_addc_u32 s1, s7, s1
	global_store_b32 v0, v1, s[0:1]
.LBB53_262:
	s_nop 0
	s_sendmsg sendmsg(MSG_DEALLOC_VGPRS)
	s_endpgm
	.section	.rodata,"a",@progbits
	.p2align	6, 0x0
	.amdhsa_kernel _ZL25flash_attn_mask_to_KV_maxILi64EEvPK7__half2Piiii
		.amdhsa_group_segment_fixed_size 128
		.amdhsa_private_segment_fixed_size 0
		.amdhsa_kernarg_size 288
		.amdhsa_user_sgpr_count 14
		.amdhsa_user_sgpr_dispatch_ptr 0
		.amdhsa_user_sgpr_queue_ptr 0
		.amdhsa_user_sgpr_kernarg_segment_ptr 1
		.amdhsa_user_sgpr_dispatch_id 0
		.amdhsa_user_sgpr_private_segment_size 0
		.amdhsa_wavefront_size32 1
		.amdhsa_uses_dynamic_stack 0
		.amdhsa_enable_private_segment 0
		.amdhsa_system_sgpr_workgroup_id_x 1
		.amdhsa_system_sgpr_workgroup_id_y 1
		.amdhsa_system_sgpr_workgroup_id_z 0
		.amdhsa_system_sgpr_workgroup_info 0
		.amdhsa_system_vgpr_workitem_id 0
		.amdhsa_next_free_vgpr 11
		.amdhsa_next_free_sgpr 105
		.amdhsa_reserve_vcc 1
		.amdhsa_float_round_mode_32 0
		.amdhsa_float_round_mode_16_64 0
		.amdhsa_float_denorm_mode_32 3
		.amdhsa_float_denorm_mode_16_64 3
		.amdhsa_dx10_clamp 1
		.amdhsa_ieee_mode 1
		.amdhsa_fp16_overflow 0
		.amdhsa_workgroup_processor_mode 1
		.amdhsa_memory_ordered 1
		.amdhsa_forward_progress 0
		.amdhsa_shared_vgpr_count 0
		.amdhsa_exception_fp_ieee_invalid_op 0
		.amdhsa_exception_fp_denorm_src 0
		.amdhsa_exception_fp_ieee_div_zero 0
		.amdhsa_exception_fp_ieee_overflow 0
		.amdhsa_exception_fp_ieee_underflow 0
		.amdhsa_exception_fp_ieee_inexact 0
		.amdhsa_exception_int_div_zero 0
	.end_amdhsa_kernel
	.section	.text._ZL25flash_attn_mask_to_KV_maxILi64EEvPK7__half2Piiii,"axG",@progbits,_ZL25flash_attn_mask_to_KV_maxILi64EEvPK7__half2Piiii,comdat
.Lfunc_end53:
	.size	_ZL25flash_attn_mask_to_KV_maxILi64EEvPK7__half2Piiii, .Lfunc_end53-_ZL25flash_attn_mask_to_KV_maxILi64EEvPK7__half2Piiii
                                        ; -- End function
	.section	.AMDGPU.csdata,"",@progbits
; Kernel info:
; codeLenInByte = 9596
; NumSgprs: 107
; NumVgprs: 11
; ScratchSize: 0
; MemoryBound: 0
; FloatMode: 240
; IeeeMode: 1
; LDSByteSize: 128 bytes/workgroup (compile time only)
; SGPRBlocks: 13
; VGPRBlocks: 1
; NumSGPRsForWavesPerEU: 107
; NumVGPRsForWavesPerEU: 11
; Occupancy: 16
; WaveLimiterHint : 0
; COMPUTE_PGM_RSRC2:SCRATCH_EN: 0
; COMPUTE_PGM_RSRC2:USER_SGPR: 14
; COMPUTE_PGM_RSRC2:TRAP_HANDLER: 0
; COMPUTE_PGM_RSRC2:TGID_X_EN: 1
; COMPUTE_PGM_RSRC2:TGID_Y_EN: 1
; COMPUTE_PGM_RSRC2:TGID_Z_EN: 0
; COMPUTE_PGM_RSRC2:TIDIG_COMP_CNT: 0
	.section	.text._ZL33flash_attn_stream_k_fixup_uniformILi64ELi64ELi1EEvPfPK15HIP_vector_typeIfLj2EEiiiiiiS1_IjLj3EES5_S5_,"axG",@progbits,_ZL33flash_attn_stream_k_fixup_uniformILi64ELi64ELi1EEvPfPK15HIP_vector_typeIfLj2EEiiiiiiS1_IjLj3EES5_S5_,comdat
	.globl	_ZL33flash_attn_stream_k_fixup_uniformILi64ELi64ELi1EEvPfPK15HIP_vector_typeIfLj2EEiiiiiiS1_IjLj3EES5_S5_ ; -- Begin function _ZL33flash_attn_stream_k_fixup_uniformILi64ELi64ELi1EEvPfPK15HIP_vector_typeIfLj2EEiiiiiiS1_IjLj3EES5_S5_
	.p2align	8
	.type	_ZL33flash_attn_stream_k_fixup_uniformILi64ELi64ELi1EEvPfPK15HIP_vector_typeIfLj2EEiiiiiiS1_IjLj3EES5_S5_,@function
_ZL33flash_attn_stream_k_fixup_uniformILi64ELi64ELi1EEvPfPK15HIP_vector_typeIfLj2EEiiiiiiS1_IjLj3EES5_S5_: ; @_ZL33flash_attn_stream_k_fixup_uniformILi64ELi64ELi1EEvPfPK15HIP_vector_typeIfLj2EEiiiiiiS1_IjLj3EES5_S5_
; %bb.0:
	s_clause 0x1
	s_load_b256 s[4:11], s[0:1], 0x1c
	s_load_b128 s[16:19], s[0:1], 0x3c
	s_waitcnt lgkmcnt(0)
	s_mul_hi_u32 s2, s7, s13
	s_delay_alu instid0(SALU_CYCLE_1) | instskip(NEXT) | instid1(SALU_CYCLE_1)
	s_add_i32 s2, s13, s2
	s_lshr_b32 s2, s2, s8
	s_delay_alu instid0(SALU_CYCLE_1) | instskip(SKIP_2) | instid1(SALU_CYCLE_1)
	s_mul_i32 s3, s2, s9
	s_load_b64 s[8:9], s[0:1], 0x10
	s_sub_i32 s7, s13, s3
	s_mul_hi_u32 s3, s7, s10
	s_delay_alu instid0(SALU_CYCLE_1) | instskip(NEXT) | instid1(SALU_CYCLE_1)
	s_add_i32 s3, s7, s3
	s_lshr_b32 s3, s3, s11
	s_delay_alu instid0(SALU_CYCLE_1) | instskip(NEXT) | instid1(SALU_CYCLE_1)
	s_mul_i32 s10, s3, s16
	s_sub_i32 s10, s7, s10
	s_delay_alu instid0(SALU_CYCLE_1) | instskip(NEXT) | instid1(SALU_CYCLE_1)
	s_mul_hi_u32 s7, s10, s17
	s_add_i32 s7, s10, s7
	s_delay_alu instid0(SALU_CYCLE_1) | instskip(NEXT) | instid1(SALU_CYCLE_1)
	s_lshr_b32 s7, s7, s18
	s_mul_i32 s11, s7, s19
	s_delay_alu instid0(SALU_CYCLE_1) | instskip(NEXT) | instid1(SALU_CYCLE_1)
	s_sub_i32 s10, s10, s11
	s_lshl_b32 s11, s10, 6
	s_delay_alu instid0(SALU_CYCLE_1) | instskip(SKIP_4) | instid1(SALU_CYCLE_1)
	s_add_i32 s11, s11, s14
	s_waitcnt lgkmcnt(0)
	s_cmp_lt_i32 s11, s8
	s_cselect_b32 s11, -1, 0
	s_add_i32 s12, s7, s15
	s_cmp_lt_i32 s12, s5
	s_cselect_b32 s12, -1, 0
	s_delay_alu instid0(SALU_CYCLE_1) | instskip(NEXT) | instid1(SALU_CYCLE_1)
	s_and_b32 s11, s11, s12
	s_and_not1_b32 vcc_lo, exec_lo, s11
	s_cbranch_vccnz .LBB54_6
; %bb.1:
	s_mul_i32 s2, s2, s8
	s_mul_i32 s5, s3, s5
	s_add_i32 s2, s2, s14
	s_delay_alu instid0(SALU_CYCLE_1) | instskip(NEXT) | instid1(SALU_CYCLE_1)
	s_mul_i32 s2, s2, s9
	s_add_i32 s8, s2, s15
	s_load_b128 s[0:3], s[0:1], 0x0
	s_add_i32 s5, s8, s5
	s_mul_i32 s8, s9, s10
	s_add_i32 s5, s5, s7
	s_lshl_b32 s7, s8, 12
	s_lshl_b32 s5, s5, 6
	s_add_i32 s10, s14, s15
	s_add_i32 s7, s7, s5
	s_mul_i32 s5, s13, s6
	v_or_b32_e32 v1, s7, v0
	s_add_i32 s9, s5, s6
	s_delay_alu instid0(VALU_DEP_1) | instskip(NEXT) | instid1(VALU_DEP_1)
	v_ashrrev_i32_e32 v2, 31, v1
	v_lshlrev_b64 v[1:2], 2, v[1:2]
	s_waitcnt lgkmcnt(0)
	s_delay_alu instid0(VALU_DEP_1) | instskip(NEXT) | instid1(VALU_DEP_2)
	v_add_co_u32 v1, vcc_lo, s0, v1
	v_add_co_ci_u32_e32 v2, vcc_lo, s1, v2, vcc_lo
	s_lshl_b32 s0, s9, 6
	s_delay_alu instid0(SALU_CYCLE_1) | instskip(SKIP_2) | instid1(SALU_CYCLE_1)
	s_add_i32 s0, s10, s0
	global_load_b32 v5, v[1:2], off
	s_sub_i32 s0, s0, 64
	s_ashr_i32 s1, s0, 31
	s_delay_alu instid0(SALU_CYCLE_1) | instskip(NEXT) | instid1(SALU_CYCLE_1)
	s_lshl_b64 s[0:1], s[0:1], 3
	s_add_u32 s0, s2, s0
	s_addc_u32 s1, s3, s1
	s_add_i32 s7, s9, -2
	s_load_b32 s11, s[0:1], 0x4
	s_cmp_lt_i32 s7, s5
	s_cbranch_scc1 .LBB54_4
; %bb.2:
	s_lshl_b32 s14, s4, 8
	s_load_b32 s12, s[0:1], 0x0
	s_ashr_i32 s15, s14, 31
	s_delay_alu instid0(SALU_CYCLE_1) | instskip(NEXT) | instid1(SALU_CYCLE_1)
	s_lshl_b64 s[0:1], s[14:15], 2
	s_add_u32 s7, s2, s0
	s_addc_u32 s8, s3, s1
	s_add_i32 s13, s13, 1
	s_lshl_b32 s1, s10, 6
	s_mul_i32 s0, s6, s13
	s_delay_alu instid0(SALU_CYCLE_1)
	s_lshl_b32 s6, s0, 12
	s_lshl_b32 s0, s0, 6
	s_add_i32 s1, s1, s6
	s_add_i32 s0, s10, s0
	v_or_b32_e32 v0, s1, v0
	s_lshl_b32 s1, s4, 6
	s_waitcnt lgkmcnt(0)
	v_mov_b32_e32 v6, s11
	s_add_i32 s0, s0, s1
	s_add_i32 s4, s9, -1
	v_dual_mov_b32 v0, s12 :: v_dual_add_nc_u32 v3, 0xffffe000, v0
	s_addk_i32 s0, 0xff80
.LBB54_3:                               ; =>This Inner Loop Header: Depth=1
	s_delay_alu instid0(VALU_DEP_1) | instskip(SKIP_1) | instid1(SALU_CYCLE_1)
	v_ashrrev_i32_e32 v4, 31, v3
	s_ashr_i32 s1, s0, 31
	s_lshl_b64 s[10:11], s[0:1], 3
	s_delay_alu instid0(SALU_CYCLE_1) | instskip(NEXT) | instid1(VALU_DEP_1)
	s_add_u32 s10, s2, s10
	v_lshlrev_b64 v[7:8], 2, v[3:4]
	s_addc_u32 s11, s3, s11
	s_add_i32 s4, s4, -1
	s_sub_i32 s0, s0, 64
	s_cmp_le_i32 s4, s5
	s_load_b64 s[10:11], s[10:11], 0x0
	v_add_co_u32 v7, vcc_lo, s7, v7
	v_add_co_ci_u32_e32 v8, vcc_lo, s8, v8, vcc_lo
	global_load_b32 v4, v[7:8], off
	v_max_f32_e32 v7, v0, v0
	s_waitcnt lgkmcnt(0)
	v_max_f32_e64 v8, s10, s10
	s_delay_alu instid0(VALU_DEP_1) | instskip(NEXT) | instid1(VALU_DEP_1)
	v_max_f32_e32 v7, v7, v8
	v_sub_f32_e32 v8, s10, v7
	s_delay_alu instid0(VALU_DEP_1) | instskip(NEXT) | instid1(VALU_DEP_1)
	v_dual_sub_f32 v0, v0, v7 :: v_dual_mul_f32 v9, 0x3fb8aa3b, v8
	v_fma_f32 v10, 0x3fb8aa3b, v8, -v9
	v_rndne_f32_e32 v11, v9
	s_delay_alu instid0(VALU_DEP_3) | instskip(NEXT) | instid1(VALU_DEP_2)
	v_mul_f32_e32 v12, 0x3fb8aa3b, v0
	v_dual_fmac_f32 v10, 0x32a5705f, v8 :: v_dual_sub_f32 v9, v9, v11
	v_cvt_i32_f32_e32 v11, v11
	s_delay_alu instid0(VALU_DEP_3) | instskip(SKIP_1) | instid1(VALU_DEP_4)
	v_fma_f32 v13, 0x3fb8aa3b, v0, -v12
	v_rndne_f32_e32 v14, v12
	v_add_f32_e32 v9, v9, v10
	v_cmp_ngt_f32_e32 vcc_lo, 0xc2ce8ed0, v8
	s_delay_alu instid0(VALU_DEP_3) | instskip(NEXT) | instid1(VALU_DEP_3)
	v_sub_f32_e32 v10, v12, v14
	v_exp_f32_e32 v9, v9
	s_waitcnt_depctr 0xfff
	v_ldexp_f32 v9, v9, v11
	v_cvt_i32_f32_e32 v11, v14
	s_delay_alu instid0(VALU_DEP_2) | instskip(SKIP_1) | instid1(VALU_DEP_2)
	v_cndmask_b32_e32 v9, 0, v9, vcc_lo
	v_cmp_nlt_f32_e32 vcc_lo, 0x42b17218, v8
	v_cndmask_b32_e32 v9, 0x7f800000, v9, vcc_lo
	v_cmp_ngt_f32_e32 vcc_lo, 0xc2ce8ed0, v0
	v_fmac_f32_e32 v13, 0x32a5705f, v0
	s_delay_alu instid0(VALU_DEP_1) | instskip(NEXT) | instid1(VALU_DEP_1)
	v_add_f32_e32 v10, v10, v13
	v_exp_f32_e32 v10, v10
	s_waitcnt_depctr 0xfff
	v_ldexp_f32 v10, v10, v11
	s_delay_alu instid0(VALU_DEP_1)
	v_dual_mov_b32 v11, v6 :: v_dual_cndmask_b32 v10, 0, v10
	v_cmp_le_f32_e32 vcc_lo, 0xc1a00000, v8
	s_waitcnt vmcnt(1)
	v_dual_cndmask_b32 v8, 0, v9 :: v_dual_mov_b32 v9, v5
	v_cmp_nlt_f32_e32 vcc_lo, 0x42b17218, v0
	v_cndmask_b32_e32 v5, 0x7f800000, v10, vcc_lo
	s_delay_alu instid0(VALU_DEP_3) | instskip(SKIP_2) | instid1(VALU_DEP_3)
	v_mul_f32_e32 v10, s11, v8
	v_cmp_le_f32_e32 vcc_lo, 0xc1a00000, v0
	v_mov_b32_e32 v0, v7
	v_mov_b32_e32 v6, v10
	s_waitcnt vmcnt(0)
	v_dual_cndmask_b32 v12, 0, v5 :: v_dual_mul_f32 v5, v4, v8
	s_delay_alu instid0(VALU_DEP_1) | instskip(NEXT) | instid1(VALU_DEP_2)
	v_dual_fmac_f32 v6, v11, v12 :: v_dual_add_nc_u32 v3, 0xfffff000, v3
	v_fmac_f32_e32 v5, v9, v12
	s_cbranch_scc0 .LBB54_3
	s_branch .LBB54_5
.LBB54_4:
	s_waitcnt lgkmcnt(0)
	v_mov_b32_e32 v6, s11
.LBB54_5:
	s_waitcnt vmcnt(0)
	s_delay_alu instid0(VALU_DEP_1) | instskip(NEXT) | instid1(VALU_DEP_1)
	v_div_scale_f32 v0, null, v6, v6, v5
	v_rcp_f32_e32 v3, v0
	s_waitcnt_depctr 0xfff
	v_fma_f32 v4, -v0, v3, 1.0
	s_delay_alu instid0(VALU_DEP_1) | instskip(SKIP_1) | instid1(VALU_DEP_1)
	v_fmac_f32_e32 v3, v4, v3
	v_div_scale_f32 v4, vcc_lo, v5, v6, v5
	v_mul_f32_e32 v7, v4, v3
	s_delay_alu instid0(VALU_DEP_1) | instskip(NEXT) | instid1(VALU_DEP_1)
	v_fma_f32 v8, -v0, v7, v4
	v_fmac_f32_e32 v7, v8, v3
	s_delay_alu instid0(VALU_DEP_1) | instskip(NEXT) | instid1(VALU_DEP_1)
	v_fma_f32 v0, -v0, v7, v4
	v_div_fmas_f32 v0, v0, v3, v7
	s_delay_alu instid0(VALU_DEP_1)
	v_div_fixup_f32 v0, v0, v6, v5
	global_store_b32 v[1:2], v0, off
.LBB54_6:
	s_nop 0
	s_sendmsg sendmsg(MSG_DEALLOC_VGPRS)
	s_endpgm
	.section	.rodata,"a",@progbits
	.p2align	6, 0x0
	.amdhsa_kernel _ZL33flash_attn_stream_k_fixup_uniformILi64ELi64ELi1EEvPfPK15HIP_vector_typeIfLj2EEiiiiiiS1_IjLj3EES5_S5_
		.amdhsa_group_segment_fixed_size 0
		.amdhsa_private_segment_fixed_size 0
		.amdhsa_kernarg_size 76
		.amdhsa_user_sgpr_count 13
		.amdhsa_user_sgpr_dispatch_ptr 0
		.amdhsa_user_sgpr_queue_ptr 0
		.amdhsa_user_sgpr_kernarg_segment_ptr 1
		.amdhsa_user_sgpr_dispatch_id 0
		.amdhsa_user_sgpr_private_segment_size 0
		.amdhsa_wavefront_size32 1
		.amdhsa_uses_dynamic_stack 0
		.amdhsa_enable_private_segment 0
		.amdhsa_system_sgpr_workgroup_id_x 1
		.amdhsa_system_sgpr_workgroup_id_y 1
		.amdhsa_system_sgpr_workgroup_id_z 1
		.amdhsa_system_sgpr_workgroup_info 0
		.amdhsa_system_vgpr_workitem_id 0
		.amdhsa_next_free_vgpr 15
		.amdhsa_next_free_sgpr 20
		.amdhsa_reserve_vcc 1
		.amdhsa_float_round_mode_32 0
		.amdhsa_float_round_mode_16_64 0
		.amdhsa_float_denorm_mode_32 3
		.amdhsa_float_denorm_mode_16_64 3
		.amdhsa_dx10_clamp 1
		.amdhsa_ieee_mode 1
		.amdhsa_fp16_overflow 0
		.amdhsa_workgroup_processor_mode 1
		.amdhsa_memory_ordered 1
		.amdhsa_forward_progress 0
		.amdhsa_shared_vgpr_count 0
		.amdhsa_exception_fp_ieee_invalid_op 0
		.amdhsa_exception_fp_denorm_src 0
		.amdhsa_exception_fp_ieee_div_zero 0
		.amdhsa_exception_fp_ieee_overflow 0
		.amdhsa_exception_fp_ieee_underflow 0
		.amdhsa_exception_fp_ieee_inexact 0
		.amdhsa_exception_int_div_zero 0
	.end_amdhsa_kernel
	.section	.text._ZL33flash_attn_stream_k_fixup_uniformILi64ELi64ELi1EEvPfPK15HIP_vector_typeIfLj2EEiiiiiiS1_IjLj3EES5_S5_,"axG",@progbits,_ZL33flash_attn_stream_k_fixup_uniformILi64ELi64ELi1EEvPfPK15HIP_vector_typeIfLj2EEiiiiiiS1_IjLj3EES5_S5_,comdat
.Lfunc_end54:
	.size	_ZL33flash_attn_stream_k_fixup_uniformILi64ELi64ELi1EEvPfPK15HIP_vector_typeIfLj2EEiiiiiiS1_IjLj3EES5_S5_, .Lfunc_end54-_ZL33flash_attn_stream_k_fixup_uniformILi64ELi64ELi1EEvPfPK15HIP_vector_typeIfLj2EEiiiiiiS1_IjLj3EES5_S5_
                                        ; -- End function
	.section	.AMDGPU.csdata,"",@progbits
; Kernel info:
; codeLenInByte = 976
; NumSgprs: 22
; NumVgprs: 15
; ScratchSize: 0
; MemoryBound: 0
; FloatMode: 240
; IeeeMode: 1
; LDSByteSize: 0 bytes/workgroup (compile time only)
; SGPRBlocks: 2
; VGPRBlocks: 1
; NumSGPRsForWavesPerEU: 22
; NumVGPRsForWavesPerEU: 15
; Occupancy: 16
; WaveLimiterHint : 0
; COMPUTE_PGM_RSRC2:SCRATCH_EN: 0
; COMPUTE_PGM_RSRC2:USER_SGPR: 13
; COMPUTE_PGM_RSRC2:TRAP_HANDLER: 0
; COMPUTE_PGM_RSRC2:TGID_X_EN: 1
; COMPUTE_PGM_RSRC2:TGID_Y_EN: 1
; COMPUTE_PGM_RSRC2:TGID_Z_EN: 1
; COMPUTE_PGM_RSRC2:TIDIG_COMP_CNT: 0
	.section	.text._ZL33flash_attn_stream_k_fixup_generalILi64ELi64ELi1EEvPfPK15HIP_vector_typeIfLj2EEiiiiS1_IjLj3EES5_S5_S5_,"axG",@progbits,_ZL33flash_attn_stream_k_fixup_generalILi64ELi64ELi1EEvPfPK15HIP_vector_typeIfLj2EEiiiiS1_IjLj3EES5_S5_S5_,comdat
	.globl	_ZL33flash_attn_stream_k_fixup_generalILi64ELi64ELi1EEvPfPK15HIP_vector_typeIfLj2EEiiiiS1_IjLj3EES5_S5_S5_ ; -- Begin function _ZL33flash_attn_stream_k_fixup_generalILi64ELi64ELi1EEvPfPK15HIP_vector_typeIfLj2EEiiiiS1_IjLj3EES5_S5_S5_
	.p2align	8
	.type	_ZL33flash_attn_stream_k_fixup_generalILi64ELi64ELi1EEvPfPK15HIP_vector_typeIfLj2EEiiiiS1_IjLj3EES5_S5_S5_,@function
_ZL33flash_attn_stream_k_fixup_generalILi64ELi64ELi1EEvPfPK15HIP_vector_typeIfLj2EEiiiiS1_IjLj3EES5_S5_S5_: ; @_ZL33flash_attn_stream_k_fixup_generalILi64ELi64ELi1EEvPfPK15HIP_vector_typeIfLj2EEiiiiS1_IjLj3EES5_S5_S5_
; %bb.0:
	s_clause 0x1
	s_load_b128 s[4:7], s[0:1], 0x10
	s_load_b32 s20, s[0:1], 0x50
	s_mov_b32 s2, 0
	s_waitcnt lgkmcnt(0)
	s_mul_hi_i32 s3, s7, s13
	s_mul_i32 s12, s7, s13
	s_cmp_lg_u64 s[2:3], 0
	s_cbranch_scc0 .LBB55_21
; %bb.1:
	v_cvt_f32_ubyte0_e32 v1, 0
	v_cvt_f32_u32_e32 v2, s20
	s_sub_u32 s10, 0, s20
	s_subb_u32 s11, 0, 0
	s_delay_alu instid0(VALU_DEP_1) | instskip(NEXT) | instid1(VALU_DEP_1)
	v_fmamk_f32 v1, v1, 0x4f800000, v2
	v_rcp_f32_e32 v1, v1
	s_waitcnt_depctr 0xfff
	v_mul_f32_e32 v1, 0x5f7ffffc, v1
	s_delay_alu instid0(VALU_DEP_1) | instskip(NEXT) | instid1(VALU_DEP_1)
	v_mul_f32_e32 v2, 0x2f800000, v1
	v_trunc_f32_e32 v2, v2
	s_delay_alu instid0(VALU_DEP_1) | instskip(SKIP_1) | instid1(VALU_DEP_2)
	v_fmamk_f32 v1, v2, 0xcf800000, v1
	v_cvt_u32_f32_e32 v2, v2
	v_cvt_u32_f32_e32 v1, v1
	s_delay_alu instid0(VALU_DEP_2) | instskip(NEXT) | instid1(VALU_DEP_2)
	v_readfirstlane_b32 s8, v2
	v_readfirstlane_b32 s9, v1
	s_delay_alu instid0(VALU_DEP_2) | instskip(NEXT) | instid1(VALU_DEP_1)
	s_mul_i32 s16, s10, s8
	s_mul_hi_u32 s18, s10, s9
	s_mul_i32 s17, s11, s9
	s_add_i32 s16, s18, s16
	s_mul_i32 s19, s10, s9
	s_add_i32 s16, s16, s17
	s_mul_hi_u32 s18, s9, s19
	s_mul_hi_u32 s21, s8, s19
	s_mul_i32 s17, s8, s19
	s_mul_hi_u32 s19, s9, s16
	s_mul_i32 s9, s9, s16
	s_mul_hi_u32 s22, s8, s16
	s_add_u32 s9, s18, s9
	s_addc_u32 s18, 0, s19
	s_add_u32 s9, s9, s17
	s_mul_i32 s16, s8, s16
	s_addc_u32 s9, s18, s21
	s_addc_u32 s17, s22, 0
	s_add_u32 s9, s9, s16
	s_addc_u32 s16, 0, s17
	v_add_co_u32 v1, s9, v1, s9
	s_delay_alu instid0(VALU_DEP_1) | instskip(SKIP_1) | instid1(VALU_DEP_1)
	s_cmp_lg_u32 s9, 0
	s_addc_u32 s8, s8, s16
	v_readfirstlane_b32 s9, v1
	s_mul_i32 s16, s10, s8
	s_delay_alu instid0(VALU_DEP_1)
	s_mul_hi_u32 s17, s10, s9
	s_mul_i32 s11, s11, s9
	s_add_i32 s16, s17, s16
	s_mul_i32 s10, s10, s9
	s_add_i32 s16, s16, s11
	s_mul_hi_u32 s17, s8, s10
	s_mul_i32 s18, s8, s10
	s_mul_hi_u32 s10, s9, s10
	s_mul_hi_u32 s19, s9, s16
	s_mul_i32 s9, s9, s16
	s_mul_hi_u32 s11, s8, s16
	s_add_u32 s9, s10, s9
	s_addc_u32 s10, 0, s19
	s_add_u32 s9, s9, s18
	s_mul_i32 s16, s8, s16
	s_addc_u32 s9, s10, s17
	s_addc_u32 s10, s11, 0
	s_add_u32 s9, s9, s16
	s_addc_u32 s10, 0, s10
	v_add_co_u32 v1, s9, v1, s9
	s_delay_alu instid0(VALU_DEP_1) | instskip(SKIP_2) | instid1(SALU_CYCLE_1)
	s_cmp_lg_u32 s9, 0
	s_addc_u32 s16, s8, s10
	s_ashr_i32 s8, s3, 31
	s_add_u32 s10, s12, s8
	s_addc_u32 s11, s3, s8
	v_readfirstlane_b32 s3, v1
	s_mov_b32 s9, s8
	s_delay_alu instid0(SALU_CYCLE_1) | instskip(NEXT) | instid1(SALU_CYCLE_1)
	s_xor_b64 s[10:11], s[10:11], s[8:9]
	s_mul_i32 s18, s10, s16
	s_delay_alu instid0(VALU_DEP_1)
	s_mul_hi_u32 s19, s10, s3
	s_mul_hi_u32 s17, s10, s16
	s_mul_hi_u32 s22, s11, s3
	s_mul_i32 s3, s11, s3
	s_add_u32 s18, s19, s18
	s_addc_u32 s17, 0, s17
	s_mul_hi_u32 s21, s11, s16
	s_add_u32 s3, s18, s3
	s_mul_i32 s16, s11, s16
	s_addc_u32 s3, s17, s22
	s_addc_u32 s17, s21, 0
	s_add_u32 s3, s3, s16
	s_addc_u32 s16, 0, s17
	s_mul_i32 s18, s20, s3
	s_add_u32 s17, s3, 1
	v_sub_co_u32 v1, s10, s10, s18
	s_mul_hi_u32 s18, s20, s3
	s_addc_u32 s19, s16, 0
	s_mul_i32 s21, s20, s16
	s_delay_alu instid0(VALU_DEP_1)
	v_sub_co_u32 v2, s22, v1, s20
	s_add_u32 s23, s3, 2
	s_addc_u32 s24, s16, 0
	s_add_i32 s18, s18, s21
	s_cmp_lg_u32 s10, 0
	v_readfirstlane_b32 s10, v2
	s_subb_u32 s11, s11, s18
	s_cmp_lg_u32 s22, 0
	s_subb_u32 s18, s11, 0
	s_delay_alu instid0(VALU_DEP_1) | instskip(SKIP_4) | instid1(SALU_CYCLE_1)
	s_cmp_ge_u32 s10, s20
	s_cselect_b32 s10, -1, 0
	s_cmp_eq_u32 s18, 0
	v_readfirstlane_b32 s18, v1
	s_cselect_b32 s10, s10, -1
	s_cmp_lg_u32 s10, 0
	s_cselect_b32 s10, s23, s17
	s_cselect_b32 s17, s24, s19
	s_cmp_ge_u32 s18, s20
	s_cselect_b32 s18, -1, 0
	s_cmp_eq_u32 s11, 0
	s_cselect_b32 s11, s18, -1
	s_delay_alu instid0(SALU_CYCLE_1) | instskip(SKIP_2) | instid1(SALU_CYCLE_1)
	s_cmp_lg_u32 s11, 0
	s_cselect_b32 s11, s17, s16
	s_cselect_b32 s10, s10, s3
	s_xor_b64 s[10:11], s[10:11], s[8:9]
	s_delay_alu instid0(SALU_CYCLE_1)
	s_sub_u32 s16, s10, s8
	s_load_b128 s[8:11], s[0:1], 0x44
	s_and_not1_b32 vcc_lo, exec_lo, s2
	s_cbranch_vccnz .LBB55_3
.LBB55_2:
	v_cvt_f32_u32_e32 v1, s20
	s_sub_i32 s3, 0, s20
	s_delay_alu instid0(VALU_DEP_1) | instskip(SKIP_2) | instid1(VALU_DEP_1)
	v_rcp_iflag_f32_e32 v1, v1
	s_waitcnt_depctr 0xfff
	v_mul_f32_e32 v1, 0x4f7ffffe, v1
	v_cvt_u32_f32_e32 v1, v1
	s_delay_alu instid0(VALU_DEP_1) | instskip(NEXT) | instid1(VALU_DEP_1)
	v_readfirstlane_b32 s2, v1
	s_mul_i32 s3, s3, s2
	s_delay_alu instid0(SALU_CYCLE_1) | instskip(NEXT) | instid1(SALU_CYCLE_1)
	s_mul_hi_u32 s3, s2, s3
	s_add_i32 s2, s2, s3
	s_delay_alu instid0(SALU_CYCLE_1) | instskip(NEXT) | instid1(SALU_CYCLE_1)
	s_mul_hi_u32 s2, s12, s2
	s_mul_i32 s3, s2, s20
	s_waitcnt lgkmcnt(0)
	s_add_i32 s11, s2, 1
	s_sub_i32 s3, s12, s3
	s_delay_alu instid0(SALU_CYCLE_1)
	s_sub_i32 s12, s3, s20
	s_cmp_ge_u32 s3, s20
	s_cselect_b32 s2, s11, s2
	s_cselect_b32 s3, s12, s3
	s_add_i32 s11, s2, 1
	s_cmp_ge_u32 s3, s20
	s_cselect_b32 s16, s11, s2
.LBB55_3:
	s_waitcnt lgkmcnt(0)
	s_add_i32 s11, s13, 1
	s_mov_b32 s2, 0
	s_mul_hi_i32 s3, s7, s11
	s_mul_i32 s11, s7, s11
	s_cmp_lg_u64 s[2:3], 0
	s_cbranch_scc0 .LBB55_22
; %bb.4:
	v_cvt_f32_ubyte0_e32 v1, 0
	v_cvt_f32_u32_e32 v2, s20
	s_sub_u32 s18, 0, s20
	s_subb_u32 s19, 0, 0
	s_delay_alu instid0(VALU_DEP_1) | instskip(NEXT) | instid1(VALU_DEP_1)
	v_fmamk_f32 v1, v1, 0x4f800000, v2
	v_rcp_f32_e32 v1, v1
	s_waitcnt_depctr 0xfff
	v_mul_f32_e32 v1, 0x5f7ffffc, v1
	s_delay_alu instid0(VALU_DEP_1) | instskip(NEXT) | instid1(VALU_DEP_1)
	v_mul_f32_e32 v2, 0x2f800000, v1
	v_trunc_f32_e32 v2, v2
	s_delay_alu instid0(VALU_DEP_1) | instskip(SKIP_1) | instid1(VALU_DEP_2)
	v_fmamk_f32 v1, v2, 0xcf800000, v1
	v_cvt_u32_f32_e32 v2, v2
	v_cvt_u32_f32_e32 v1, v1
	s_delay_alu instid0(VALU_DEP_2) | instskip(NEXT) | instid1(VALU_DEP_2)
	v_readfirstlane_b32 s12, v2
	v_readfirstlane_b32 s17, v1
	s_delay_alu instid0(VALU_DEP_2) | instskip(NEXT) | instid1(VALU_DEP_1)
	s_mul_i32 s21, s18, s12
	s_mul_hi_u32 s23, s18, s17
	s_mul_i32 s22, s19, s17
	s_add_i32 s21, s23, s21
	s_mul_i32 s24, s18, s17
	s_add_i32 s21, s21, s22
	s_mul_hi_u32 s23, s17, s24
	s_mul_hi_u32 s25, s12, s24
	s_mul_i32 s22, s12, s24
	s_mul_hi_u32 s24, s17, s21
	s_mul_i32 s17, s17, s21
	s_mul_hi_u32 s26, s12, s21
	s_add_u32 s17, s23, s17
	s_addc_u32 s23, 0, s24
	s_add_u32 s17, s17, s22
	s_mul_i32 s21, s12, s21
	s_addc_u32 s17, s23, s25
	s_addc_u32 s22, s26, 0
	s_add_u32 s17, s17, s21
	s_addc_u32 s21, 0, s22
	v_add_co_u32 v1, s17, v1, s17
	s_delay_alu instid0(VALU_DEP_1) | instskip(SKIP_1) | instid1(VALU_DEP_1)
	s_cmp_lg_u32 s17, 0
	s_addc_u32 s12, s12, s21
	v_readfirstlane_b32 s17, v1
	s_mul_i32 s21, s18, s12
	s_delay_alu instid0(VALU_DEP_1)
	s_mul_hi_u32 s22, s18, s17
	s_mul_i32 s19, s19, s17
	s_add_i32 s21, s22, s21
	s_mul_i32 s18, s18, s17
	s_add_i32 s21, s21, s19
	s_mul_hi_u32 s22, s12, s18
	s_mul_i32 s23, s12, s18
	s_mul_hi_u32 s18, s17, s18
	s_mul_hi_u32 s24, s17, s21
	s_mul_i32 s17, s17, s21
	s_mul_hi_u32 s19, s12, s21
	s_add_u32 s17, s18, s17
	s_addc_u32 s18, 0, s24
	s_add_u32 s17, s17, s23
	s_mul_i32 s21, s12, s21
	s_addc_u32 s17, s18, s22
	s_addc_u32 s18, s19, 0
	s_add_u32 s17, s17, s21
	s_addc_u32 s18, 0, s18
	v_add_co_u32 v1, s17, v1, s17
	s_delay_alu instid0(VALU_DEP_1) | instskip(SKIP_2) | instid1(SALU_CYCLE_1)
	s_cmp_lg_u32 s17, 0
	s_addc_u32 s12, s12, s18
	s_ashr_i32 s18, s3, 31
	s_add_u32 s22, s11, s18
	s_addc_u32 s23, s3, s18
	v_readfirstlane_b32 s3, v1
	s_mov_b32 s19, s18
	s_delay_alu instid0(SALU_CYCLE_1) | instskip(NEXT) | instid1(SALU_CYCLE_1)
	s_xor_b64 s[22:23], s[22:23], s[18:19]
	s_mul_i32 s21, s22, s12
	s_delay_alu instid0(VALU_DEP_1)
	s_mul_hi_u32 s24, s22, s3
	s_mul_hi_u32 s17, s22, s12
	s_mul_hi_u32 s26, s23, s3
	s_mul_i32 s3, s23, s3
	s_add_u32 s21, s24, s21
	s_addc_u32 s17, 0, s17
	s_mul_hi_u32 s25, s23, s12
	s_add_u32 s3, s21, s3
	s_mul_i32 s12, s23, s12
	s_addc_u32 s3, s17, s26
	s_addc_u32 s17, s25, 0
	s_add_u32 s3, s3, s12
	s_addc_u32 s12, 0, s17
	s_mul_i32 s21, s20, s3
	s_add_u32 s17, s3, 1
	v_sub_co_u32 v1, s21, s22, s21
	s_mul_hi_u32 s22, s20, s3
	s_addc_u32 s24, s12, 0
	s_mul_i32 s25, s20, s12
	s_delay_alu instid0(VALU_DEP_1)
	v_sub_co_u32 v2, s26, v1, s20
	s_add_u32 s27, s3, 2
	s_addc_u32 s28, s12, 0
	s_add_i32 s22, s22, s25
	s_cmp_lg_u32 s21, 0
	v_readfirstlane_b32 s21, v2
	s_subb_u32 s22, s23, s22
	s_cmp_lg_u32 s26, 0
	s_subb_u32 s23, s22, 0
	s_delay_alu instid0(VALU_DEP_1) | instskip(SKIP_4) | instid1(SALU_CYCLE_1)
	s_cmp_ge_u32 s21, s20
	s_cselect_b32 s21, -1, 0
	s_cmp_eq_u32 s23, 0
	v_readfirstlane_b32 s23, v1
	s_cselect_b32 s21, s21, -1
	s_cmp_lg_u32 s21, 0
	s_cselect_b32 s17, s27, s17
	s_cselect_b32 s21, s28, s24
	s_cmp_ge_u32 s23, s20
	s_cselect_b32 s23, -1, 0
	s_cmp_eq_u32 s22, 0
	s_cselect_b32 s22, s23, -1
	s_delay_alu instid0(SALU_CYCLE_1) | instskip(SKIP_2) | instid1(SALU_CYCLE_1)
	s_cmp_lg_u32 s22, 0
	s_cselect_b32 s23, s21, s12
	s_cselect_b32 s22, s17, s3
	s_xor_b64 s[22:23], s[22:23], s[18:19]
	s_delay_alu instid0(SALU_CYCLE_1)
	s_sub_u32 s18, s22, s18
	s_and_not1_b32 vcc_lo, exec_lo, s2
	s_cbranch_vccnz .LBB55_6
.LBB55_5:
	v_cvt_f32_u32_e32 v1, s20
	s_sub_i32 s3, 0, s20
	s_delay_alu instid0(VALU_DEP_1) | instskip(SKIP_2) | instid1(VALU_DEP_1)
	v_rcp_iflag_f32_e32 v1, v1
	s_waitcnt_depctr 0xfff
	v_mul_f32_e32 v1, 0x4f7ffffe, v1
	v_cvt_u32_f32_e32 v1, v1
	s_delay_alu instid0(VALU_DEP_1) | instskip(NEXT) | instid1(VALU_DEP_1)
	v_readfirstlane_b32 s2, v1
	s_mul_i32 s3, s3, s2
	s_delay_alu instid0(SALU_CYCLE_1) | instskip(NEXT) | instid1(SALU_CYCLE_1)
	s_mul_hi_u32 s3, s2, s3
	s_add_i32 s2, s2, s3
	s_delay_alu instid0(SALU_CYCLE_1) | instskip(NEXT) | instid1(SALU_CYCLE_1)
	s_mul_hi_u32 s2, s11, s2
	s_mul_i32 s3, s2, s20
	s_delay_alu instid0(SALU_CYCLE_1)
	s_sub_i32 s3, s11, s3
	s_add_i32 s11, s2, 1
	s_sub_i32 s12, s3, s20
	s_cmp_ge_u32 s3, s20
	s_cselect_b32 s2, s11, s2
	s_cselect_b32 s3, s12, s3
	s_add_i32 s11, s2, 1
	s_cmp_ge_u32 s3, s20
	s_cselect_b32 s18, s11, s2
.LBB55_6:
	s_delay_alu instid0(SALU_CYCLE_1) | instskip(SKIP_3) | instid1(SALU_CYCLE_1)
	s_cmp_eq_u32 s16, s18
	s_mul_hi_u32 s2, s16, s8
	s_cselect_b32 s3, -1, 0
	s_add_i32 s2, s2, s16
	s_lshr_b32 s11, s2, s9
	s_delay_alu instid0(SALU_CYCLE_1) | instskip(NEXT) | instid1(SALU_CYCLE_1)
	s_mul_i32 s2, s11, s10
	s_cmp_eq_u32 s2, s16
	s_mul_hi_u32 s2, s18, s8
	s_cselect_b32 s12, -1, 0
	s_add_i32 s2, s2, s18
	s_delay_alu instid0(SALU_CYCLE_1) | instskip(NEXT) | instid1(SALU_CYCLE_1)
	s_lshr_b32 s2, s2, s9
	s_cmp_eq_u32 s11, s2
	s_mul_i32 s2, s2, s10
	s_cselect_b32 s17, -1, 0
	s_cmp_lg_u32 s2, s18
	s_cselect_b32 s2, -1, 0
	s_or_b32 s3, s3, s12
	s_and_b32 s2, s17, s2
	s_delay_alu instid0(SALU_CYCLE_1) | instskip(NEXT) | instid1(SALU_CYCLE_1)
	s_or_b32 s2, s3, s2
	s_and_b32 vcc_lo, exec_lo, s2
	s_cbranch_vccnz .LBB55_24
; %bb.7:
	s_load_b256 s[24:31], s[0:1], 0x20
	s_waitcnt lgkmcnt(0)
	s_mul_hi_u32 s2, s16, s24
	s_delay_alu instid0(SALU_CYCLE_1) | instskip(NEXT) | instid1(SALU_CYCLE_1)
	s_add_i32 s2, s2, s16
	s_lshr_b32 s18, s2, s25
	s_load_b32 s2, s[0:1], 0x40
	s_mul_i32 s3, s18, s26
	s_delay_alu instid0(SALU_CYCLE_1) | instskip(NEXT) | instid1(SALU_CYCLE_1)
	s_sub_i32 s3, s16, s3
	s_mul_hi_u32 s12, s3, s27
	s_delay_alu instid0(SALU_CYCLE_1) | instskip(NEXT) | instid1(SALU_CYCLE_1)
	s_add_i32 s12, s3, s12
	s_lshr_b32 s21, s12, s28
	s_delay_alu instid0(SALU_CYCLE_1) | instskip(NEXT) | instid1(SALU_CYCLE_1)
	s_mul_i32 s12, s21, s29
	s_sub_i32 s3, s3, s12
	s_delay_alu instid0(SALU_CYCLE_1) | instskip(NEXT) | instid1(SALU_CYCLE_1)
	s_mul_hi_u32 s12, s3, s30
	s_add_i32 s12, s3, s12
	s_delay_alu instid0(SALU_CYCLE_1) | instskip(SKIP_3) | instid1(SALU_CYCLE_1)
	s_lshr_b32 s22, s12, s31
	s_mov_b32 s12, 0
	s_waitcnt lgkmcnt(0)
	s_mul_i32 s2, s22, s2
	s_sub_i32 s2, s3, s2
	s_delay_alu instid0(SALU_CYCLE_1) | instskip(NEXT) | instid1(SALU_CYCLE_1)
	s_mul_hi_u32 s3, s2, s8
	s_add_i32 s2, s2, s3
	s_delay_alu instid0(SALU_CYCLE_1) | instskip(NEXT) | instid1(SALU_CYCLE_1)
	s_lshr_b32 s23, s2, s9
	s_lshl_b32 s2, s23, 6
	s_delay_alu instid0(SALU_CYCLE_1) | instskip(NEXT) | instid1(SALU_CYCLE_1)
	s_add_i32 s2, s2, s14
	s_cmp_lt_i32 s2, s4
	s_cselect_b32 s2, -1, 0
	s_add_i32 s3, s22, s15
	s_delay_alu instid0(SALU_CYCLE_1) | instskip(SKIP_1) | instid1(SALU_CYCLE_1)
	s_cmp_lt_i32 s3, s6
	s_cselect_b32 s3, -1, 0
	s_and_b32 s2, s2, s3
	s_delay_alu instid0(SALU_CYCLE_1)
	s_and_not1_b32 vcc_lo, exec_lo, s2
	s_cbranch_vccnz .LBB55_24
; %bb.8:
	s_load_b128 s[0:3], s[0:1], 0x0
	s_lshl_b32 s24, s20, 8
	s_mov_b32 s25, s12
	s_add_i32 s17, s14, s15
	s_lshl_b64 s[24:25], s[24:25], 2
	s_mul_i32 s4, s18, s4
	s_mul_i32 s21, s21, s6
	v_cvt_f32_ubyte0_e32 v4, 0
	v_cvt_f32_u32_e32 v5, s20
	s_waitcnt lgkmcnt(0)
	s_add_u32 s18, s2, s24
	s_addc_u32 s19, s3, s25
	s_add_i32 s4, s4, s14
	s_delay_alu instid0(SALU_CYCLE_1) | instskip(SKIP_4) | instid1(SALU_CYCLE_1)
	s_mul_i32 s4, s4, s5
	s_mul_i32 s5, s5, s23
	s_add_i32 s4, s4, s15
	s_lshl_b32 s5, s5, 12
	s_add_i32 s4, s4, s21
	s_add_i32 s4, s4, s22
	s_delay_alu instid0(SALU_CYCLE_1) | instskip(NEXT) | instid1(SALU_CYCLE_1)
	s_lshl_b32 s4, s4, 6
	s_add_i32 s5, s5, s4
	s_delay_alu instid0(SALU_CYCLE_1) | instskip(SKIP_1) | instid1(VALU_DEP_2)
	v_or_b32_e32 v1, s5, v0
	v_lshl_or_b32 v0, s17, 6, v0
	v_ashrrev_i32_e32 v2, 31, v1
	s_delay_alu instid0(VALU_DEP_1) | instskip(NEXT) | instid1(VALU_DEP_1)
	v_lshlrev_b64 v[1:2], 2, v[1:2]
	v_add_co_u32 v1, vcc_lo, s0, v1
	s_delay_alu instid0(VALU_DEP_2) | instskip(SKIP_1) | instid1(SALU_CYCLE_1)
	v_add_co_ci_u32_e32 v2, vcc_lo, s1, v2, vcc_lo
	s_lshl_b32 s0, s13, 6
	s_add_i32 s0, s0, s17
	global_load_b32 v3, v[1:2], off
	s_ashr_i32 s1, s0, 31
	s_delay_alu instid0(SALU_CYCLE_1) | instskip(NEXT) | instid1(SALU_CYCLE_1)
	s_lshl_b64 s[0:1], s[0:1], 3
	s_add_u32 s0, s2, s0
	s_addc_u32 s1, s3, s1
	s_add_i32 s14, s13, -1
	s_load_b64 s[0:1], s[0:1], 0x0
	v_fmac_f32_e32 v5, 0x4f800000, v4
	s_sub_i32 s6, 0, s20
	s_waitcnt lgkmcnt(0)
	v_mov_b32_e32 v8, s0
	s_delay_alu instid0(VALU_DEP_2) | instskip(SKIP_2) | instid1(VALU_DEP_2)
	v_rcp_f32_e32 v4, v5
	v_cvt_f32_u32_e32 v5, s20
	v_mov_b32_e32 v7, s1
	v_rcp_iflag_f32_e32 v5, v5
	s_waitcnt_depctr 0xfff
	v_mul_f32_e32 v4, 0x5f7ffffc, v4
	s_delay_alu instid0(VALU_DEP_1) | instskip(SKIP_1) | instid1(VALU_DEP_2)
	v_mul_f32_e32 v6, 0x2f800000, v4
	v_mul_f32_e32 v9, 0x4f7ffffe, v5
	v_trunc_f32_e32 v6, v6
	s_delay_alu instid0(VALU_DEP_1) | instskip(SKIP_1) | instid1(VALU_DEP_4)
	v_fmac_f32_e32 v4, 0xcf800000, v6
	v_cvt_u32_f32_e32 v5, v6
	v_cvt_u32_f32_e32 v6, v9
	s_delay_alu instid0(VALU_DEP_3)
	v_cvt_u32_f32_e32 v4, v4
.LBB55_9:                               ; =>This Inner Loop Header: Depth=1
	s_mul_hi_i32 s13, s14, s7
	s_mul_i32 s4, s14, s7
	s_cmp_lg_u64 s[12:13], 0
	s_mov_b32 s5, -1
                                        ; implicit-def: $sgpr0_sgpr1
	s_cbranch_scc0 .LBB55_11
; %bb.10:                               ;   in Loop: Header=BB55_9 Depth=1
	v_readfirstlane_b32 s0, v4
	v_readfirstlane_b32 s1, v5
	s_sub_u32 s5, 0, s20
	s_subb_u32 s15, 0, 0
	s_delay_alu instid0(VALU_DEP_2) | instskip(NEXT) | instid1(VALU_DEP_1)
	s_mul_hi_u32 s21, s5, s0
	s_mul_i32 s22, s5, s1
	s_mul_i32 s23, s15, s0
	s_add_i32 s21, s21, s22
	s_mul_i32 s22, s5, s0
	s_add_i32 s21, s21, s23
	s_mul_hi_u32 s23, s0, s22
	s_mul_i32 s24, s0, s21
	s_mul_hi_u32 s0, s0, s21
	s_add_u32 s23, s23, s24
	s_mul_i32 s25, s1, s22
	s_addc_u32 s0, 0, s0
	s_mul_hi_u32 s22, s1, s22
	s_mul_hi_u32 s24, s1, s21
	s_add_u32 s23, s23, s25
	s_addc_u32 s0, s0, s22
	s_mul_i32 s21, s1, s21
	s_addc_u32 s22, s24, 0
	s_add_u32 s0, s0, s21
	s_addc_u32 s21, 0, s22
	v_add_co_u32 v9, s0, v4, s0
	s_delay_alu instid0(VALU_DEP_1) | instskip(SKIP_1) | instid1(VALU_DEP_1)
	s_cmp_lg_u32 s0, 0
	s_addc_u32 s1, s1, s21
	v_readfirstlane_b32 s0, v9
	s_mul_i32 s21, s5, s1
	s_delay_alu instid0(VALU_DEP_1)
	s_mul_hi_u32 s22, s5, s0
	s_mul_i32 s15, s15, s0
	s_add_i32 s21, s22, s21
	s_mul_i32 s5, s5, s0
	s_add_i32 s21, s21, s15
	s_mul_hi_u32 s15, s1, s5
	s_mul_i32 s23, s1, s5
	s_mul_i32 s24, s0, s21
	s_mul_hi_u32 s5, s0, s5
	s_mul_hi_u32 s0, s0, s21
	s_add_u32 s5, s5, s24
	s_addc_u32 s0, 0, s0
	s_mul_hi_u32 s22, s1, s21
	s_add_u32 s5, s5, s23
	s_addc_u32 s0, s0, s15
	s_mul_i32 s5, s1, s21
	s_addc_u32 s15, s22, 0
	s_add_u32 s0, s0, s5
	s_addc_u32 s5, 0, s15
	v_add_co_u32 v9, s0, v9, s0
	s_delay_alu instid0(VALU_DEP_1) | instskip(SKIP_2) | instid1(SALU_CYCLE_1)
	s_cmp_lg_u32 s0, 0
	s_addc_u32 s5, s1, s5
	s_ashr_i32 s0, s13, 31
	s_add_u32 s22, s4, s0
	s_addc_u32 s23, s13, s0
	v_readfirstlane_b32 s13, v9
	s_mov_b32 s1, s0
	s_delay_alu instid0(SALU_CYCLE_1) | instskip(NEXT) | instid1(SALU_CYCLE_1)
	s_xor_b64 s[22:23], s[22:23], s[0:1]
	s_mul_i32 s15, s22, s5
	s_delay_alu instid0(VALU_DEP_1)
	s_mul_hi_u32 s21, s22, s13
	s_mul_hi_u32 s24, s22, s5
	s_add_u32 s15, s21, s15
	s_mul_i32 s25, s23, s13
	s_addc_u32 s21, 0, s24
	s_mul_hi_u32 s13, s23, s13
	s_mul_hi_u32 s24, s23, s5
	s_add_u32 s15, s15, s25
	s_addc_u32 s13, s21, s13
	s_mul_i32 s5, s23, s5
	s_addc_u32 s15, s24, 0
	s_add_u32 s5, s13, s5
	s_addc_u32 s13, 0, s15
	s_mul_i32 s21, s20, s5
	s_add_u32 s15, s5, 1
	v_sub_co_u32 v9, s21, s22, s21
	s_addc_u32 s22, s13, 0
	s_mul_i32 s25, s20, s13
	s_mul_hi_u32 s27, s20, s5
	s_delay_alu instid0(VALU_DEP_1)
	v_sub_co_u32 v10, s26, v9, s20
	s_add_u32 s24, s5, 2
	s_addc_u32 s28, s13, 0
	s_add_i32 s27, s27, s25
	s_cmp_lg_u32 s21, 0
	v_readfirstlane_b32 s21, v10
	s_subb_u32 s23, s23, s27
	s_cmp_lg_u32 s26, 0
	s_subb_u32 s25, s23, 0
	s_delay_alu instid0(VALU_DEP_1) | instskip(SKIP_4) | instid1(SALU_CYCLE_1)
	s_cmp_ge_u32 s21, s20
	s_cselect_b32 s21, -1, 0
	s_cmp_eq_u32 s25, 0
	v_readfirstlane_b32 s25, v9
	s_cselect_b32 s21, s21, -1
	s_cmp_lg_u32 s21, 0
	s_cselect_b32 s15, s24, s15
	s_cselect_b32 s21, s28, s22
	s_cmp_ge_u32 s25, s20
	s_cselect_b32 s22, -1, 0
	s_cmp_eq_u32 s23, 0
	s_cselect_b32 s22, s22, -1
	s_delay_alu instid0(SALU_CYCLE_1) | instskip(SKIP_4) | instid1(SALU_CYCLE_1)
	s_cmp_lg_u32 s22, 0
	s_cselect_b32 s23, s21, s13
	s_cselect_b32 s22, s15, s5
	s_mov_b32 s5, 0
	s_xor_b64 s[22:23], s[22:23], s[0:1]
	s_sub_u32 s0, s22, s0
.LBB55_11:                              ;   in Loop: Header=BB55_9 Depth=1
	s_and_not1_b32 vcc_lo, exec_lo, s5
	s_cbranch_vccnz .LBB55_13
; %bb.12:                               ;   in Loop: Header=BB55_9 Depth=1
	v_readfirstlane_b32 s0, v6
	s_delay_alu instid0(VALU_DEP_1) | instskip(NEXT) | instid1(SALU_CYCLE_1)
	s_mul_i32 s1, s6, s0
	s_mul_hi_u32 s1, s0, s1
	s_delay_alu instid0(SALU_CYCLE_1) | instskip(NEXT) | instid1(SALU_CYCLE_1)
	s_add_i32 s0, s0, s1
	s_mul_hi_u32 s0, s4, s0
	s_delay_alu instid0(SALU_CYCLE_1) | instskip(NEXT) | instid1(SALU_CYCLE_1)
	s_mul_i32 s1, s0, s20
	s_sub_i32 s1, s4, s1
	s_add_i32 s4, s0, 1
	s_sub_i32 s5, s1, s20
	s_cmp_ge_u32 s1, s20
	s_cselect_b32 s0, s4, s0
	s_cselect_b32 s1, s5, s1
	s_add_i32 s4, s0, 1
	s_cmp_ge_u32 s1, s20
	s_cselect_b32 s0, s4, s0
.LBB55_13:                              ;   in Loop: Header=BB55_9 Depth=1
	s_delay_alu instid0(SALU_CYCLE_1)
	s_cmp_lg_u32 s16, s0
	s_cbranch_scc0 .LBB55_17
; %bb.14:                               ;   in Loop: Header=BB55_9 Depth=1
	s_add_i32 s1, s14, s20
	s_mov_b32 s5, s12
	s_lshl_b32 s1, s1, 6
	s_mov_b32 s15, s16
	s_add_i32 s4, s1, s17
	s_mul_hi_u32 s1, s0, s8
	s_lshl_b64 s[4:5], s[4:5], 3
	s_delay_alu instid0(SALU_CYCLE_1) | instskip(SKIP_2) | instid1(SALU_CYCLE_1)
	s_add_u32 s4, s2, s4
	s_addc_u32 s5, s3, s5
	s_add_i32 s1, s1, s0
	s_lshr_b32 s1, s1, s9
	s_delay_alu instid0(SALU_CYCLE_1) | instskip(NEXT) | instid1(SALU_CYCLE_1)
	s_mul_i32 s13, s1, s10
	s_cmp_eq_u32 s13, s0
	s_cselect_b32 s13, -1, 0
	s_cmp_lt_u32 s1, s11
	s_cselect_b32 s1, -1, 0
	s_delay_alu instid0(SALU_CYCLE_1)
	s_or_b32 s1, s1, s13
	s_mov_b32 s13, -1
	s_and_b32 vcc_lo, exec_lo, s1
	s_mov_b32 s1, s14
	s_cbranch_vccnz .LBB55_16
; %bb.15:                               ;   in Loop: Header=BB55_9 Depth=1
	s_add_i32 s1, s14, -1
	s_mov_b32 s13, 0
	s_mov_b32 s15, s0
.LBB55_16:                              ;   in Loop: Header=BB55_9 Depth=1
	v_lshl_add_u32 v9, s14, 12, v0
	s_load_b64 s[4:5], s[4:5], 0x0
	s_delay_alu instid0(VALU_DEP_1) | instskip(NEXT) | instid1(VALU_DEP_1)
	v_ashrrev_i32_e32 v10, 31, v9
	v_lshlrev_b64 v[9:10], 2, v[9:10]
	s_delay_alu instid0(VALU_DEP_1) | instskip(NEXT) | instid1(VALU_DEP_2)
	v_add_co_u32 v9, vcc_lo, s18, v9
	v_add_co_ci_u32_e32 v10, vcc_lo, s19, v10, vcc_lo
	s_waitcnt lgkmcnt(0)
	v_max_f32_e64 v11, s4, s4
	global_load_b32 v10, v[9:10], off
	v_max_f32_e32 v9, v8, v8
	s_delay_alu instid0(VALU_DEP_1) | instskip(NEXT) | instid1(VALU_DEP_1)
	v_max_f32_e32 v9, v9, v11
	v_sub_f32_e32 v12, v8, v9
	s_delay_alu instid0(VALU_DEP_1) | instskip(NEXT) | instid1(VALU_DEP_1)
	v_dual_mul_f32 v14, 0x3fb8aa3b, v12 :: v_dual_sub_f32 v11, s4, v9
	v_rndne_f32_e32 v18, v14
	s_delay_alu instid0(VALU_DEP_2) | instskip(SKIP_2) | instid1(VALU_DEP_4)
	v_mul_f32_e32 v13, 0x3fb8aa3b, v11
	v_fma_f32 v17, 0x3fb8aa3b, v12, -v14
	v_cmp_ngt_f32_e32 vcc_lo, 0xc2ce8ed0, v11
	v_sub_f32_e32 v14, v14, v18
	s_delay_alu instid0(VALU_DEP_4) | instskip(SKIP_2) | instid1(VALU_DEP_3)
	v_fma_f32 v15, 0x3fb8aa3b, v11, -v13
	v_rndne_f32_e32 v16, v13
	v_fmac_f32_e32 v17, 0x32a5705f, v12
	v_fmac_f32_e32 v15, 0x32a5705f, v11
	s_delay_alu instid0(VALU_DEP_2) | instskip(NEXT) | instid1(VALU_DEP_1)
	v_dual_sub_f32 v13, v13, v16 :: v_dual_add_f32 v14, v14, v17
	v_add_f32_e32 v13, v13, v15
	s_delay_alu instid0(VALU_DEP_2) | instskip(SKIP_2) | instid1(VALU_DEP_3)
	v_exp_f32_e32 v14, v14
	v_cvt_i32_f32_e32 v15, v16
	v_cvt_i32_f32_e32 v16, v18
	v_exp_f32_e32 v13, v13
	s_waitcnt_depctr 0xfff
	v_ldexp_f32 v14, v14, v16
	v_ldexp_f32 v13, v13, v15
	s_delay_alu instid0(VALU_DEP_1) | instskip(SKIP_1) | instid1(VALU_DEP_4)
	v_cndmask_b32_e32 v13, 0, v13, vcc_lo
	v_cmp_ngt_f32_e32 vcc_lo, 0xc2ce8ed0, v12
	v_cndmask_b32_e32 v14, 0, v14, vcc_lo
	v_cmp_nlt_f32_e32 vcc_lo, 0x42b17218, v11
	s_delay_alu instid0(VALU_DEP_4) | instskip(SKIP_1) | instid1(VALU_DEP_4)
	v_cndmask_b32_e32 v13, 0x7f800000, v13, vcc_lo
	v_cmp_nlt_f32_e32 vcc_lo, 0x42b17218, v12
	v_cndmask_b32_e32 v14, 0x7f800000, v14, vcc_lo
	v_cmp_le_f32_e32 vcc_lo, 0xc1a00000, v11
	s_delay_alu instid0(VALU_DEP_4) | instskip(SKIP_1) | instid1(VALU_DEP_4)
	v_cndmask_b32_e32 v11, 0, v13, vcc_lo
	v_cmp_le_f32_e32 vcc_lo, 0xc1a00000, v12
	v_cndmask_b32_e32 v12, 0, v14, vcc_lo
	s_waitcnt vmcnt(0)
	s_delay_alu instid0(VALU_DEP_3) | instskip(NEXT) | instid1(VALU_DEP_1)
	v_mul_f32_e32 v10, v10, v11
	v_dual_mul_f32 v11, s5, v11 :: v_dual_fmac_f32 v10, v3, v12
	s_delay_alu instid0(VALU_DEP_1)
	v_fmac_f32_e32 v11, v7, v12
	s_cbranch_execz .LBB55_18
	s_branch .LBB55_19
.LBB55_17:                              ;   in Loop: Header=BB55_9 Depth=1
                                        ; implicit-def: $sgpr13
                                        ; implicit-def: $vgpr10
                                        ; implicit-def: $vgpr9
                                        ; implicit-def: $vgpr11
                                        ; implicit-def: $sgpr1
                                        ; implicit-def: $sgpr15
.LBB55_18:                              ;   in Loop: Header=BB55_9 Depth=1
	v_mov_b32_e32 v11, v7
	s_waitcnt vmcnt(0)
	v_dual_mov_b32 v9, v8 :: v_dual_mov_b32 v10, v3
	s_add_i32 s1, s14, -1
	s_mov_b32 s13, 0
	s_mov_b32 s15, s16
.LBB55_19:                              ;   in Loop: Header=BB55_9 Depth=1
	s_and_not1_b32 vcc_lo, exec_lo, s13
	s_cbranch_vccz .LBB55_23
; %bb.20:                               ;   in Loop: Header=BB55_9 Depth=1
	v_dual_mov_b32 v7, v11 :: v_dual_mov_b32 v8, v9
	s_waitcnt vmcnt(0)
	v_mov_b32_e32 v3, v10
	s_mov_b32 s16, s15
	s_mov_b32 s14, s1
	s_branch .LBB55_9
.LBB55_21:
                                        ; implicit-def: $sgpr16_sgpr17
	s_load_b128 s[8:11], s[0:1], 0x44
	s_branch .LBB55_2
.LBB55_22:
                                        ; implicit-def: $sgpr18_sgpr19
	s_branch .LBB55_5
.LBB55_23:
	v_div_scale_f32 v0, null, v11, v11, v10
	s_waitcnt vmcnt(0)
	s_delay_alu instid0(VALU_DEP_1) | instskip(SKIP_2) | instid1(VALU_DEP_1)
	v_rcp_f32_e32 v3, v0
	s_waitcnt_depctr 0xfff
	v_fma_f32 v4, -v0, v3, 1.0
	v_fmac_f32_e32 v3, v4, v3
	v_div_scale_f32 v4, vcc_lo, v10, v11, v10
	s_delay_alu instid0(VALU_DEP_1) | instskip(NEXT) | instid1(VALU_DEP_1)
	v_mul_f32_e32 v5, v4, v3
	v_fma_f32 v6, -v0, v5, v4
	s_delay_alu instid0(VALU_DEP_1) | instskip(NEXT) | instid1(VALU_DEP_1)
	v_fmac_f32_e32 v5, v6, v3
	v_fma_f32 v0, -v0, v5, v4
	s_delay_alu instid0(VALU_DEP_1) | instskip(NEXT) | instid1(VALU_DEP_1)
	v_div_fmas_f32 v0, v0, v3, v5
	v_div_fixup_f32 v0, v0, v11, v10
	global_store_b32 v[1:2], v0, off
.LBB55_24:
	s_nop 0
	s_sendmsg sendmsg(MSG_DEALLOC_VGPRS)
	s_endpgm
	.section	.rodata,"a",@progbits
	.p2align	6, 0x0
	.amdhsa_kernel _ZL33flash_attn_stream_k_fixup_generalILi64ELi64ELi1EEvPfPK15HIP_vector_typeIfLj2EEiiiiS1_IjLj3EES5_S5_S5_
		.amdhsa_group_segment_fixed_size 0
		.amdhsa_private_segment_fixed_size 0
		.amdhsa_kernarg_size 336
		.amdhsa_user_sgpr_count 13
		.amdhsa_user_sgpr_dispatch_ptr 0
		.amdhsa_user_sgpr_queue_ptr 0
		.amdhsa_user_sgpr_kernarg_segment_ptr 1
		.amdhsa_user_sgpr_dispatch_id 0
		.amdhsa_user_sgpr_private_segment_size 0
		.amdhsa_wavefront_size32 1
		.amdhsa_uses_dynamic_stack 0
		.amdhsa_enable_private_segment 0
		.amdhsa_system_sgpr_workgroup_id_x 1
		.amdhsa_system_sgpr_workgroup_id_y 1
		.amdhsa_system_sgpr_workgroup_id_z 1
		.amdhsa_system_sgpr_workgroup_info 0
		.amdhsa_system_vgpr_workitem_id 0
		.amdhsa_next_free_vgpr 19
		.amdhsa_next_free_sgpr 32
		.amdhsa_reserve_vcc 1
		.amdhsa_float_round_mode_32 0
		.amdhsa_float_round_mode_16_64 0
		.amdhsa_float_denorm_mode_32 3
		.amdhsa_float_denorm_mode_16_64 3
		.amdhsa_dx10_clamp 1
		.amdhsa_ieee_mode 1
		.amdhsa_fp16_overflow 0
		.amdhsa_workgroup_processor_mode 1
		.amdhsa_memory_ordered 1
		.amdhsa_forward_progress 0
		.amdhsa_shared_vgpr_count 0
		.amdhsa_exception_fp_ieee_invalid_op 0
		.amdhsa_exception_fp_denorm_src 0
		.amdhsa_exception_fp_ieee_div_zero 0
		.amdhsa_exception_fp_ieee_overflow 0
		.amdhsa_exception_fp_ieee_underflow 0
		.amdhsa_exception_fp_ieee_inexact 0
		.amdhsa_exception_int_div_zero 0
	.end_amdhsa_kernel
	.section	.text._ZL33flash_attn_stream_k_fixup_generalILi64ELi64ELi1EEvPfPK15HIP_vector_typeIfLj2EEiiiiS1_IjLj3EES5_S5_S5_,"axG",@progbits,_ZL33flash_attn_stream_k_fixup_generalILi64ELi64ELi1EEvPfPK15HIP_vector_typeIfLj2EEiiiiS1_IjLj3EES5_S5_S5_,comdat
.Lfunc_end55:
	.size	_ZL33flash_attn_stream_k_fixup_generalILi64ELi64ELi1EEvPfPK15HIP_vector_typeIfLj2EEiiiiS1_IjLj3EES5_S5_S5_, .Lfunc_end55-_ZL33flash_attn_stream_k_fixup_generalILi64ELi64ELi1EEvPfPK15HIP_vector_typeIfLj2EEiiiiS1_IjLj3EES5_S5_S5_
                                        ; -- End function
	.section	.AMDGPU.csdata,"",@progbits
; Kernel info:
; codeLenInByte = 3220
; NumSgprs: 34
; NumVgprs: 19
; ScratchSize: 0
; MemoryBound: 0
; FloatMode: 240
; IeeeMode: 1
; LDSByteSize: 0 bytes/workgroup (compile time only)
; SGPRBlocks: 4
; VGPRBlocks: 2
; NumSGPRsForWavesPerEU: 34
; NumVGPRsForWavesPerEU: 19
; Occupancy: 16
; WaveLimiterHint : 0
; COMPUTE_PGM_RSRC2:SCRATCH_EN: 0
; COMPUTE_PGM_RSRC2:USER_SGPR: 13
; COMPUTE_PGM_RSRC2:TRAP_HANDLER: 0
; COMPUTE_PGM_RSRC2:TGID_X_EN: 1
; COMPUTE_PGM_RSRC2:TGID_Y_EN: 1
; COMPUTE_PGM_RSRC2:TGID_Z_EN: 1
; COMPUTE_PGM_RSRC2:TIDIG_COMP_CNT: 0
	.section	.text._ZL15flash_attn_tileILi64ELi64ELi32ELi1ELb0EEvPKcS1_S1_S1_S1_PKiPfP15HIP_vector_typeIfLj2EEffffjfiS5_IjLj3EEiiiiiiiiiiiliiliiiiil,"axG",@progbits,_ZL15flash_attn_tileILi64ELi64ELi32ELi1ELb0EEvPKcS1_S1_S1_S1_PKiPfP15HIP_vector_typeIfLj2EEffffjfiS5_IjLj3EEiiiiiiiiiiiliiliiiiil,comdat
	.globl	_ZL15flash_attn_tileILi64ELi64ELi32ELi1ELb0EEvPKcS1_S1_S1_S1_PKiPfP15HIP_vector_typeIfLj2EEffffjfiS5_IjLj3EEiiiiiiiiiiiliiliiiiil ; -- Begin function _ZL15flash_attn_tileILi64ELi64ELi32ELi1ELb0EEvPKcS1_S1_S1_S1_PKiPfP15HIP_vector_typeIfLj2EEffffjfiS5_IjLj3EEiiiiiiiiiiiliiliiiiil
	.p2align	8
	.type	_ZL15flash_attn_tileILi64ELi64ELi32ELi1ELb0EEvPKcS1_S1_S1_S1_PKiPfP15HIP_vector_typeIfLj2EEffffjfiS5_IjLj3EEiiiiiiiiiiiliiliiiiil,@function
_ZL15flash_attn_tileILi64ELi64ELi32ELi1ELb0EEvPKcS1_S1_S1_S1_PKiPfP15HIP_vector_typeIfLj2EEffffjfiS5_IjLj3EEiiiiiiiiiiiliiliiiiil: ; @_ZL15flash_attn_tileILi64ELi64ELi32ELi1ELb0EEvPKcS1_S1_S1_S1_PKiPfP15HIP_vector_typeIfLj2EEffffjfiS5_IjLj3EEiiiiiiiiiiiliiliiiiil
; %bb.0:
	s_clause 0x3
	s_load_b128 s[36:39], s[0:1], 0x5c
	s_load_b64 s[46:47], s[0:1], 0x80
	s_load_b512 s[16:31], s[0:1], 0x0
	s_load_b64 s[48:49], s[0:1], 0xb8
	s_mov_b64 s[44:45], 0
	s_waitcnt lgkmcnt(0)
	v_cvt_f32_u32_e32 v1, s39
	s_sub_i32 s3, 0, s39
	s_delay_alu instid0(VALU_DEP_1) | instskip(SKIP_2) | instid1(VALU_DEP_1)
	v_rcp_iflag_f32_e32 v1, v1
	s_waitcnt_depctr 0xfff
	v_mul_f32_e32 v1, 0x4f7ffffe, v1
	v_cvt_u32_f32_e32 v1, v1
	s_delay_alu instid0(VALU_DEP_1) | instskip(NEXT) | instid1(VALU_DEP_1)
	v_readfirstlane_b32 s2, v1
	s_mul_i32 s3, s3, s2
	s_delay_alu instid0(SALU_CYCLE_1) | instskip(NEXT) | instid1(SALU_CYCLE_1)
	s_mul_hi_u32 s3, s2, s3
	s_add_i32 s2, s2, s3
	s_delay_alu instid0(SALU_CYCLE_1) | instskip(NEXT) | instid1(SALU_CYCLE_1)
	s_mul_hi_u32 s2, s15, s2
	s_mul_i32 s3, s2, s39
	s_add_i32 s4, s2, 1
	s_sub_i32 s3, s15, s3
	s_delay_alu instid0(SALU_CYCLE_1)
	s_sub_i32 s5, s3, s39
	s_cmp_ge_u32 s3, s39
	s_cselect_b32 s2, s4, s2
	s_cselect_b32 s3, s5, s3
	s_add_i32 s4, s2, 1
	s_cmp_ge_u32 s3, s39
	s_cselect_b32 s33, s4, s2
	s_abs_i32 s2, s47
	s_abs_i32 s6, s39
	v_cvt_f32_u32_e32 v1, s2
	s_sub_i32 s4, 0, s2
	s_mul_i32 s5, s33, s39
	s_delay_alu instid0(SALU_CYCLE_1) | instskip(NEXT) | instid1(VALU_DEP_1)
	s_sub_i32 s34, s15, s5
	v_rcp_iflag_f32_e32 v1, v1
	s_waitcnt_depctr 0xfff
	v_mul_f32_e32 v1, 0x4f7ffffe, v1
	s_delay_alu instid0(VALU_DEP_1) | instskip(NEXT) | instid1(VALU_DEP_1)
	v_cvt_u32_f32_e32 v1, v1
	v_readfirstlane_b32 s3, v1
	s_delay_alu instid0(VALU_DEP_1) | instskip(NEXT) | instid1(SALU_CYCLE_1)
	s_mul_i32 s4, s4, s3
	s_mul_hi_u32 s4, s3, s4
	s_delay_alu instid0(SALU_CYCLE_1) | instskip(SKIP_4) | instid1(SALU_CYCLE_1)
	s_add_i32 s3, s3, s4
	s_xor_b32 s4, s39, s47
	s_mul_hi_u32 s3, s6, s3
	s_ashr_i32 s4, s4, 31
	s_mul_i32 s5, s3, s2
	s_sub_i32 s5, s6, s5
	s_add_i32 s6, s3, 1
	s_sub_i32 s7, s5, s2
	s_cmp_ge_u32 s5, s2
	s_cselect_b32 s3, s6, s3
	s_cselect_b32 s5, s7, s5
	s_add_i32 s6, s3, 1
	s_cmp_ge_u32 s5, s2
	s_cselect_b32 s2, s6, s3
	s_abs_i32 s47, s34
	s_xor_b32 s2, s2, s4
	s_delay_alu instid0(SALU_CYCLE_1) | instskip(NEXT) | instid1(SALU_CYCLE_1)
	s_sub_i32 s40, s2, s4
	s_abs_i32 s12, s40
	s_delay_alu instid0(SALU_CYCLE_1) | instskip(SKIP_1) | instid1(VALU_DEP_1)
	v_cvt_f32_u32_e32 v1, s12
	s_sub_i32 s3, 0, s12
	v_rcp_iflag_f32_e32 v1, v1
	s_waitcnt_depctr 0xfff
	v_mul_f32_e32 v1, 0x4f7ffffe, v1
	s_delay_alu instid0(VALU_DEP_1) | instskip(NEXT) | instid1(VALU_DEP_1)
	v_cvt_u32_f32_e32 v1, v1
	v_readfirstlane_b32 s2, v1
	s_delay_alu instid0(VALU_DEP_1) | instskip(NEXT) | instid1(SALU_CYCLE_1)
	s_mul_i32 s3, s3, s2
	s_mul_hi_u32 s3, s2, s3
	s_delay_alu instid0(SALU_CYCLE_1)
	s_add_i32 s2, s2, s3
	s_cmp_eq_u64 s[22:23], 0
	s_cbranch_scc1 .LBB56_2
; %bb.1:
	s_abs_i32 s3, s48
	s_abs_i32 s6, s33
	v_cvt_f32_u32_e32 v1, s3
	s_sub_i32 s5, 0, s3
	s_delay_alu instid0(VALU_DEP_1) | instskip(SKIP_2) | instid1(VALU_DEP_1)
	v_rcp_iflag_f32_e32 v1, v1
	s_waitcnt_depctr 0xfff
	v_mul_f32_e32 v1, 0x4f7ffffe, v1
	v_cvt_u32_f32_e32 v1, v1
	s_delay_alu instid0(VALU_DEP_1) | instskip(NEXT) | instid1(VALU_DEP_1)
	v_readfirstlane_b32 s4, v1
	s_mul_i32 s5, s5, s4
	s_delay_alu instid0(SALU_CYCLE_1) | instskip(NEXT) | instid1(SALU_CYCLE_1)
	s_mul_hi_u32 s5, s4, s5
	s_add_i32 s7, s4, s5
	s_load_b64 s[4:5], s[0:1], 0xc8
	s_mul_hi_u32 s7, s6, s7
	s_delay_alu instid0(SALU_CYCLE_1) | instskip(NEXT) | instid1(SALU_CYCLE_1)
	s_mul_i32 s7, s7, s3
	s_sub_i32 s6, s6, s7
	s_ashr_i32 s7, s33, 31
	s_sub_i32 s8, s6, s3
	s_cmp_ge_u32 s6, s3
	s_cselect_b32 s6, s8, s6
	s_delay_alu instid0(SALU_CYCLE_1) | instskip(SKIP_2) | instid1(SALU_CYCLE_1)
	s_sub_i32 s8, s6, s3
	s_cmp_ge_u32 s6, s3
	s_cselect_b32 s3, s8, s6
	s_xor_b32 s3, s3, s7
	s_delay_alu instid0(SALU_CYCLE_1)
	s_sub_i32 s3, s3, s7
	s_waitcnt lgkmcnt(0)
	s_mul_i32 s5, s3, s5
	s_mul_hi_u32 s6, s3, s4
	s_ashr_i32 s7, s3, 31
	s_add_i32 s5, s6, s5
	s_mul_i32 s7, s7, s4
	s_mul_i32 s3, s3, s4
	s_add_i32 s5, s5, s7
	s_add_u32 s44, s22, s3
	s_addc_u32 s45, s23, s5
.LBB56_2:
	s_clause 0x1
	s_load_b128 s[8:11], s[0:1], 0x40
	s_load_b32 s3, s[0:1], 0x50
	v_mov_b32_e32 v50, 1.0
	s_mul_hi_u32 s48, s47, s2
	s_waitcnt lgkmcnt(0)
	v_cmp_le_f32_e64 s4, s9, 0
	s_delay_alu instid0(VALU_DEP_1)
	s_and_b32 vcc_lo, exec_lo, s4
	s_cbranch_vccnz .LBB56_4
; %bb.3:
	s_sub_i32 s2, s34, s3
	s_add_i32 s4, s34, 1
	s_lshl_b32 s2, s2, 1
	v_mov_b32_e32 v1, s10
	s_or_b32 s2, s2, 1
	s_cmp_lt_u32 s34, s3
	s_cselect_b32 vcc_lo, -1, 0
	s_delay_alu instid0(VALU_DEP_1)
	v_cndmask_b32_e32 v3, s11, v1, vcc_lo
	s_and_b32 s3, vcc_lo, exec_lo
	s_cselect_b32 s2, s4, s2
	s_mov_b32 s3, 0x3e76c4e1
	v_cvt_f32_i32_e32 v1, s2
	v_cmp_neq_f32_e32 vcc_lo, 1.0, v3
	s_delay_alu instid0(VALU_DEP_2) | instskip(NEXT) | instid1(VALU_DEP_1)
	v_cndmask_b32_e32 v4, 1.0, v1, vcc_lo
	v_cmp_eq_f32_e32 vcc_lo, 0, v4
	v_cndmask_b32_e64 v5, |v3|, 1.0, vcc_lo
	s_delay_alu instid0(VALU_DEP_1) | instskip(NEXT) | instid1(VALU_DEP_1)
	v_frexp_mant_f32_e32 v1, v5
	v_cmp_gt_f32_e64 s2, 0x3f2aaaab, v1
	s_delay_alu instid0(VALU_DEP_1) | instskip(NEXT) | instid1(VALU_DEP_1)
	v_cndmask_b32_e64 v2, 1.0, 2.0, s2
	v_mul_f32_e32 v1, v1, v2
	s_delay_alu instid0(VALU_DEP_1) | instskip(SKIP_1) | instid1(VALU_DEP_2)
	v_add_f32_e32 v2, 1.0, v1
	v_add_f32_e32 v7, -1.0, v1
	v_rcp_f32_e32 v6, v2
	s_waitcnt_depctr 0xfff
	v_mul_f32_e32 v8, v7, v6
	s_delay_alu instid0(VALU_DEP_1) | instskip(NEXT) | instid1(VALU_DEP_1)
	v_dual_add_f32 v9, -1.0, v2 :: v_dual_mul_f32 v10, v2, v8
	v_sub_f32_e32 v1, v1, v9
	v_cndmask_b32_e64 v3, v3, 1.0, vcc_lo
	s_delay_alu instid0(VALU_DEP_3) | instskip(NEXT) | instid1(VALU_DEP_2)
	v_fma_f32 v2, v8, v2, -v10
	v_cmp_eq_f32_e64 s4, 0, v3
	s_delay_alu instid0(VALU_DEP_2) | instskip(NEXT) | instid1(VALU_DEP_1)
	v_fmac_f32_e32 v2, v8, v1
	v_add_f32_e32 v1, v10, v2
	s_delay_alu instid0(VALU_DEP_1) | instskip(NEXT) | instid1(VALU_DEP_1)
	v_dual_sub_f32 v10, v1, v10 :: v_dual_sub_f32 v9, v7, v1
	v_dual_sub_f32 v2, v10, v2 :: v_dual_sub_f32 v7, v7, v9
	s_delay_alu instid0(VALU_DEP_1) | instskip(NEXT) | instid1(VALU_DEP_1)
	v_sub_f32_e32 v1, v7, v1
	v_add_f32_e32 v1, v2, v1
	s_delay_alu instid0(VALU_DEP_1) | instskip(NEXT) | instid1(VALU_DEP_1)
	v_add_f32_e32 v1, v9, v1
	v_mul_f32_e32 v1, v6, v1
	s_delay_alu instid0(VALU_DEP_1) | instskip(NEXT) | instid1(VALU_DEP_1)
	v_add_f32_e32 v6, v8, v1
	v_sub_f32_e32 v2, v6, v8
	v_mul_f32_e32 v7, v6, v6
	s_delay_alu instid0(VALU_DEP_2) | instskip(NEXT) | instid1(VALU_DEP_2)
	v_sub_f32_e32 v8, v1, v2
	v_fma_f32 v9, v6, v6, -v7
	s_delay_alu instid0(VALU_DEP_2) | instskip(NEXT) | instid1(VALU_DEP_1)
	v_add_f32_e32 v1, v8, v8
	v_fmac_f32_e32 v9, v6, v1
	v_cvt_f64_f32_e32 v[1:2], v5
	s_delay_alu instid0(VALU_DEP_2) | instskip(NEXT) | instid1(VALU_DEP_1)
	v_add_f32_e32 v10, v7, v9
	v_fmaak_f32 v11, s3, v10, 0x3e91f4c4
	v_sub_f32_e32 v7, v10, v7
	v_mul_f32_e32 v14, v6, v10
	s_delay_alu instid0(VALU_DEP_3) | instskip(NEXT) | instid1(VALU_DEP_3)
	v_fmaak_f32 v11, v10, v11, 0x3ecccdef
	v_sub_f32_e32 v7, v9, v7
	s_delay_alu instid0(VALU_DEP_2) | instskip(NEXT) | instid1(VALU_DEP_1)
	v_mul_f32_e32 v12, v10, v11
	v_fma_f32 v9, v10, v11, -v12
	s_delay_alu instid0(VALU_DEP_1) | instskip(NEXT) | instid1(VALU_DEP_1)
	v_fmac_f32_e32 v9, v7, v11
	v_add_f32_e32 v11, v12, v9
	v_frexp_exp_i32_f64_e32 v1, v[1:2]
	s_delay_alu instid0(VALU_DEP_2) | instskip(NEXT) | instid1(VALU_DEP_1)
	v_sub_f32_e32 v12, v11, v12
	v_sub_f32_e32 v2, v9, v12
	v_fma_f32 v12, v10, v6, -v14
	s_delay_alu instid0(VALU_DEP_2) | instskip(NEXT) | instid1(VALU_DEP_2)
	v_add_f32_e32 v2, 0x31739010, v2
	v_dual_add_f32 v13, 0x3f2aaaaa, v11 :: v_dual_fmac_f32 v12, v10, v8
	v_ldexp_f32 v8, v8, 1
	s_delay_alu instid0(VALU_DEP_2) | instskip(NEXT) | instid1(VALU_DEP_1)
	v_dual_add_f32 v9, 0xbf2aaaaa, v13 :: v_dual_fmac_f32 v12, v7, v6
	v_sub_f32_e32 v9, v11, v9
	s_delay_alu instid0(VALU_DEP_1) | instskip(NEXT) | instid1(VALU_DEP_3)
	v_add_f32_e32 v2, v2, v9
	v_add_f32_e32 v9, v14, v12
	s_delay_alu instid0(VALU_DEP_2) | instskip(NEXT) | instid1(VALU_DEP_1)
	v_add_f32_e32 v7, v13, v2
	v_sub_f32_e32 v10, v13, v7
	s_delay_alu instid0(VALU_DEP_3) | instskip(SKIP_2) | instid1(VALU_DEP_4)
	v_mul_f32_e32 v11, v9, v7
	v_sub_f32_e32 v13, v9, v14
	v_subrev_co_ci_u32_e64 v1, s2, 0, v1, s2
	v_add_f32_e32 v2, v2, v10
	s_delay_alu instid0(VALU_DEP_4) | instskip(NEXT) | instid1(VALU_DEP_4)
	v_fma_f32 v10, v9, v7, -v11
	v_sub_f32_e32 v12, v12, v13
	s_delay_alu instid0(VALU_DEP_4) | instskip(NEXT) | instid1(VALU_DEP_3)
	v_cvt_f32_i32_e32 v1, v1
	v_fmac_f32_e32 v10, v9, v2
	v_ldexp_f32 v2, v6, 1
	s_delay_alu instid0(VALU_DEP_2) | instskip(NEXT) | instid1(VALU_DEP_1)
	v_fmac_f32_e32 v10, v12, v7
	v_add_f32_e32 v6, v11, v10
	s_delay_alu instid0(VALU_DEP_1) | instskip(NEXT) | instid1(VALU_DEP_1)
	v_add_f32_e32 v7, v2, v6
	v_dual_sub_f32 v2, v7, v2 :: v_dual_sub_f32 v9, v6, v11
	s_delay_alu instid0(VALU_DEP_1) | instskip(NEXT) | instid1(VALU_DEP_2)
	v_sub_f32_e32 v2, v6, v2
	v_sub_f32_e32 v9, v10, v9
	s_delay_alu instid0(VALU_DEP_1) | instskip(NEXT) | instid1(VALU_DEP_1)
	v_add_f32_e32 v6, v8, v9
	v_dual_mul_f32 v11, 0x3f317218, v1 :: v_dual_add_f32 v2, v6, v2
	s_delay_alu instid0(VALU_DEP_1) | instskip(NEXT) | instid1(VALU_DEP_2)
	v_fma_f32 v10, 0x3f317218, v1, -v11
	v_add_f32_e32 v8, v7, v2
	s_delay_alu instid0(VALU_DEP_1) | instskip(NEXT) | instid1(VALU_DEP_1)
	v_sub_f32_e32 v7, v8, v7
	v_dual_fmamk_f32 v1, v1, 0xb102e308, v10 :: v_dual_sub_f32 v2, v2, v7
	s_delay_alu instid0(VALU_DEP_1) | instskip(NEXT) | instid1(VALU_DEP_1)
	v_add_f32_e32 v6, v11, v1
	v_add_f32_e32 v9, v6, v8
	s_delay_alu instid0(VALU_DEP_1) | instskip(NEXT) | instid1(VALU_DEP_1)
	v_dual_sub_f32 v11, v6, v11 :: v_dual_sub_f32 v10, v9, v6
	v_sub_f32_e32 v12, v9, v10
	s_delay_alu instid0(VALU_DEP_2) | instskip(NEXT) | instid1(VALU_DEP_2)
	v_sub_f32_e32 v1, v1, v11
	v_dual_sub_f32 v7, v8, v10 :: v_dual_sub_f32 v6, v6, v12
	s_delay_alu instid0(VALU_DEP_2) | instskip(NEXT) | instid1(VALU_DEP_2)
	v_add_f32_e32 v8, v1, v2
	v_add_f32_e32 v6, v7, v6
	s_delay_alu instid0(VALU_DEP_1) | instskip(NEXT) | instid1(VALU_DEP_1)
	v_add_f32_e32 v6, v8, v6
	v_dual_sub_f32 v7, v8, v1 :: v_dual_add_f32 v10, v9, v6
	s_delay_alu instid0(VALU_DEP_1) | instskip(SKIP_1) | instid1(VALU_DEP_3)
	v_sub_f32_e32 v8, v8, v7
	v_sub_f32_e32 v2, v2, v7
	;; [unrolled: 1-line block ×3, first 2 shown]
	s_delay_alu instid0(VALU_DEP_3) | instskip(NEXT) | instid1(VALU_DEP_1)
	v_sub_f32_e32 v1, v1, v8
	v_add_f32_e32 v1, v2, v1
	s_delay_alu instid0(VALU_DEP_3) | instskip(NEXT) | instid1(VALU_DEP_1)
	v_sub_f32_e32 v2, v6, v7
	v_add_f32_e32 v1, v1, v2
	s_delay_alu instid0(VALU_DEP_1) | instskip(NEXT) | instid1(VALU_DEP_1)
	v_add_f32_e32 v2, v10, v1
	v_mul_f32_e32 v7, v4, v2
	v_sub_f32_e32 v6, v2, v10
	s_delay_alu instid0(VALU_DEP_2) | instskip(NEXT) | instid1(VALU_DEP_2)
	v_fma_f32 v2, v4, v2, -v7
	v_sub_f32_e32 v1, v1, v6
	v_cmp_class_f32_e64 s2, v7, 0x204
	s_delay_alu instid0(VALU_DEP_2) | instskip(NEXT) | instid1(VALU_DEP_1)
	v_fmac_f32_e32 v2, v4, v1
	v_add_f32_e32 v1, v7, v2
	s_delay_alu instid0(VALU_DEP_1) | instskip(NEXT) | instid1(VALU_DEP_1)
	v_cndmask_b32_e64 v6, v1, v7, s2
	v_cmp_eq_f32_e64 s2, 0x42b17218, v6
	s_delay_alu instid0(VALU_DEP_1) | instskip(SKIP_1) | instid1(VALU_DEP_2)
	v_cndmask_b32_e64 v8, 0, 0x37000000, s2
	v_cmp_neq_f32_e64 s2, 0x7f800000, |v6|
	v_sub_f32_e32 v9, v6, v8
	v_trunc_f32_e32 v6, v4
	s_delay_alu instid0(VALU_DEP_2) | instskip(NEXT) | instid1(VALU_DEP_1)
	v_mul_f32_e32 v10, 0x3fb8aa3b, v9
	v_fma_f32 v11, 0x3fb8aa3b, v9, -v10
	v_rndne_f32_e32 v12, v10
	s_delay_alu instid0(VALU_DEP_1) | instskip(NEXT) | instid1(VALU_DEP_1)
	v_dual_fmamk_f32 v11, v9, 0x32a5705f, v11 :: v_dual_sub_f32 v10, v10, v12
	v_add_f32_e32 v10, v10, v11
	v_sub_f32_e32 v1, v1, v7
	v_cvt_i32_f32_e32 v7, v12
	s_delay_alu instid0(VALU_DEP_3) | instskip(NEXT) | instid1(VALU_DEP_2)
	v_exp_f32_e32 v10, v10
	v_sub_f32_e32 v1, v2, v1
	s_delay_alu instid0(VALU_DEP_1)
	v_cndmask_b32_e64 v1, 0, v1, s2
	v_cmp_ngt_f32_e64 s2, 0xc2ce8ed0, v9
	s_waitcnt_depctr 0xfff
	v_ldexp_f32 v2, v10, v7
	v_mul_f32_e32 v7, 0.5, v4
	v_add_f32_e32 v1, v8, v1
	s_delay_alu instid0(VALU_DEP_3) | instskip(NEXT) | instid1(VALU_DEP_3)
	v_cndmask_b32_e64 v2, 0, v2, s2
	v_trunc_f32_e32 v10, v7
	v_cmp_nlt_f32_e64 s2, 0x42b17218, v9
	s_delay_alu instid0(VALU_DEP_2) | instskip(NEXT) | instid1(VALU_DEP_2)
	v_cmp_neq_f32_e64 s3, v10, v7
	v_cndmask_b32_e64 v2, 0x7f800000, v2, s2
	v_cmp_eq_f32_e64 s2, v6, v4
	s_delay_alu instid0(VALU_DEP_2) | instskip(NEXT) | instid1(VALU_DEP_2)
	v_fma_f32 v1, v2, v1, v2
	s_and_b32 vcc_lo, s2, s3
	v_cmp_class_f32_e64 s3, v2, 0x204
	v_cndmask_b32_e32 v6, 1.0, v3, vcc_lo
	s_delay_alu instid0(VALU_DEP_2) | instskip(SKIP_1) | instid1(VALU_DEP_2)
	v_cndmask_b32_e64 v1, v1, v2, s3
	v_cmp_gt_f32_e64 s3, 0, v4
	v_bfi_b32 v1, 0x7fffffff, v1, v6
	s_delay_alu instid0(VALU_DEP_2)
	s_xor_b32 s3, s3, s4
	v_cndmask_b32_e32 v6, 0, v3, vcc_lo
	v_cndmask_b32_e64 v2, 0x7f800000, 0, s3
	v_cmp_eq_f32_e32 vcc_lo, 0x7f800000, v5
	v_cndmask_b32_e64 v4, 0x7fc00000, v1, s2
	v_cmp_gt_f32_e64 s2, 0, v3
	s_delay_alu instid0(VALU_DEP_4) | instskip(SKIP_1) | instid1(VALU_DEP_2)
	v_bfi_b32 v2, 0x7fffffff, v2, v6
	s_or_b32 vcc_lo, vcc_lo, s4
	v_cndmask_b32_e64 v1, v1, v4, s2
	s_delay_alu instid0(VALU_DEP_1) | instskip(SKIP_1) | instid1(VALU_DEP_2)
	v_cndmask_b32_e32 v1, v1, v2, vcc_lo
	v_cmp_o_f32_e32 vcc_lo, v3, v3
	v_cndmask_b32_e32 v50, 0x7fc00000, v1, vcc_lo
.LBB56_4:
	v_bfe_u32 v71, v0, 10, 10
	s_lshl_b32 s15, s13, 5
	s_load_b128 s[4:7], s[0:1], 0x70
	v_and_b32_e32 v39, 0x3ff, v0
	s_ashr_i32 s35, s34, 31
	v_lshlrev_b32_e32 v24, 3, v71
	s_ashr_i32 s9, s40, 31
	s_delay_alu instid0(VALU_DEP_2) | instskip(NEXT) | instid1(VALU_DEP_2)
	v_lshlrev_b32_e32 v7, 3, v39
	v_or_b32_e32 v36, 1, v24
	v_add_nc_u32_e32 v25, s15, v24
	v_or_b32_e32 v34, 2, v24
	v_or_b32_e32 v33, 3, v24
	s_delay_alu instid0(VALU_DEP_4) | instskip(NEXT) | instid1(VALU_DEP_4)
	v_add_nc_u32_e32 v38, s15, v36
	v_mul_hi_u32 v0, v25, s36
	s_delay_alu instid0(VALU_DEP_4) | instskip(NEXT) | instid1(VALU_DEP_4)
	v_add_nc_u32_e32 v40, s15, v34
	v_add_nc_u32_e32 v37, s15, v33
	s_delay_alu instid0(VALU_DEP_4) | instskip(SKIP_3) | instid1(VALU_DEP_4)
	v_mul_hi_u32 v1, v38, s36
	s_waitcnt lgkmcnt(0)
	s_mul_i32 s2, s33, s6
	s_mul_i32 s3, s34, s5
	v_add_nc_u32_e32 v0, v25, v0
	s_ashr_i32 s5, s2, 31
	s_add_u32 s2, s16, s2
	s_addc_u32 s5, s17, s5
	v_add_nc_u32_e32 v1, v38, v1
	v_lshrrev_b32_e32 v0, s37, v0
	s_ashr_i32 s6, s3, 31
	s_add_u32 s2, s2, s3
	v_mul_hi_u32 v3, v40, s36
	v_lshrrev_b32_e32 v1, s37, v1
	v_mul_lo_u32 v0, v0, s38
	s_addc_u32 s3, s5, s6
	s_ashr_i32 s5, s4, 31
	v_mul_hi_u32 v4, v37, s36
	v_mul_lo_u32 v2, v1, s38
	v_alignbit_b32 v19, s5, s4, 2
	v_add_nc_u32_e32 v5, v40, v3
	s_lshr_b32 s4, s5, 2
	v_sub_nc_u32_e32 v60, v25, v0
	v_add_co_u32 v20, s2, s2, v7
	v_add_nc_u32_e32 v6, v37, v4
	v_sub_nc_u32_e32 v8, v38, v2
	s_delay_alu instid0(VALU_DEP_4) | instskip(SKIP_2) | instid1(VALU_DEP_4)
	v_mad_u64_u32 v[0:1], null, v19, v60, 0
	v_lshrrev_b32_e32 v9, s37, v5
	v_add_co_ci_u32_e64 v21, null, s3, 0, s2
	v_mad_u64_u32 v[2:3], null, v19, v8, 0
	s_delay_alu instid0(VALU_DEP_3) | instskip(SKIP_2) | instid1(VALU_DEP_2)
	v_mul_lo_u32 v9, v9, s38
	s_mov_b32 s3, 0
	s_cmp_eq_u64 s[26:27], 0
	v_mad_u64_u32 v[4:5], null, s4, v60, v[1:2]
	s_delay_alu instid0(VALU_DEP_3)
	v_mov_b32_e32 v1, v3
	v_or_b32_e32 v31, 4, v24
	v_or_b32_e32 v29, 5, v24
	v_lshrrev_b32_e32 v3, s37, v6
	v_or_b32_e32 v27, 6, v24
	v_mad_u64_u32 v[5:6], null, s4, v8, v[1:2]
	v_add_nc_u32_e32 v35, s15, v31
	v_dual_mov_b32 v1, v4 :: v_dual_add_nc_u32 v32, s15, v29
	v_mul_lo_u32 v4, v3, s38
	v_add_nc_u32_e32 v30, s15, v27
	s_delay_alu instid0(VALU_DEP_4) | instskip(NEXT) | instid1(VALU_DEP_4)
	v_mul_hi_u32 v10, v35, s36
	v_mul_hi_u32 v11, v32, s36
	v_mov_b32_e32 v3, v5
	v_or_b32_e32 v26, 7, v24
	v_lshlrev_b64 v[0:1], 2, v[0:1]
	v_sub_nc_u32_e32 v12, v37, v4
	s_delay_alu instid0(VALU_DEP_4) | instskip(SKIP_4) | instid1(VALU_DEP_4)
	v_lshlrev_b64 v[2:3], 2, v[2:3]
	v_add_nc_u32_e32 v8, v35, v10
	v_sub_nc_u32_e32 v10, v40, v9
	v_add_nc_u32_e32 v9, v32, v11
	v_mad_u64_u32 v[6:7], null, v19, v12, 0
	v_lshrrev_b32_e32 v8, s37, v8
	s_delay_alu instid0(VALU_DEP_4) | instskip(SKIP_2) | instid1(VALU_DEP_4)
	v_mad_u64_u32 v[4:5], null, v19, v10, 0
	v_mul_hi_u32 v11, v30, s36
	v_add_nc_u32_e32 v28, s15, v26
	v_mul_lo_u32 v13, v8, s38
	v_lshrrev_b32_e32 v14, s37, v9
	v_add_co_u32 v0, vcc_lo, v20, v0
	s_delay_alu instid0(VALU_DEP_4)
	v_mul_hi_u32 v15, v28, s36
	v_mad_u64_u32 v[8:9], null, s4, v10, v[5:6]
	v_mov_b32_e32 v5, v7
	v_mul_lo_u32 v7, v14, s38
	v_add_nc_u32_e32 v11, v30, v11
	v_sub_nc_u32_e32 v16, v35, v13
	v_add_co_ci_u32_e32 v1, vcc_lo, v21, v1, vcc_lo
	v_mad_u64_u32 v[9:10], null, s4, v12, v[5:6]
	s_delay_alu instid0(VALU_DEP_4) | instskip(NEXT) | instid1(VALU_DEP_4)
	v_lshrrev_b32_e32 v12, s37, v11
	v_mad_u64_u32 v[10:11], null, v19, v16, 0
	v_add_nc_u32_e32 v5, v28, v15
	v_sub_nc_u32_e32 v22, v32, v7
	s_delay_alu instid0(VALU_DEP_4) | instskip(SKIP_1) | instid1(VALU_DEP_4)
	v_mul_lo_u32 v14, v12, s38
	v_add_co_u32 v2, vcc_lo, v20, v2
	v_lshrrev_b32_e32 v7, s37, v5
	v_mov_b32_e32 v5, v8
	v_mad_u64_u32 v[12:13], null, v19, v22, 0
	v_mov_b32_e32 v8, v11
	s_delay_alu instid0(VALU_DEP_4)
	v_mul_lo_u32 v17, v7, s38
	v_sub_nc_u32_e32 v23, v30, v14
	v_mov_b32_e32 v7, v9
	v_lshlrev_b64 v[4:5], 2, v[4:5]
	v_mad_u64_u32 v[14:15], null, s4, v16, v[8:9]
	v_mov_b32_e32 v8, v13
	v_mad_u64_u32 v[15:16], null, v19, v23, 0
	v_sub_nc_u32_e32 v41, v28, v17
	v_lshlrev_b64 v[6:7], 2, v[6:7]
	s_delay_alu instid0(VALU_DEP_4) | instskip(SKIP_1) | instid1(VALU_DEP_4)
	v_mad_u64_u32 v[17:18], null, s4, v22, v[8:9]
	v_mov_b32_e32 v11, v14
	v_mad_u64_u32 v[8:9], null, v19, v41, 0
	v_add_co_ci_u32_e32 v3, vcc_lo, v21, v3, vcc_lo
	s_delay_alu instid0(VALU_DEP_3) | instskip(SKIP_3) | instid1(VALU_DEP_4)
	v_lshlrev_b64 v[10:11], 2, v[10:11]
	v_mov_b32_e32 v13, v17
	v_mad_u64_u32 v[17:18], null, s4, v23, v[16:17]
	v_add_co_u32 v4, vcc_lo, v20, v4
	v_mad_u64_u32 v[18:19], null, s4, v41, v[9:10]
	v_add_co_ci_u32_e32 v5, vcc_lo, v21, v5, vcc_lo
	s_delay_alu instid0(VALU_DEP_4)
	v_mov_b32_e32 v16, v17
	v_add_co_u32 v6, vcc_lo, v20, v6
	v_lshlrev_b64 v[12:13], 2, v[12:13]
	v_mov_b32_e32 v9, v18
	v_add_co_ci_u32_e32 v7, vcc_lo, v21, v7, vcc_lo
	v_add_co_u32 v10, vcc_lo, v20, v10
	v_lshlrev_b64 v[14:15], 2, v[15:16]
	v_add_co_ci_u32_e32 v11, vcc_lo, v21, v11, vcc_lo
	global_load_b64 v[0:1], v[0:1], off
	v_add_co_u32 v12, vcc_lo, v20, v12
	v_lshlrev_b64 v[8:9], 2, v[8:9]
	v_add_co_ci_u32_e32 v13, vcc_lo, v21, v13, vcc_lo
	v_add_co_u32 v14, vcc_lo, v20, v14
	v_add_co_ci_u32_e32 v15, vcc_lo, v21, v15, vcc_lo
	s_delay_alu instid0(VALU_DEP_4)
	v_add_co_u32 v8, vcc_lo, v20, v8
	v_add_co_ci_u32_e32 v9, vcc_lo, v21, v9, vcc_lo
	s_clause 0x6
	global_load_b64 v[2:3], v[2:3], off
	global_load_b64 v[4:5], v[4:5], off
	global_load_b64 v[6:7], v[6:7], off
	global_load_b64 v[10:11], v[10:11], off
	global_load_b64 v[12:13], v[12:13], off
	global_load_b64 v[14:15], v[14:15], off
	global_load_b64 v[8:9], v[8:9], off
	v_lshlrev_b32_e32 v42, 2, v39
	v_lshlrev_b32_e32 v17, 5, v36
	;; [unrolled: 1-line block ×5, first 2 shown]
	v_lshl_or_b32 v16, v71, 10, v42
	v_lshlrev_b32_e32 v22, 5, v27
	v_lshlrev_b32_e32 v23, 5, v26
	v_add_lshl_u32 v17, v17, v39, 2
	v_add_lshl_u32 v18, v18, v39, 2
	;; [unrolled: 1-line block ×3, first 2 shown]
	v_lshl_or_b32 v20, v31, 7, v42
	v_add_lshl_u32 v21, v21, v39, 2
	v_add_lshl_u32 v22, v22, v39, 2
	;; [unrolled: 1-line block ×3, first 2 shown]
	s_waitcnt vmcnt(7)
	v_fma_mixlo_f16 v0, v0, s8, 0
	s_delay_alu instid0(VALU_DEP_1)
	v_fma_mixhi_f16 v0, v1, s8, 0
	s_waitcnt vmcnt(6)
	v_fma_mixlo_f16 v1, v2, s8, 0
	s_waitcnt vmcnt(5)
	v_fma_mixlo_f16 v2, v4, s8, 0
	;; [unrolled: 2-line block ×7, first 2 shown]
	v_fma_mixhi_f16 v1, v3, s8, 0
	v_fma_mixhi_f16 v2, v5, s8, 0
	;; [unrolled: 1-line block ×7, first 2 shown]
	ds_store_b32 v16, v0 offset:13312
	ds_store_b32 v17, v1 offset:13312
	;; [unrolled: 1-line block ×8, first 2 shown]
	s_waitcnt lgkmcnt(0)
	s_barrier
	buffer_gl0_inv
	s_cbranch_scc1 .LBB56_6
; %bb.5:
	s_load_b32 s2, s[0:1], 0xd0
	s_waitcnt lgkmcnt(0)
	s_mul_i32 s2, s2, s33
	s_delay_alu instid0(SALU_CYCLE_1) | instskip(NEXT) | instid1(SALU_CYCLE_1)
	s_add_i32 s2, s2, s13
	s_lshl_b64 s[2:3], s[2:3], 2
	s_delay_alu instid0(SALU_CYCLE_1)
	s_add_u32 s2, s26, s2
	s_addc_u32 s3, s27, s3
	s_load_b32 s46, s[2:3], 0x0
.LBB56_6:
	s_clause 0x2
	s_load_b64 s[2:3], s[0:1], 0x8c
	s_load_b128 s[40:43], s[0:1], 0x98
	s_load_b64 s[16:17], s[0:1], 0xa8
	s_ashr_i32 s11, s33, 31
	s_ashr_i32 s22, s49, 1
	s_mul_i32 s10, s48, s12
	v_dual_mov_b32 v63, 0 :: v_dual_mov_b32 v52, 0
	v_lshrrev_b32_e32 v72, 3, v39
	v_mul_u32_u24_e32 v62, 0x90, v39
	v_lshlrev_b32_e32 v43, 10, v71
	v_or_b32_e32 v61, 1, v25
	v_or_b32_e32 v59, 2, v25
	;; [unrolled: 1-line block ×7, first 2 shown]
	v_mbcnt_lo_u32_b32 v41, -1, 0
	s_mov_b32 s4, 0xfeffffff
	s_waitcnt lgkmcnt(0)
	s_ashr_i32 s23, s2, 2
	s_mul_i32 s2, s33, s41
	s_mul_hi_u32 s26, s33, s40
	s_mul_i32 s27, s11, s40
	s_add_i32 s2, s26, s2
	s_mul_i32 s26, s33, s40
	s_ashr_i32 s13, s42, 2
	s_add_i32 s2, s2, s27
	s_add_u32 s18, s18, s26
	s_addc_u32 s2, s19, s2
	s_sub_i32 s10, s47, s10
	s_xor_b32 s19, s35, s9
	s_add_i32 s26, s48, 1
	s_sub_i32 s27, s10, s12
	s_cmp_ge_u32 s10, s12
	s_mul_i32 s17, s33, s17
	s_cselect_b32 s26, s26, s48
	s_cselect_b32 s10, s27, s10
	s_add_i32 s27, s26, 1
	s_cmp_ge_u32 s10, s12
	s_mul_i32 s11, s11, s16
	s_cselect_b32 s12, s27, s26
	s_mul_hi_u32 s26, s33, s16
	s_xor_b32 s12, s12, s19
	s_mul_i32 s16, s33, s16
	s_sub_i32 s12, s12, s19
	s_delay_alu instid0(SALU_CYCLE_1)
	s_mul_i32 s3, s12, s3
	s_mul_i32 s12, s12, s43
	s_ashr_i32 s19, s3, 31
	s_add_u32 s18, s18, s3
	s_addc_u32 s19, s2, s19
	s_add_i32 s2, s26, s17
	s_delay_alu instid0(SALU_CYCLE_1)
	s_add_i32 s2, s2, s11
	s_add_u32 s3, s20, s16
	s_addc_u32 s2, s21, s2
	s_ashr_i32 s11, s12, 31
	s_add_u32 s16, s3, s12
	s_addc_u32 s17, s2, s11
	s_lshl_b32 s12, s14, 6
	s_sub_i32 s20, s46, 64
	s_delay_alu instid0(SALU_CYCLE_1)
	s_cmp_ge_i32 s12, s20
	s_cbranch_scc1 .LBB56_43
; %bb.7:
	v_mul_hi_u32 v1, s36, v61
	v_mul_hi_u32 v16, s36, v55
	v_lshl_add_u32 v8, v71, 2, v72
	v_mul_hi_u32 v2, s36, v59
	v_mul_hi_u32 v3, s36, v58
	s_lshl_b32 s2, s23, 4
	v_mul_hi_u32 v14, s36, v57
	v_mul_lo_u32 v0, s23, v8
	v_dual_mov_b32 v49, 0 :: v_dual_add_nc_u32 v4, v61, v1
	v_dual_mov_b32 v95, 0xfeffffff :: v_dual_add_nc_u32 v16, v55, v16
	v_mul_hi_u32 v15, s36, v56
	s_delay_alu instid0(VALU_DEP_3) | instskip(SKIP_1) | instid1(VALU_DEP_4)
	v_lshrrev_b32_e32 v7, s37, v4
	v_mul_hi_u32 v17, s36, v53
	v_lshrrev_b32_e32 v16, s37, v16
	v_dual_mov_b32 v102, 0xfeffffff :: v_dual_add_nc_u32 v5, v59, v2
	s_delay_alu instid0(VALU_DEP_4) | instskip(SKIP_4) | instid1(VALU_DEP_4)
	v_mul_lo_u32 v13, v7, s38
	v_dual_mov_b32 v51, 0 :: v_dual_add_nc_u32 v2, s2, v0
	v_dual_mov_b32 v46, 0 :: v_dual_add_nc_u32 v3, v58, v3
	v_mul_lo_u32 v18, v16, s38
	v_mul_lo_u32 v16, s13, v8
	v_dual_mov_b32 v103, 0xfeffffff :: v_dual_add_nc_u32 v4, s2, v2
	v_lshrrev_b32_e32 v11, s37, v5
	v_lshrrev_b32_e32 v12, s37, v3
	v_sub_nc_u32_e32 v13, v61, v13
	v_dual_mov_b32 v99, 0xfeffffff :: v_dual_add_nc_u32 v14, v57, v14
	v_dual_mov_b32 v52, 0 :: v_dual_add_nc_u32 v15, v56, v15
	;; [unrolled: 1-line block ×3, first 2 shown]
	s_cmp_lg_u64 s[44:45], 0
	v_dual_mov_b32 v101, 0xfeffffff :: v_dual_add_nc_u32 v6, s2, v4
	s_cselect_b32 s4, -1, 0
	s_lshl_b32 s2, s13, 4
	v_mul_lo_u32 v11, v11, s38
	v_mul_lo_u32 v12, v12, s38
	v_lshrrev_b32_e32 v14, s37, v14
	v_lshrrev_b32_e32 v15, s37, v15
	;; [unrolled: 1-line block ×3, first 2 shown]
	v_mul_lo_u32 v78, v13, s22
	v_sub_nc_u32_e32 v13, v55, v18
	v_dual_mov_b32 v97, 0 :: v_dual_add_nc_u32 v18, s2, v16
	v_mul_lo_u32 v14, v14, s38
	v_mul_lo_u32 v15, v15, s38
	;; [unrolled: 1-line block ×3, first 2 shown]
	s_delay_alu instid0(VALU_DEP_4)
	v_dual_mov_b32 v93, 0 :: v_dual_add_nc_u32 v20, s2, v18
	v_and_b32_e32 v10, 28, v42
	v_add_nc_u32_e32 v86, 0x2400, v43
	v_dual_mov_b32 v98, 0xfeffffff :: v_dual_lshlrev_b32 v45, 4, v39
	v_sub_nc_u32_e32 v11, v59, v11
	v_sub_nc_u32_e32 v12, v58, v12
	v_add_nc_u32_e32 v22, s2, v20
	s_delay_alu instid0(VALU_DEP_4)
	v_dual_mov_b32 v96, 0xfeffffff :: v_dual_add_nc_u32 v91, v86, v45
	v_dual_mov_b32 v45, 0 :: v_dual_mov_b32 v44, 0
	v_lshlrev_b32_e32 v9, 2, v10
	v_mul_lo_u32 v79, v11, s22
	v_mul_lo_u32 v80, v12, s22
	v_sub_nc_u32_e32 v11, v57, v14
	v_sub_nc_u32_e32 v12, v56, v15
	v_sub_nc_u32_e32 v14, v53, v17
	v_ashrrev_i32_e32 v1, 31, v0
	v_ashrrev_i32_e32 v3, 31, v2
	;; [unrolled: 1-line block ×8, first 2 shown]
	v_mad_u32_u24 v73, 0x90, v8, v9
	v_lshl_or_b32 v85, v8, 7, v9
	v_mul_lo_u32 v77, v60, s22
	v_mul_lo_u32 v81, v11, s22
	;; [unrolled: 1-line block ×5, first 2 shown]
	v_lshlrev_b64 v[8:9], 2, v[0:1]
	v_lshlrev_b32_e32 v90, 2, v10
	v_lshlrev_b64 v[10:11], 2, v[2:3]
	v_lshlrev_b64 v[12:13], 2, v[4:5]
	;; [unrolled: 1-line block ×7, first 2 shown]
	v_dual_mov_b32 v47, 0 :: v_dual_add_nc_u32 v54, 0x3400, v43
	v_dual_mov_b32 v5, 0 :: v_dual_add_nc_u32 v74, 0x900, v73
	;; [unrolled: 1-line block ×5, first 2 shown]
	v_add_nc_u32_e32 v88, 0x1000, v85
	v_dual_mov_b32 v4, 0 :: v_dual_add_nc_u32 v89, 0x1800, v85
	s_add_u32 s2, s0, 0xd0
	v_mbcnt_lo_u32_b32 v92, -1, 0
	v_mov_b32_e32 v6, 0
	v_mov_b32_e32 v94, 0
	s_addc_u32 s3, s1, 0
	s_add_u32 s5, s44, 64
	s_addc_u32 s6, s45, 0
.LBB56_8:                               ; =>This Inner Loop Header: Depth=1
	s_mul_hi_i32 s9, s12, s23
	s_mul_i32 s8, s12, s23
	v_mov_b32_e32 v108, 0
	s_lshl_b64 s[8:9], s[8:9], 2
	v_mov_b32_e32 v106, 0
	s_add_u32 s7, s18, s8
	s_addc_u32 s8, s19, s9
	v_add_co_u32 v0, vcc_lo, s7, v8
	v_add_co_ci_u32_e32 v1, vcc_lo, s8, v9, vcc_lo
	v_add_co_u32 v3, vcc_lo, s7, v10
	v_add_co_ci_u32_e32 v63, vcc_lo, s8, v11, vcc_lo
	s_delay_alu instid0(VALU_DEP_4) | instskip(NEXT) | instid1(VALU_DEP_4)
	v_add_co_u32 v0, vcc_lo, v0, v90
	v_add_co_ci_u32_e32 v1, vcc_lo, 0, v1, vcc_lo
	s_delay_alu instid0(VALU_DEP_4) | instskip(NEXT) | instid1(VALU_DEP_4)
	v_add_co_u32 v67, vcc_lo, v3, v90
	v_add_co_ci_u32_e32 v68, vcc_lo, 0, v63, vcc_lo
	v_add_co_u32 v3, vcc_lo, s7, v12
	v_add_co_ci_u32_e32 v63, vcc_lo, s8, v13, vcc_lo
	;; [unrolled: 2-line block ×3, first 2 shown]
	s_delay_alu instid0(VALU_DEP_4) | instskip(NEXT) | instid1(VALU_DEP_4)
	v_add_co_u32 v69, vcc_lo, v3, v90
	v_add_co_ci_u32_e32 v70, vcc_lo, 0, v63, vcc_lo
	s_delay_alu instid0(VALU_DEP_4) | instskip(NEXT) | instid1(VALU_DEP_4)
	v_add_co_u32 v104, vcc_lo, v64, v90
	v_add_co_ci_u32_e32 v105, vcc_lo, 0, v65, vcc_lo
	s_clause 0x3
	global_load_b128 v[63:66], v[0:1], off
	global_load_b128 v[109:112], v[67:68], off
	global_load_b128 v[113:116], v[69:70], off
	global_load_b128 v[117:120], v[104:105], off
	v_mov_b32_e32 v67, 0
	v_dual_mov_b32 v69, 0 :: v_dual_mov_b32 v104, 0
	v_dual_mov_b32 v3, 0 :: v_dual_mov_b32 v70, 0
	v_mov_b32_e32 v107, 0
	v_mov_b32_e32 v105, 0
	s_and_not1_b32 vcc_lo, exec_lo, s4
	s_waitcnt vmcnt(3)
	ds_store_b128 v73, v[63:66]
	s_waitcnt vmcnt(2)
	ds_store_b128 v74, v[109:112]
	;; [unrolled: 2-line block ×4, first 2 shown]
	v_mov_b32_e32 v64, 0
	s_waitcnt lgkmcnt(0)
	s_barrier
	buffer_gl0_inv
	ds_load_b128 v[111:114], v62
	ds_load_b128 v[115:118], v54
	ds_load_b128 v[119:122], v54 offset:128
	ds_load_b128 v[123:126], v54 offset:256
	;; [unrolled: 1-line block ×8, first 2 shown]
	v_mov_b32_e32 v65, 0
	v_dual_mov_b32 v63, 0 :: v_dual_mov_b32 v110, 0
	s_waitcnt lgkmcnt(8)
	;;#ASMSTART
	v_dot2_f32_f16 v108, v111, v115, v108
	;;#ASMEND
	;;#ASMSTART
	v_dot2_f32_f16 v108, v112, v116, v108
	;;#ASMEND
	;;#ASMSTART
	v_dot2_f32_f16 v108, v113, v117, v108
	;;#ASMEND
	;;#ASMSTART
	v_dot2_f32_f16 v108, v114, v118, v108
	;;#ASMEND
	s_waitcnt lgkmcnt(7)
	;;#ASMSTART
	v_dot2_f32_f16 v106, v111, v119, v106
	;;#ASMEND
	;;#ASMSTART
	v_dot2_f32_f16 v106, v112, v120, v106
	;;#ASMEND
	;;#ASMSTART
	v_dot2_f32_f16 v106, v113, v121, v106
	;;#ASMEND
	;;#ASMSTART
	v_dot2_f32_f16 v106, v114, v122, v106
	;;#ASMEND
	s_waitcnt lgkmcnt(6)
	;;#ASMSTART
	v_dot2_f32_f16 v104, v111, v123, v104
	;;#ASMEND
	;;#ASMSTART
	v_dot2_f32_f16 v104, v112, v124, v104
	;;#ASMEND
	;;#ASMSTART
	v_dot2_f32_f16 v104, v113, v125, v104
	;;#ASMEND
	;;#ASMSTART
	v_dot2_f32_f16 v104, v114, v126, v104
	;;#ASMEND
	s_waitcnt lgkmcnt(5)
	;;#ASMSTART
	v_dot2_f32_f16 v69, v111, v127, v69
	;;#ASMEND
	;;#ASMSTART
	v_dot2_f32_f16 v69, v112, v128, v69
	;;#ASMEND
	;;#ASMSTART
	v_dot2_f32_f16 v69, v113, v129, v69
	;;#ASMEND
	;;#ASMSTART
	v_dot2_f32_f16 v69, v114, v130, v69
	;;#ASMEND
	s_waitcnt lgkmcnt(3)
	;;#ASMSTART
	v_dot2_f32_f16 v67, v111, v135, v67
	;;#ASMEND
	;;#ASMSTART
	v_dot2_f32_f16 v67, v112, v136, v67
	;;#ASMEND
	;;#ASMSTART
	v_dot2_f32_f16 v67, v113, v137, v67
	;;#ASMEND
	;;#ASMSTART
	v_dot2_f32_f16 v67, v114, v138, v67
	;;#ASMEND
	s_waitcnt lgkmcnt(2)
	;;#ASMSTART
	v_dot2_f32_f16 v65, v111, v139, v65
	;;#ASMEND
	;;#ASMSTART
	v_dot2_f32_f16 v65, v112, v140, v65
	;;#ASMEND
	;;#ASMSTART
	v_dot2_f32_f16 v65, v113, v141, v65
	;;#ASMEND
	;;#ASMSTART
	v_dot2_f32_f16 v65, v114, v142, v65
	;;#ASMEND
	s_waitcnt lgkmcnt(1)
	;;#ASMSTART
	v_dot2_f32_f16 v63, v111, v143, v63
	;;#ASMEND
	;;#ASMSTART
	v_dot2_f32_f16 v63, v112, v144, v63
	;;#ASMEND
	;;#ASMSTART
	v_dot2_f32_f16 v63, v113, v145, v63
	;;#ASMEND
	;;#ASMSTART
	v_dot2_f32_f16 v63, v114, v146, v63
	;;#ASMEND
	s_waitcnt lgkmcnt(0)
	;;#ASMSTART
	v_dot2_f32_f16 v3, v111, v147, v3
	;;#ASMEND
	;;#ASMSTART
	v_dot2_f32_f16 v3, v112, v148, v3
	;;#ASMEND
	;;#ASMSTART
	v_dot2_f32_f16 v3, v113, v149, v3
	;;#ASMEND
	;;#ASMSTART
	v_dot2_f32_f16 v3, v114, v150, v3
	;;#ASMEND
	;;#ASMSTART
	v_dot2_f32_f16 v110, v131, v115, v110
	;;#ASMEND
	;;#ASMSTART
	v_dot2_f32_f16 v110, v132, v116, v110
	;;#ASMEND
	v_dual_mov_b32 v109, 0 :: v_dual_mov_b32 v68, 0
	;;#ASMSTART
	v_dot2_f32_f16 v110, v133, v117, v110
	;;#ASMEND
	;;#ASMSTART
	v_dot2_f32_f16 v110, v134, v118, v110
	;;#ASMEND
	;; [unrolled: 3-line block ×5, first 2 shown]
	v_mov_b32_e32 v66, 0
	;;#ASMSTART
	v_dot2_f32_f16 v109, v134, v122, v109
	;;#ASMEND
	;;#ASMSTART
	v_dot2_f32_f16 v107, v131, v123, v107
	;;#ASMEND
	;; [unrolled: 3-line block ×25, first 2 shown]
	ds_load_b128 v[111:114], v62 offset:16
	ds_load_b128 v[115:118], v54 offset:16
	;; [unrolled: 1-line block ×10, first 2 shown]
	s_waitcnt lgkmcnt(8)
	;;#ASMSTART
	v_dot2_f32_f16 v108, v111, v115, v108
	;;#ASMEND
	;;#ASMSTART
	v_dot2_f32_f16 v108, v112, v116, v108
	;;#ASMEND
	;;#ASMSTART
	v_dot2_f32_f16 v108, v113, v117, v108
	;;#ASMEND
	;;#ASMSTART
	v_dot2_f32_f16 v108, v114, v118, v108
	;;#ASMEND
	s_waitcnt lgkmcnt(7)
	;;#ASMSTART
	v_dot2_f32_f16 v106, v111, v119, v106
	;;#ASMEND
	;;#ASMSTART
	v_dot2_f32_f16 v106, v112, v120, v106
	;;#ASMEND
	;;#ASMSTART
	v_dot2_f32_f16 v106, v113, v121, v106
	;;#ASMEND
	;;#ASMSTART
	v_dot2_f32_f16 v106, v114, v122, v106
	;;#ASMEND
	;; [unrolled: 13-line block ×8, first 2 shown]
	;;#ASMSTART
	v_dot2_f32_f16 v110, v131, v115, v110
	;;#ASMEND
	;;#ASMSTART
	v_dot2_f32_f16 v110, v132, v116, v110
	;;#ASMEND
	;; [unrolled: 3-line block ×32, first 2 shown]
	ds_load_b128 v[111:114], v62 offset:32
	ds_load_b128 v[115:118], v54 offset:32
	;; [unrolled: 1-line block ×10, first 2 shown]
	s_waitcnt lgkmcnt(8)
	;;#ASMSTART
	v_dot2_f32_f16 v108, v111, v115, v108
	;;#ASMEND
	;;#ASMSTART
	v_dot2_f32_f16 v108, v112, v116, v108
	;;#ASMEND
	;;#ASMSTART
	v_dot2_f32_f16 v108, v113, v117, v108
	;;#ASMEND
	;;#ASMSTART
	v_dot2_f32_f16 v108, v114, v118, v108
	;;#ASMEND
	s_waitcnt lgkmcnt(7)
	;;#ASMSTART
	v_dot2_f32_f16 v106, v111, v119, v106
	;;#ASMEND
	;;#ASMSTART
	v_dot2_f32_f16 v106, v112, v120, v106
	;;#ASMEND
	;;#ASMSTART
	v_dot2_f32_f16 v106, v113, v121, v106
	;;#ASMEND
	;;#ASMSTART
	v_dot2_f32_f16 v106, v114, v122, v106
	;;#ASMEND
	;; [unrolled: 13-line block ×8, first 2 shown]
	;;#ASMSTART
	v_dot2_f32_f16 v110, v131, v115, v110
	;;#ASMEND
	;;#ASMSTART
	v_dot2_f32_f16 v110, v132, v116, v110
	;;#ASMEND
	;; [unrolled: 3-line block ×32, first 2 shown]
	ds_load_b128 v[111:114], v62 offset:48
	ds_load_b128 v[115:118], v54 offset:48
	;; [unrolled: 1-line block ×10, first 2 shown]
	s_waitcnt lgkmcnt(8)
	;;#ASMSTART
	v_dot2_f32_f16 v108, v111, v115, v108
	;;#ASMEND
	;;#ASMSTART
	v_dot2_f32_f16 v108, v112, v116, v108
	;;#ASMEND
	;;#ASMSTART
	v_dot2_f32_f16 v108, v113, v117, v108
	;;#ASMEND
	;;#ASMSTART
	v_dot2_f32_f16 v108, v114, v118, v108
	;;#ASMEND
	s_waitcnt lgkmcnt(7)
	;;#ASMSTART
	v_dot2_f32_f16 v106, v111, v119, v106
	;;#ASMEND
	;;#ASMSTART
	v_dot2_f32_f16 v106, v112, v120, v106
	;;#ASMEND
	;;#ASMSTART
	v_dot2_f32_f16 v106, v113, v121, v106
	;;#ASMEND
	;;#ASMSTART
	v_dot2_f32_f16 v106, v114, v122, v106
	;;#ASMEND
	;; [unrolled: 13-line block ×8, first 2 shown]
	;;#ASMSTART
	v_dot2_f32_f16 v110, v131, v115, v110
	;;#ASMEND
	;;#ASMSTART
	v_dot2_f32_f16 v110, v132, v116, v110
	;;#ASMEND
	;;#ASMSTART
	v_dot2_f32_f16 v110, v133, v117, v110
	;;#ASMEND
	;;#ASMSTART
	v_dot2_f32_f16 v110, v134, v118, v110
	;;#ASMEND
	;;#ASMSTART
	v_dot2_f32_f16 v109, v131, v119, v109
	;;#ASMEND
	;;#ASMSTART
	v_dot2_f32_f16 v109, v132, v120, v109
	;;#ASMEND
	;;#ASMSTART
	v_dot2_f32_f16 v109, v133, v121, v109
	;;#ASMEND
	;;#ASMSTART
	v_dot2_f32_f16 v109, v134, v122, v109
	;;#ASMEND
	;;#ASMSTART
	v_dot2_f32_f16 v107, v131, v123, v107
	;;#ASMEND
	;;#ASMSTART
	v_dot2_f32_f16 v107, v132, v124, v107
	;;#ASMEND
	;;#ASMSTART
	v_dot2_f32_f16 v107, v133, v125, v107
	;;#ASMEND
	;;#ASMSTART
	v_dot2_f32_f16 v107, v134, v126, v107
	;;#ASMEND
	;;#ASMSTART
	v_dot2_f32_f16 v105, v131, v127, v105
	;;#ASMEND
	;;#ASMSTART
	v_dot2_f32_f16 v105, v132, v128, v105
	;;#ASMEND
	;;#ASMSTART
	v_dot2_f32_f16 v105, v133, v129, v105
	;;#ASMEND
	;;#ASMSTART
	v_dot2_f32_f16 v105, v134, v130, v105
	;;#ASMEND
	;;#ASMSTART
	v_dot2_f32_f16 v70, v131, v135, v70
	;;#ASMEND
	;;#ASMSTART
	v_dot2_f32_f16 v70, v132, v136, v70
	;;#ASMEND
	;;#ASMSTART
	v_dot2_f32_f16 v70, v133, v137, v70
	;;#ASMEND
	;;#ASMSTART
	v_dot2_f32_f16 v70, v134, v138, v70
	;;#ASMEND
	;;#ASMSTART
	v_dot2_f32_f16 v68, v131, v139, v68
	;;#ASMEND
	;;#ASMSTART
	v_dot2_f32_f16 v68, v132, v140, v68
	;;#ASMEND
	;;#ASMSTART
	v_dot2_f32_f16 v68, v133, v141, v68
	;;#ASMEND
	;;#ASMSTART
	v_dot2_f32_f16 v68, v134, v142, v68
	;;#ASMEND
	;;#ASMSTART
	v_dot2_f32_f16 v66, v131, v143, v66
	;;#ASMEND
	;;#ASMSTART
	v_dot2_f32_f16 v66, v132, v144, v66
	;;#ASMEND
	;;#ASMSTART
	v_dot2_f32_f16 v66, v133, v145, v66
	;;#ASMEND
	;;#ASMSTART
	v_dot2_f32_f16 v66, v134, v146, v66
	;;#ASMEND
	;;#ASMSTART
	v_dot2_f32_f16 v64, v131, v147, v64
	;;#ASMEND
	;;#ASMSTART
	v_dot2_f32_f16 v64, v132, v148, v64
	;;#ASMEND
	;;#ASMSTART
	v_dot2_f32_f16 v64, v133, v149, v64
	;;#ASMEND
	;;#ASMSTART
	v_dot2_f32_f16 v64, v134, v150, v64
	;;#ASMEND
	ds_load_b128 v[111:114], v62 offset:64
	ds_load_b128 v[115:118], v54 offset:64
	;; [unrolled: 1-line block ×10, first 2 shown]
	s_waitcnt lgkmcnt(8)
	;;#ASMSTART
	v_dot2_f32_f16 v108, v111, v115, v108
	;;#ASMEND
	;;#ASMSTART
	v_dot2_f32_f16 v108, v112, v116, v108
	;;#ASMEND
	;;#ASMSTART
	v_dot2_f32_f16 v108, v113, v117, v108
	;;#ASMEND
	;;#ASMSTART
	v_dot2_f32_f16 v108, v114, v118, v108
	;;#ASMEND
	s_waitcnt lgkmcnt(7)
	;;#ASMSTART
	v_dot2_f32_f16 v106, v111, v119, v106
	;;#ASMEND
	;;#ASMSTART
	v_dot2_f32_f16 v106, v112, v120, v106
	;;#ASMEND
	;;#ASMSTART
	v_dot2_f32_f16 v106, v113, v121, v106
	;;#ASMEND
	;;#ASMSTART
	v_dot2_f32_f16 v106, v114, v122, v106
	;;#ASMEND
	;; [unrolled: 13-line block ×8, first 2 shown]
	;;#ASMSTART
	v_dot2_f32_f16 v110, v131, v115, v110
	;;#ASMEND
	;;#ASMSTART
	v_dot2_f32_f16 v110, v132, v116, v110
	;;#ASMEND
	;; [unrolled: 3-line block ×32, first 2 shown]
	ds_load_b128 v[111:114], v62 offset:80
	ds_load_b128 v[115:118], v54 offset:80
	;; [unrolled: 1-line block ×10, first 2 shown]
	s_waitcnt lgkmcnt(8)
	;;#ASMSTART
	v_dot2_f32_f16 v108, v111, v115, v108
	;;#ASMEND
	;;#ASMSTART
	v_dot2_f32_f16 v108, v112, v116, v108
	;;#ASMEND
	;;#ASMSTART
	v_dot2_f32_f16 v108, v113, v117, v108
	;;#ASMEND
	;;#ASMSTART
	v_dot2_f32_f16 v108, v114, v118, v108
	;;#ASMEND
	s_waitcnt lgkmcnt(7)
	;;#ASMSTART
	v_dot2_f32_f16 v106, v111, v119, v106
	;;#ASMEND
	;;#ASMSTART
	v_dot2_f32_f16 v106, v112, v120, v106
	;;#ASMEND
	;;#ASMSTART
	v_dot2_f32_f16 v106, v113, v121, v106
	;;#ASMEND
	;;#ASMSTART
	v_dot2_f32_f16 v106, v114, v122, v106
	;;#ASMEND
	;; [unrolled: 13-line block ×8, first 2 shown]
	;;#ASMSTART
	v_dot2_f32_f16 v110, v131, v115, v110
	;;#ASMEND
	;;#ASMSTART
	v_dot2_f32_f16 v110, v132, v116, v110
	;;#ASMEND
	;; [unrolled: 3-line block ×32, first 2 shown]
	ds_load_b128 v[111:114], v62 offset:96
	ds_load_b128 v[115:118], v54 offset:96
	;; [unrolled: 1-line block ×10, first 2 shown]
	s_waitcnt lgkmcnt(8)
	;;#ASMSTART
	v_dot2_f32_f16 v108, v111, v115, v108
	;;#ASMEND
	;;#ASMSTART
	v_dot2_f32_f16 v108, v112, v116, v108
	;;#ASMEND
	;;#ASMSTART
	v_dot2_f32_f16 v108, v113, v117, v108
	;;#ASMEND
	;;#ASMSTART
	v_dot2_f32_f16 v108, v114, v118, v108
	;;#ASMEND
	s_waitcnt lgkmcnt(7)
	;;#ASMSTART
	v_dot2_f32_f16 v106, v111, v119, v106
	;;#ASMEND
	;;#ASMSTART
	v_dot2_f32_f16 v106, v112, v120, v106
	;;#ASMEND
	;;#ASMSTART
	v_dot2_f32_f16 v106, v113, v121, v106
	;;#ASMEND
	;;#ASMSTART
	v_dot2_f32_f16 v106, v114, v122, v106
	;;#ASMEND
	;; [unrolled: 13-line block ×8, first 2 shown]
	;;#ASMSTART
	v_dot2_f32_f16 v110, v131, v115, v110
	;;#ASMEND
	;;#ASMSTART
	v_dot2_f32_f16 v110, v132, v116, v110
	;;#ASMEND
	;; [unrolled: 3-line block ×32, first 2 shown]
	ds_load_b128 v[112:115], v62 offset:112
	ds_load_b128 v[116:119], v54 offset:112
	;; [unrolled: 1-line block ×10, first 2 shown]
	s_waitcnt lgkmcnt(8)
	;;#ASMSTART
	v_dot2_f32_f16 v108, v112, v116, v108
	;;#ASMEND
	;;#ASMSTART
	v_dot2_f32_f16 v108, v113, v117, v108
	;;#ASMEND
	;;#ASMSTART
	v_dot2_f32_f16 v108, v114, v118, v108
	;;#ASMEND
	;;#ASMSTART
	v_dot2_f32_f16 v108, v115, v119, v108
	;;#ASMEND
	s_waitcnt lgkmcnt(7)
	;;#ASMSTART
	v_dot2_f32_f16 v106, v112, v120, v106
	;;#ASMEND
	;;#ASMSTART
	v_dot2_f32_f16 v106, v113, v121, v106
	;;#ASMEND
	;;#ASMSTART
	v_dot2_f32_f16 v106, v114, v122, v106
	;;#ASMEND
	;;#ASMSTART
	v_dot2_f32_f16 v106, v115, v123, v106
	;;#ASMEND
	;; [unrolled: 13-line block ×8, first 2 shown]
	;;#ASMSTART
	v_dot2_f32_f16 v110, v133, v116, v110
	;;#ASMEND
	;;#ASMSTART
	v_dot2_f32_f16 v110, v134, v117, v110
	;;#ASMEND
	;; [unrolled: 3-line block ×11, first 2 shown]
	v_dual_mov_b32 v111, 0 :: v_dual_add_nc_u32 v128, s12, v39
	;;#ASMSTART
	v_dot2_f32_f16 v107, v136, v127, v107
	;;#ASMEND
	;;#ASMSTART
	v_dot2_f32_f16 v105, v133, v129, v105
	;;#ASMEND
	;; [unrolled: 3-line block ×7, first 2 shown]
	v_add_nc_u32_e32 v0, v128, v77
	;;#ASMSTART
	v_dot2_f32_f16 v70, v135, v139, v70
	;;#ASMEND
	;;#ASMSTART
	v_dot2_f32_f16 v70, v136, v140, v70
	;;#ASMEND
	;; [unrolled: 3-line block ×7, first 2 shown]
	v_ashrrev_i32_e32 v1, 31, v0
	;;#ASMSTART
	v_dot2_f32_f16 v66, v134, v146, v66
	;;#ASMEND
	;;#ASMSTART
	v_dot2_f32_f16 v66, v135, v147, v66
	;;#ASMEND
	;; [unrolled: 3-line block ×7, first 2 shown]
	s_cbranch_vccnz .LBB56_10
; %bb.9:                                ;   in Loop: Header=BB56_8 Depth=1
	v_lshlrev_b64 v[111:112], 1, v[0:1]
	s_delay_alu instid0(VALU_DEP_1) | instskip(NEXT) | instid1(VALU_DEP_2)
	v_add_co_u32 v111, vcc_lo, s44, v111
	v_add_co_ci_u32_e32 v112, vcc_lo, s45, v112, vcc_lo
	flat_load_u16 v111, v[111:112]
	s_waitcnt vmcnt(0) lgkmcnt(0)
	v_cvt_f32_f16_e32 v111, v111
	s_delay_alu instid0(VALU_DEP_1)
	v_mul_f32_e32 v111, v50, v111
.LBB56_10:                              ;   in Loop: Header=BB56_8 Depth=1
	v_mov_b32_e32 v116, 0
	v_mov_b32_e32 v112, 0
	s_and_not1_b32 vcc_lo, exec_lo, s4
	s_cbranch_vccnz .LBB56_12
; %bb.11:                               ;   in Loop: Header=BB56_8 Depth=1
	v_lshlrev_b64 v[0:1], 1, v[0:1]
	s_delay_alu instid0(VALU_DEP_1) | instskip(NEXT) | instid1(VALU_DEP_2)
	v_add_co_u32 v0, vcc_lo, s5, v0
	v_add_co_ci_u32_e32 v1, vcc_lo, s6, v1, vcc_lo
	flat_load_u16 v0, v[0:1]
	s_waitcnt vmcnt(0) lgkmcnt(0)
	v_cvt_f32_f16_e32 v0, v0
	s_delay_alu instid0(VALU_DEP_1)
	v_mul_f32_e32 v112, v50, v0
.LBB56_12:                              ;   in Loop: Header=BB56_8 Depth=1
	v_xor_b32_e32 v0, 16, v92
	s_delay_alu instid0(VALU_DEP_2) | instskip(SKIP_1) | instid1(VALU_DEP_3)
	v_add_f32_e32 v113, v110, v112
	v_add_f32_e32 v111, v108, v111
	v_cmp_gt_i32_e32 vcc_lo, 32, v0
	s_delay_alu instid0(VALU_DEP_2) | instskip(SKIP_1) | instid1(VALU_DEP_1)
	v_dual_add_f32 v108, 0x40051340, v113 :: v_dual_add_f32 v1, 0x40051340, v111
	v_cndmask_b32_e32 v0, v92, v0, vcc_lo
	v_lshlrev_b32_e32 v130, 2, v0
	s_delay_alu instid0(VALU_DEP_3) | instskip(SKIP_4) | instid1(VALU_DEP_1)
	v_max3_f32 v0, v102, v1, v108
	v_xor_b32_e32 v108, 8, v92
	ds_bpermute_b32 v1, v130, v0
	v_cmp_gt_i32_e32 vcc_lo, 32, v108
	v_cndmask_b32_e32 v108, v92, v108, vcc_lo
	v_lshlrev_b32_e32 v114, 2, v108
	v_xor_b32_e32 v108, 4, v92
	s_delay_alu instid0(VALU_DEP_1) | instskip(SKIP_2) | instid1(VALU_DEP_1)
	v_cmp_gt_i32_e32 vcc_lo, 32, v108
	s_waitcnt lgkmcnt(0)
	v_dual_max_f32 v1, v1, v1 :: v_dual_cndmask_b32 v108, v92, v108
	v_max_f32_e32 v0, v0, v1
	s_delay_alu instid0(VALU_DEP_2) | instskip(SKIP_4) | instid1(VALU_DEP_1)
	v_lshlrev_b32_e32 v112, 2, v108
	v_xor_b32_e32 v108, 2, v92
	ds_bpermute_b32 v1, v114, v0
	v_cmp_gt_i32_e32 vcc_lo, 32, v108
	v_cndmask_b32_e32 v108, v92, v108, vcc_lo
	v_lshlrev_b32_e32 v110, 2, v108
	v_xor_b32_e32 v108, 1, v92
	s_delay_alu instid0(VALU_DEP_1) | instskip(SKIP_2) | instid1(VALU_DEP_1)
	v_cmp_gt_i32_e32 vcc_lo, 32, v108
	s_waitcnt lgkmcnt(0)
	v_dual_max_f32 v1, v1, v1 :: v_dual_cndmask_b32 v108, v92, v108
	v_max_f32_e32 v0, v0, v1
	s_and_not1_b32 vcc_lo, exec_lo, s4
	s_delay_alu instid0(VALU_DEP_2) | instskip(SKIP_3) | instid1(VALU_DEP_1)
	v_lshlrev_b32_e32 v108, 2, v108
	ds_bpermute_b32 v1, v112, v0
	s_waitcnt lgkmcnt(0)
	v_max_f32_e32 v1, v1, v1
	v_max_f32_e32 v0, v0, v1
	ds_bpermute_b32 v1, v110, v0
	s_waitcnt lgkmcnt(0)
	v_max_f32_e32 v1, v1, v1
	s_delay_alu instid0(VALU_DEP_1)
	v_max_f32_e32 v115, v0, v1
	v_add_nc_u32_e32 v0, v128, v78
	ds_bpermute_b32 v131, v108, v115
	v_ashrrev_i32_e32 v1, 31, v0
	s_cbranch_vccnz .LBB56_14
; %bb.13:                               ;   in Loop: Header=BB56_8 Depth=1
	s_delay_alu instid0(VALU_DEP_1) | instskip(NEXT) | instid1(VALU_DEP_1)
	v_lshlrev_b64 v[116:117], 1, v[0:1]
	v_add_co_u32 v116, vcc_lo, s44, v116
	s_delay_alu instid0(VALU_DEP_2) | instskip(SKIP_3) | instid1(VALU_DEP_1)
	v_add_co_ci_u32_e32 v117, vcc_lo, s45, v117, vcc_lo
	flat_load_u16 v116, v[116:117]
	s_waitcnt vmcnt(0) lgkmcnt(0)
	v_cvt_f32_f16_e32 v116, v116
	v_mul_f32_e32 v116, v50, v116
.LBB56_14:                              ;   in Loop: Header=BB56_8 Depth=1
	v_dual_mov_b32 v118, 0 :: v_dual_mov_b32 v117, 0
	s_and_not1_b32 vcc_lo, exec_lo, s4
	s_cbranch_vccnz .LBB56_16
; %bb.15:                               ;   in Loop: Header=BB56_8 Depth=1
	v_lshlrev_b64 v[0:1], 1, v[0:1]
	s_delay_alu instid0(VALU_DEP_1) | instskip(NEXT) | instid1(VALU_DEP_2)
	v_add_co_u32 v0, vcc_lo, s5, v0
	v_add_co_ci_u32_e32 v1, vcc_lo, s6, v1, vcc_lo
	flat_load_u16 v0, v[0:1]
	s_waitcnt vmcnt(0) lgkmcnt(0)
	v_cvt_f32_f16_e32 v0, v0
	s_delay_alu instid0(VALU_DEP_1)
	v_mul_f32_e32 v117, v50, v0
.LBB56_16:                              ;   in Loop: Header=BB56_8 Depth=1
	s_delay_alu instid0(VALU_DEP_1) | instskip(SKIP_1) | instid1(VALU_DEP_1)
	v_dual_add_f32 v116, v106, v116 :: v_dual_add_f32 v117, v109, v117
	s_and_not1_b32 vcc_lo, exec_lo, s4
	v_dual_add_f32 v0, 0x40051340, v116 :: v_dual_add_f32 v1, 0x40051340, v117
	s_delay_alu instid0(VALU_DEP_1) | instskip(SKIP_3) | instid1(VALU_DEP_1)
	v_max3_f32 v0, v103, v0, v1
	ds_bpermute_b32 v1, v130, v0
	s_waitcnt lgkmcnt(0)
	v_max_f32_e32 v1, v1, v1
	v_max_f32_e32 v0, v0, v1
	ds_bpermute_b32 v1, v114, v0
	s_waitcnt lgkmcnt(0)
	v_max_f32_e32 v1, v1, v1
	s_delay_alu instid0(VALU_DEP_1) | instskip(SKIP_3) | instid1(VALU_DEP_1)
	v_max_f32_e32 v0, v0, v1
	ds_bpermute_b32 v1, v112, v0
	s_waitcnt lgkmcnt(0)
	v_max_f32_e32 v1, v1, v1
	v_max_f32_e32 v0, v0, v1
	ds_bpermute_b32 v1, v110, v0
	s_waitcnt lgkmcnt(0)
	v_max_f32_e32 v1, v1, v1
	s_delay_alu instid0(VALU_DEP_1)
	v_max_f32_e32 v132, v0, v1
	v_add_nc_u32_e32 v0, v128, v79
	ds_bpermute_b32 v133, v108, v132
	v_ashrrev_i32_e32 v1, 31, v0
	s_cbranch_vccnz .LBB56_18
; %bb.17:                               ;   in Loop: Header=BB56_8 Depth=1
	s_delay_alu instid0(VALU_DEP_1) | instskip(NEXT) | instid1(VALU_DEP_1)
	v_lshlrev_b64 v[118:119], 1, v[0:1]
	v_add_co_u32 v118, vcc_lo, s44, v118
	s_delay_alu instid0(VALU_DEP_2) | instskip(SKIP_3) | instid1(VALU_DEP_1)
	v_add_co_ci_u32_e32 v119, vcc_lo, s45, v119, vcc_lo
	flat_load_u16 v106, v[118:119]
	s_waitcnt vmcnt(0) lgkmcnt(0)
	v_cvt_f32_f16_e32 v106, v106
	v_mul_f32_e32 v118, v50, v106
.LBB56_18:                              ;   in Loop: Header=BB56_8 Depth=1
	v_dual_mov_b32 v119, 0 :: v_dual_mov_b32 v106, 0
	s_and_not1_b32 vcc_lo, exec_lo, s4
	s_cbranch_vccnz .LBB56_20
; %bb.19:                               ;   in Loop: Header=BB56_8 Depth=1
	v_lshlrev_b64 v[0:1], 1, v[0:1]
	s_delay_alu instid0(VALU_DEP_1) | instskip(NEXT) | instid1(VALU_DEP_2)
	v_add_co_u32 v0, vcc_lo, s5, v0
	v_add_co_ci_u32_e32 v1, vcc_lo, s6, v1, vcc_lo
	flat_load_u16 v0, v[0:1]
	s_waitcnt vmcnt(0) lgkmcnt(0)
	v_cvt_f32_f16_e32 v0, v0
	s_delay_alu instid0(VALU_DEP_1)
	v_mul_f32_e32 v106, v50, v0
.LBB56_20:                              ;   in Loop: Header=BB56_8 Depth=1
	s_delay_alu instid0(VALU_DEP_2) | instskip(NEXT) | instid1(VALU_DEP_2)
	v_add_f32_e32 v104, v104, v118
	v_add_f32_e32 v106, v107, v106
	s_and_not1_b32 vcc_lo, exec_lo, s4
	s_delay_alu instid0(VALU_DEP_1) | instskip(NEXT) | instid1(VALU_DEP_1)
	v_dual_add_f32 v0, 0x40051340, v104 :: v_dual_add_f32 v1, 0x40051340, v106
	v_max3_f32 v0, v101, v0, v1
	ds_bpermute_b32 v1, v130, v0
	s_waitcnt lgkmcnt(0)
	v_max_f32_e32 v1, v1, v1
	s_delay_alu instid0(VALU_DEP_1) | instskip(SKIP_3) | instid1(VALU_DEP_1)
	v_max_f32_e32 v0, v0, v1
	ds_bpermute_b32 v1, v114, v0
	s_waitcnt lgkmcnt(0)
	v_max_f32_e32 v1, v1, v1
	v_max_f32_e32 v0, v0, v1
	ds_bpermute_b32 v1, v112, v0
	s_waitcnt lgkmcnt(0)
	v_max_f32_e32 v1, v1, v1
	s_delay_alu instid0(VALU_DEP_1) | instskip(SKIP_3) | instid1(VALU_DEP_1)
	v_max_f32_e32 v0, v0, v1
	ds_bpermute_b32 v1, v110, v0
	s_waitcnt lgkmcnt(0)
	v_max_f32_e32 v1, v1, v1
	v_max_f32_e32 v109, v0, v1
	v_add_nc_u32_e32 v0, v128, v80
	ds_bpermute_b32 v129, v108, v109
	v_ashrrev_i32_e32 v1, 31, v0
	s_cbranch_vccnz .LBB56_22
; %bb.21:                               ;   in Loop: Header=BB56_8 Depth=1
	s_delay_alu instid0(VALU_DEP_1) | instskip(NEXT) | instid1(VALU_DEP_1)
	v_lshlrev_b64 v[118:119], 1, v[0:1]
	v_add_co_u32 v118, vcc_lo, s44, v118
	s_delay_alu instid0(VALU_DEP_2) | instskip(SKIP_3) | instid1(VALU_DEP_1)
	v_add_co_ci_u32_e32 v119, vcc_lo, s45, v119, vcc_lo
	flat_load_u16 v107, v[118:119]
	s_waitcnt vmcnt(0) lgkmcnt(0)
	v_cvt_f32_f16_e32 v107, v107
	v_mul_f32_e32 v119, v50, v107
.LBB56_22:                              ;   in Loop: Header=BB56_8 Depth=1
	v_dual_mov_b32 v120, 0 :: v_dual_mov_b32 v107, 0
	s_and_not1_b32 vcc_lo, exec_lo, s4
	s_cbranch_vccnz .LBB56_24
; %bb.23:                               ;   in Loop: Header=BB56_8 Depth=1
	v_lshlrev_b64 v[0:1], 1, v[0:1]
	s_delay_alu instid0(VALU_DEP_1) | instskip(NEXT) | instid1(VALU_DEP_2)
	v_add_co_u32 v0, vcc_lo, s5, v0
	v_add_co_ci_u32_e32 v1, vcc_lo, s6, v1, vcc_lo
	flat_load_u16 v0, v[0:1]
	s_waitcnt vmcnt(0) lgkmcnt(0)
	v_cvt_f32_f16_e32 v0, v0
	s_delay_alu instid0(VALU_DEP_1)
	v_mul_f32_e32 v107, v50, v0
.LBB56_24:                              ;   in Loop: Header=BB56_8 Depth=1
	s_delay_alu instid0(VALU_DEP_2) | instskip(NEXT) | instid1(VALU_DEP_2)
	v_add_f32_e32 v118, v69, v119
	v_add_f32_e32 v107, v105, v107
	s_and_not1_b32 vcc_lo, exec_lo, s4
	s_delay_alu instid0(VALU_DEP_1) | instskip(NEXT) | instid1(VALU_DEP_1)
	v_dual_add_f32 v0, 0x40051340, v118 :: v_dual_add_f32 v1, 0x40051340, v107
	v_max3_f32 v0, v100, v0, v1
	ds_bpermute_b32 v1, v130, v0
	s_waitcnt lgkmcnt(0)
	v_max_f32_e32 v1, v1, v1
	s_delay_alu instid0(VALU_DEP_1) | instskip(SKIP_3) | instid1(VALU_DEP_1)
	v_max_f32_e32 v0, v0, v1
	ds_bpermute_b32 v1, v114, v0
	s_waitcnt lgkmcnt(0)
	v_max_f32_e32 v1, v1, v1
	v_max_f32_e32 v0, v0, v1
	ds_bpermute_b32 v1, v112, v0
	s_waitcnt lgkmcnt(0)
	v_max_f32_e32 v1, v1, v1
	s_delay_alu instid0(VALU_DEP_1) | instskip(SKIP_3) | instid1(VALU_DEP_1)
	v_max_f32_e32 v0, v0, v1
	ds_bpermute_b32 v1, v110, v0
	s_waitcnt lgkmcnt(0)
	v_max_f32_e32 v1, v1, v1
	v_max_f32_e32 v69, v0, v1
	v_add_nc_u32_e32 v0, v128, v81
	ds_bpermute_b32 v124, v108, v69
	v_ashrrev_i32_e32 v1, 31, v0
	s_cbranch_vccnz .LBB56_26
; %bb.25:                               ;   in Loop: Header=BB56_8 Depth=1
	s_delay_alu instid0(VALU_DEP_1) | instskip(NEXT) | instid1(VALU_DEP_1)
	v_lshlrev_b64 v[119:120], 1, v[0:1]
	v_add_co_u32 v119, vcc_lo, s44, v119
	s_delay_alu instid0(VALU_DEP_2) | instskip(SKIP_3) | instid1(VALU_DEP_1)
	v_add_co_ci_u32_e32 v120, vcc_lo, s45, v120, vcc_lo
	flat_load_u16 v105, v[119:120]
	s_waitcnt vmcnt(0) lgkmcnt(0)
	v_cvt_f32_f16_e32 v105, v105
	v_mul_f32_e32 v120, v50, v105
.LBB56_26:                              ;   in Loop: Header=BB56_8 Depth=1
	v_mov_b32_e32 v121, 0
	v_mov_b32_e32 v119, 0
	s_and_not1_b32 vcc_lo, exec_lo, s4
	s_cbranch_vccnz .LBB56_28
; %bb.27:                               ;   in Loop: Header=BB56_8 Depth=1
	v_lshlrev_b64 v[0:1], 1, v[0:1]
	s_delay_alu instid0(VALU_DEP_1) | instskip(NEXT) | instid1(VALU_DEP_2)
	v_add_co_u32 v0, vcc_lo, s5, v0
	v_add_co_ci_u32_e32 v1, vcc_lo, s6, v1, vcc_lo
	flat_load_u16 v0, v[0:1]
	s_waitcnt vmcnt(0) lgkmcnt(0)
	v_cvt_f32_f16_e32 v0, v0
	s_delay_alu instid0(VALU_DEP_1)
	v_mul_f32_e32 v119, v50, v0
.LBB56_28:                              ;   in Loop: Header=BB56_8 Depth=1
	v_add_f32_e32 v105, v67, v120
	s_delay_alu instid0(VALU_DEP_2) | instskip(SKIP_1) | instid1(VALU_DEP_1)
	v_add_f32_e32 v67, v70, v119
	s_and_not1_b32 vcc_lo, exec_lo, s4
	v_dual_add_f32 v0, 0x40051340, v105 :: v_dual_add_f32 v1, 0x40051340, v67
	s_delay_alu instid0(VALU_DEP_1) | instskip(SKIP_3) | instid1(VALU_DEP_1)
	v_max3_f32 v0, v99, v0, v1
	ds_bpermute_b32 v1, v130, v0
	s_waitcnt lgkmcnt(0)
	v_max_f32_e32 v1, v1, v1
	v_max_f32_e32 v0, v0, v1
	ds_bpermute_b32 v1, v114, v0
	s_waitcnt lgkmcnt(0)
	v_max_f32_e32 v1, v1, v1
	s_delay_alu instid0(VALU_DEP_1) | instskip(SKIP_3) | instid1(VALU_DEP_1)
	v_max_f32_e32 v0, v0, v1
	ds_bpermute_b32 v1, v112, v0
	s_waitcnt lgkmcnt(0)
	v_max_f32_e32 v1, v1, v1
	v_max_f32_e32 v0, v0, v1
	ds_bpermute_b32 v1, v110, v0
	s_waitcnt lgkmcnt(0)
	v_max_f32_e32 v1, v1, v1
	s_delay_alu instid0(VALU_DEP_1)
	v_max_f32_e32 v119, v0, v1
	v_add_nc_u32_e32 v0, v128, v82
	ds_bpermute_b32 v120, v108, v119
	v_ashrrev_i32_e32 v1, 31, v0
	s_cbranch_vccnz .LBB56_30
; %bb.29:                               ;   in Loop: Header=BB56_8 Depth=1
	s_delay_alu instid0(VALU_DEP_1) | instskip(NEXT) | instid1(VALU_DEP_1)
	v_lshlrev_b64 v[121:122], 1, v[0:1]
	v_add_co_u32 v121, vcc_lo, s44, v121
	s_delay_alu instid0(VALU_DEP_2) | instskip(SKIP_3) | instid1(VALU_DEP_1)
	v_add_co_ci_u32_e32 v122, vcc_lo, s45, v122, vcc_lo
	flat_load_u16 v70, v[121:122]
	s_waitcnt vmcnt(0) lgkmcnt(0)
	v_cvt_f32_f16_e32 v70, v70
	v_mul_f32_e32 v121, v50, v70
.LBB56_30:                              ;   in Loop: Header=BB56_8 Depth=1
	v_dual_mov_b32 v70, 0 :: v_dual_mov_b32 v123, 0
	s_and_not1_b32 vcc_lo, exec_lo, s4
	s_cbranch_vccnz .LBB56_32
; %bb.31:                               ;   in Loop: Header=BB56_8 Depth=1
	v_lshlrev_b64 v[0:1], 1, v[0:1]
	s_delay_alu instid0(VALU_DEP_1) | instskip(NEXT) | instid1(VALU_DEP_2)
	v_add_co_u32 v0, vcc_lo, s5, v0
	v_add_co_ci_u32_e32 v1, vcc_lo, s6, v1, vcc_lo
	flat_load_u16 v0, v[0:1]
	s_waitcnt vmcnt(0) lgkmcnt(0)
	v_cvt_f32_f16_e32 v0, v0
	s_delay_alu instid0(VALU_DEP_1)
	v_mul_f32_e32 v123, v50, v0
.LBB56_32:                              ;   in Loop: Header=BB56_8 Depth=1
	s_delay_alu instid0(VALU_DEP_1) | instskip(SKIP_1) | instid1(VALU_DEP_1)
	v_dual_add_f32 v122, v65, v121 :: v_dual_add_f32 v65, v68, v123
	s_and_not1_b32 vcc_lo, exec_lo, s4
	v_dual_add_f32 v0, 0x40051340, v122 :: v_dual_add_f32 v1, 0x40051340, v65
	s_delay_alu instid0(VALU_DEP_1) | instskip(SKIP_3) | instid1(VALU_DEP_1)
	v_max3_f32 v0, v98, v0, v1
	ds_bpermute_b32 v1, v130, v0
	s_waitcnt lgkmcnt(0)
	v_max_f32_e32 v1, v1, v1
	v_max_f32_e32 v0, v0, v1
	ds_bpermute_b32 v1, v114, v0
	s_waitcnt lgkmcnt(0)
	v_max_f32_e32 v1, v1, v1
	s_delay_alu instid0(VALU_DEP_1) | instskip(SKIP_3) | instid1(VALU_DEP_1)
	v_max_f32_e32 v0, v0, v1
	ds_bpermute_b32 v1, v112, v0
	s_waitcnt lgkmcnt(0)
	v_max_f32_e32 v1, v1, v1
	v_max_f32_e32 v0, v0, v1
	ds_bpermute_b32 v1, v110, v0
	s_waitcnt lgkmcnt(0)
	v_max_f32_e32 v1, v1, v1
	s_delay_alu instid0(VALU_DEP_1)
	v_max_f32_e32 v126, v0, v1
	v_add_nc_u32_e32 v0, v128, v83
	ds_bpermute_b32 v127, v108, v126
	v_ashrrev_i32_e32 v1, 31, v0
	s_cbranch_vccnz .LBB56_34
; %bb.33:                               ;   in Loop: Header=BB56_8 Depth=1
	s_delay_alu instid0(VALU_DEP_1) | instskip(NEXT) | instid1(VALU_DEP_1)
	v_lshlrev_b64 v[134:135], 1, v[0:1]
	v_add_co_u32 v134, vcc_lo, s44, v134
	s_delay_alu instid0(VALU_DEP_2) | instskip(SKIP_3) | instid1(VALU_DEP_1)
	v_add_co_ci_u32_e32 v135, vcc_lo, s45, v135, vcc_lo
	flat_load_u16 v68, v[134:135]
	s_waitcnt vmcnt(0) lgkmcnt(0)
	v_cvt_f32_f16_e32 v68, v68
	v_mul_f32_e32 v70, v50, v68
.LBB56_34:                              ;   in Loop: Header=BB56_8 Depth=1
	v_dual_mov_b32 v68, 0 :: v_dual_mov_b32 v121, 0
	s_and_not1_b32 vcc_lo, exec_lo, s4
	s_cbranch_vccnz .LBB56_36
; %bb.35:                               ;   in Loop: Header=BB56_8 Depth=1
	v_lshlrev_b64 v[0:1], 1, v[0:1]
	s_delay_alu instid0(VALU_DEP_1) | instskip(NEXT) | instid1(VALU_DEP_2)
	v_add_co_u32 v0, vcc_lo, s5, v0
	v_add_co_ci_u32_e32 v1, vcc_lo, s6, v1, vcc_lo
	flat_load_u16 v0, v[0:1]
	s_waitcnt vmcnt(0) lgkmcnt(0)
	v_cvt_f32_f16_e32 v0, v0
	s_delay_alu instid0(VALU_DEP_1)
	v_mul_f32_e32 v121, v50, v0
.LBB56_36:                              ;   in Loop: Header=BB56_8 Depth=1
	s_delay_alu instid0(VALU_DEP_2) | instskip(NEXT) | instid1(VALU_DEP_2)
	v_add_f32_e32 v63, v63, v70
	v_add_f32_e32 v121, v66, v121
	s_and_not1_b32 vcc_lo, exec_lo, s4
	s_delay_alu instid0(VALU_DEP_1) | instskip(NEXT) | instid1(VALU_DEP_1)
	v_dual_add_f32 v0, 0x40051340, v63 :: v_dual_add_f32 v1, 0x40051340, v121
	v_max3_f32 v0, v96, v0, v1
	ds_bpermute_b32 v1, v130, v0
	s_waitcnt lgkmcnt(0)
	v_max_f32_e32 v1, v1, v1
	s_delay_alu instid0(VALU_DEP_1) | instskip(SKIP_3) | instid1(VALU_DEP_1)
	v_max_f32_e32 v0, v0, v1
	ds_bpermute_b32 v1, v114, v0
	s_waitcnt lgkmcnt(0)
	v_max_f32_e32 v1, v1, v1
	v_max_f32_e32 v0, v0, v1
	ds_bpermute_b32 v1, v112, v0
	s_waitcnt lgkmcnt(0)
	v_max_f32_e32 v1, v1, v1
	s_delay_alu instid0(VALU_DEP_1) | instskip(SKIP_3) | instid1(VALU_DEP_1)
	v_max_f32_e32 v0, v0, v1
	ds_bpermute_b32 v1, v110, v0
	s_waitcnt lgkmcnt(0)
	v_max_f32_e32 v1, v1, v1
	v_max_f32_e32 v123, v0, v1
	v_add_nc_u32_e32 v0, v128, v84
	ds_bpermute_b32 v125, v108, v123
	v_ashrrev_i32_e32 v1, 31, v0
	s_cbranch_vccnz .LBB56_38
; %bb.37:                               ;   in Loop: Header=BB56_8 Depth=1
	s_delay_alu instid0(VALU_DEP_1) | instskip(NEXT) | instid1(VALU_DEP_1)
	v_lshlrev_b64 v[134:135], 1, v[0:1]
	v_add_co_u32 v134, vcc_lo, s44, v134
	s_delay_alu instid0(VALU_DEP_2) | instskip(SKIP_3) | instid1(VALU_DEP_1)
	v_add_co_ci_u32_e32 v135, vcc_lo, s45, v135, vcc_lo
	flat_load_u16 v66, v[134:135]
	s_waitcnt vmcnt(0) lgkmcnt(0)
	v_cvt_f32_f16_e32 v66, v66
	v_mul_f32_e32 v68, v50, v66
.LBB56_38:                              ;   in Loop: Header=BB56_8 Depth=1
	s_and_not1_b32 vcc_lo, exec_lo, s4
	s_cbranch_vccnz .LBB56_40
; %bb.39:                               ;   in Loop: Header=BB56_8 Depth=1
	s_delay_alu instid0(VALU_DEP_1) | instskip(NEXT) | instid1(VALU_DEP_1)
	v_lshlrev_b64 v[0:1], 1, v[0:1]
	v_add_co_u32 v0, vcc_lo, s5, v0
	s_delay_alu instid0(VALU_DEP_2) | instskip(SKIP_3) | instid1(VALU_DEP_1)
	v_add_co_ci_u32_e32 v1, vcc_lo, s6, v1, vcc_lo
	flat_load_u16 v0, v[0:1]
	s_waitcnt vmcnt(0) lgkmcnt(0)
	v_cvt_f32_f16_e32 v0, v0
	v_mul_f32_e32 v0, v50, v0
	s_branch .LBB56_41
.LBB56_40:                              ;   in Loop: Header=BB56_8 Depth=1
	v_mov_b32_e32 v0, 0
.LBB56_41:                              ;   in Loop: Header=BB56_8 Depth=1
	s_delay_alu instid0(VALU_DEP_2) | instskip(NEXT) | instid1(VALU_DEP_2)
	v_dual_add_f32 v128, v3, v68 :: v_dual_max_f32 v137, v129, v129
	v_add_f32_e32 v64, v64, v0
	s_mul_hi_i32 s9, s12, s13
	s_mul_i32 s8, s12, s13
	s_delay_alu instid0(VALU_DEP_2)
	v_add_f32_e32 v0, 0x40051340, v128
	s_lshl_b64 s[8:9], s[8:9], 2
	v_add_f32_e32 v1, 0x40051340, v64
	s_add_u32 s7, s16, s8
	s_addc_u32 s8, s17, s9
	v_max_f32_e32 v68, v131, v131
	s_waitcnt lgkmcnt(0)
	v_max3_f32 v3, v95, v0, v1
	v_dual_max_f32 v0, v133, v133 :: v_dual_max_f32 v1, v132, v132
	v_max_f32_e32 v70, v115, v115
	s_barrier
	ds_bpermute_b32 v66, v130, v3
	s_waitcnt lgkmcnt(0)
	buffer_gl0_inv
	v_max_f32_e32 v1, v1, v0
	v_max_f32_e32 v0, v70, v68
	v_add_co_u32 v68, vcc_lo, s7, v16
	v_add_co_ci_u32_e32 v70, vcc_lo, s8, v17, vcc_lo
	v_add_co_u32 v115, vcc_lo, s7, v18
	v_add_co_ci_u32_e32 v129, vcc_lo, s8, v19, vcc_lo
	v_add_co_u32 v130, vcc_lo, s7, v20
	v_dual_sub_f32 v133, v102, v0 :: v_dual_sub_f32 v116, v116, v1
	v_sub_f32_e32 v134, v113, v0
	v_add_co_ci_u32_e32 v131, vcc_lo, s8, v21, vcc_lo
	v_dual_sub_f32 v111, v111, v0 :: v_dual_max_f32 v66, v66, v66
	v_sub_f32_e32 v139, v117, v1
	v_mul_f32_e32 v117, 0x3fb8aa3b, v133
	v_sub_f32_e32 v138, v103, v1
	s_delay_alu instid0(VALU_DEP_4)
	v_max_f32_e32 v3, v3, v66
	v_add_co_u32 v66, vcc_lo, s7, v22
	v_add_co_ci_u32_e32 v132, vcc_lo, s8, v23, vcc_lo
	ds_bpermute_b32 v135, v114, v3
	v_add_co_u32 v102, vcc_lo, v68, v90
	v_mul_f32_e32 v68, 0x3fb8aa3b, v134
	v_add_co_ci_u32_e32 v103, vcc_lo, 0, v70, vcc_lo
	v_add_co_u32 v113, vcc_lo, v115, v90
	v_mul_f32_e32 v115, 0x3fb8aa3b, v111
	v_add_co_ci_u32_e32 v114, vcc_lo, 0, v129, vcc_lo
	v_mul_f32_e32 v129, 0x3fb8aa3b, v139
	v_fma_f32 v145, 0x3fb8aa3b, v133, -v117
	s_delay_alu instid0(VALU_DEP_4)
	v_fma_f32 v144, 0x3fb8aa3b, v111, -v115
	v_rndne_f32_e32 v146, v117
	v_cmp_ngt_f32_e32 vcc_lo, 0xc2ce8ed0, v134
	v_fma_f32 v147, 0x3fb8aa3b, v139, -v129
	v_rndne_f32_e32 v148, v129
	v_fmac_f32_e32 v145, 0x32a5705f, v133
	v_sub_f32_e32 v117, v117, v146
	s_waitcnt lgkmcnt(0)
	v_dual_max_f32 v135, v135, v135 :: v_dual_mul_f32 v70, 0x3fb8aa3b, v116
	v_fma_f32 v140, 0x3fb8aa3b, v134, -v68
	v_rndne_f32_e32 v141, v68
	v_fmac_f32_e32 v147, 0x32a5705f, v139
	s_delay_alu instid0(VALU_DEP_4)
	v_max_f32_e32 v3, v3, v135
	v_rndne_f32_e32 v135, v115
	v_mul_f32_e32 v136, 0x3fb8aa3b, v138
	v_fma_f32 v142, 0x3fb8aa3b, v116, -v70
	v_rndne_f32_e32 v143, v70
	ds_bpermute_b32 v112, v112, v3
	v_sub_f32_e32 v115, v115, v135
	v_fma_f32 v149, 0x3fb8aa3b, v138, -v136
	v_rndne_f32_e32 v150, v136
	v_fmac_f32_e32 v140, 0x32a5705f, v134
	v_sub_f32_e32 v68, v68, v141
	s_delay_alu instid0(VALU_DEP_4) | instskip(SKIP_2) | instid1(VALU_DEP_3)
	v_dual_fmac_f32 v144, 0x32a5705f, v111 :: v_dual_fmac_f32 v149, 0x32a5705f, v138
	v_fmac_f32_e32 v142, 0x32a5705f, v116
	v_dual_sub_f32 v70, v70, v143 :: v_dual_sub_f32 v129, v129, v148
	v_dual_sub_f32 v136, v136, v150 :: v_dual_add_f32 v115, v115, v144
	v_dual_add_f32 v68, v68, v140 :: v_dual_add_f32 v117, v117, v145
	s_delay_alu instid0(VALU_DEP_3) | instskip(SKIP_1) | instid1(VALU_DEP_3)
	v_dual_add_f32 v70, v70, v142 :: v_dual_add_f32 v129, v129, v147
	v_cvt_i32_f32_e32 v141, v141
	v_exp_f32_e32 v68, v68
	v_cvt_i32_f32_e32 v143, v143
	s_waitcnt lgkmcnt(0)
	v_max_f32_e32 v112, v112, v112
	v_exp_f32_e32 v70, v70
	v_cvt_i32_f32_e32 v140, v148
	s_delay_alu instid0(VALU_DEP_2)
	v_dual_add_f32 v142, v136, v149 :: v_dual_max_f32 v3, v3, v112
	v_exp_f32_e32 v112, v115
	v_exp_f32_e32 v115, v117
	;; [unrolled: 1-line block ×3, first 2 shown]
	v_cvt_i32_f32_e32 v129, v135
	ds_bpermute_b32 v110, v110, v3
	v_ldexp_f32 v68, v68, v141
	v_cvt_i32_f32_e32 v135, v146
	v_ldexp_f32 v70, v70, v143
	v_ldexp_f32 v112, v112, v129
	s_delay_alu instid0(VALU_DEP_4)
	v_cndmask_b32_e32 v68, 0, v68, vcc_lo
	v_cmp_ngt_f32_e32 vcc_lo, 0xc2ce8ed0, v111
	v_ldexp_f32 v115, v115, v135
	v_ldexp_f32 v140, v117, v140
	s_waitcnt lgkmcnt(0)
	v_max_f32_e32 v110, v110, v110
	v_cndmask_b32_e32 v112, 0, v112, vcc_lo
	v_cmp_ngt_f32_e32 vcc_lo, 0xc2ce8ed0, v133
	s_delay_alu instid0(VALU_DEP_3)
	v_max_f32_e32 v143, v3, v110
	v_cndmask_b32_e32 v115, 0, v115, vcc_lo
	v_cmp_nlt_f32_e32 vcc_lo, 0x42b17218, v134
	ds_bpermute_b32 v146, v108, v143
	v_cndmask_b32_e32 v68, 0x7f800000, v68, vcc_lo
	v_cmp_nlt_f32_e32 vcc_lo, 0x42b17218, v111
	s_delay_alu instid0(VALU_DEP_2) | instskip(SKIP_4) | instid1(VALU_DEP_4)
	v_cvt_f16_f32_e64 v145, v68
	v_cndmask_b32_e32 v141, 0x7f800000, v112, vcc_lo
	v_cmp_ngt_f32_e32 vcc_lo, 0xc2ce8ed0, v116
	v_cndmask_b32_e32 v111, 0, v70, vcc_lo
	v_cmp_nlt_f32_e32 vcc_lo, 0x42b17218, v133
	v_add_f32_e32 v70, v141, v68
	v_cndmask_b32_e32 v112, 0x7f800000, v115, vcc_lo
	v_cmp_nlt_f32_e32 vcc_lo, 0x42b17218, v116
	s_delay_alu instid0(VALU_DEP_2)
	v_fmac_f32_e32 v70, v2, v112
	v_cndmask_b32_e32 v144, 0x7f800000, v111, vcc_lo
	v_add_co_u32 v2, vcc_lo, v130, v90
	v_add_co_ci_u32_e32 v3, vcc_lo, 0, v131, vcc_lo
	v_add_co_u32 v116, vcc_lo, v66, v90
	v_max_f32_e32 v66, v109, v109
	v_add_co_ci_u32_e32 v117, vcc_lo, 0, v132, vcc_lo
	v_cvt_f16_f32_e32 v68, v112
	s_clause 0x3
	global_load_b128 v[108:111], v[102:103], off
	global_load_b128 v[112:115], v[113:114], off
	;; [unrolled: 1-line block ×4, first 2 shown]
	v_cmp_ngt_f32_e32 vcc_lo, 0xc2ce8ed0, v139
	v_dual_max_f32 v2, v66, v137 :: v_dual_max_f32 v103, v124, v124
	v_pk_mul_f16 v116, v68, v52 op_sel_hi:[0,1]
	v_exp_f32_e32 v52, v142
	v_cndmask_b32_e32 v3, 0, v140, vcc_lo
	v_cmp_nlt_f32_e32 vcc_lo, 0x42b17218, v139
	v_sub_f32_e32 v68, v106, v2
	v_max_f32_e32 v106, v69, v69
	v_cvt_f16_f32_e64 v117, v141
	v_cndmask_b32_e32 v66, 0x7f800000, v3, vcc_lo
	v_cvt_i32_f32_e32 v3, v150
	v_mul_f32_e32 v124, 0x3fb8aa3b, v68
	v_cmp_ngt_f32_e32 vcc_lo, 0xc2ce8ed0, v138
	s_delay_alu instid0(VALU_DEP_4) | instskip(NEXT) | instid1(VALU_DEP_4)
	v_add_f32_e32 v69, v144, v66
	v_ldexp_f32 v52, v52, v3
	v_max_f32_e32 v3, v106, v103
	v_fma_f32 v103, 0x3fb8aa3b, v68, -v124
	s_delay_alu instid0(VALU_DEP_3) | instskip(SKIP_1) | instid1(VALU_DEP_3)
	v_cndmask_b32_e32 v52, 0, v52, vcc_lo
	v_cmp_nlt_f32_e32 vcc_lo, 0x42b17218, v138
	v_fmac_f32_e32 v103, 0x32a5705f, v68
	v_sub_f32_e32 v101, v101, v2
	v_rndne_f32_e32 v106, v124
	v_cvt_f16_f32_e64 v138, v66
	v_cndmask_b32_e32 v52, 0x7f800000, v52, vcc_lo
	v_sub_f32_e32 v100, v100, v3
	s_delay_alu instid0(VALU_DEP_4) | instskip(SKIP_1) | instid1(VALU_DEP_4)
	v_sub_f32_e32 v124, v124, v106
	v_cvt_i32_f32_e32 v106, v106
	v_fmac_f32_e32 v69, v5, v52
	v_cvt_f16_f32_e32 v52, v52
	v_cvt_f16_f32_e64 v102, v144
	v_add_f32_e32 v5, v124, v103
	v_cmp_ngt_f32_e32 vcc_lo, 0xc2ce8ed0, v68
	s_delay_alu instid0(VALU_DEP_4) | instskip(NEXT) | instid1(VALU_DEP_3)
	v_pk_mul_f16 v141, v52, v51 op_sel_hi:[0,1]
	v_exp_f32_e32 v5, v5
	s_waitcnt_depctr 0xfff
	v_ldexp_f32 v5, v5, v106
	s_delay_alu instid0(VALU_DEP_1) | instskip(NEXT) | instid1(VALU_DEP_1)
	v_dual_sub_f32 v66, v104, v2 :: v_dual_cndmask_b32 v5, 0, v5
	v_mul_f32_e32 v124, 0x3fb8aa3b, v66
	v_cmp_nlt_f32_e32 vcc_lo, 0x42b17218, v68
	s_delay_alu instid0(VALU_DEP_2) | instskip(NEXT) | instid1(VALU_DEP_4)
	v_fma_f32 v139, 0x3fb8aa3b, v66, -v124
	v_dual_sub_f32 v118, v118, v3 :: v_dual_cndmask_b32 v5, 0x7f800000, v5
	s_delay_alu instid0(VALU_DEP_2) | instskip(NEXT) | instid1(VALU_DEP_2)
	v_fmac_f32_e32 v139, 0x32a5705f, v66
	v_mul_f32_e32 v137, 0x3fb8aa3b, v118
	v_cmp_ngt_f32_e32 vcc_lo, 0xc2ce8ed0, v118
	s_delay_alu instid0(VALU_DEP_2) | instskip(SKIP_1) | instid1(VALU_DEP_2)
	v_fma_f32 v103, 0x3fb8aa3b, v118, -v137
	v_rndne_f32_e32 v104, v137
	v_fmac_f32_e32 v103, 0x32a5705f, v118
	s_delay_alu instid0(VALU_DEP_2) | instskip(SKIP_1) | instid1(VALU_DEP_2)
	v_sub_f32_e32 v137, v137, v104
	v_cvt_i32_f32_e32 v104, v104
	v_add_f32_e32 v103, v137, v103
	v_mul_f32_e32 v137, 0x3fb8aa3b, v101
	s_delay_alu instid0(VALU_DEP_2) | instskip(NEXT) | instid1(VALU_DEP_1)
	v_exp_f32_e32 v51, v103
	v_fma_f32 v103, 0x3fb8aa3b, v101, -v137
	v_rndne_f32_e32 v106, v137
	s_delay_alu instid0(VALU_DEP_2) | instskip(SKIP_2) | instid1(VALU_DEP_1)
	v_fmac_f32_e32 v103, 0x32a5705f, v101
	s_waitcnt_depctr 0xfff
	v_ldexp_f32 v51, v51, v104
	v_cndmask_b32_e32 v51, 0, v51, vcc_lo
	v_rndne_f32_e32 v140, v124
	v_cmp_ngt_f32_e32 vcc_lo, 0xc2ce8ed0, v66
	s_delay_alu instid0(VALU_DEP_2) | instskip(NEXT) | instid1(VALU_DEP_1)
	v_sub_f32_e32 v124, v124, v140
	v_add_f32_e32 v52, v124, v139
	v_sub_f32_e32 v124, v137, v106
	v_cvt_i32_f32_e32 v137, v140
	v_cvt_i32_f32_e32 v106, v106
	s_delay_alu instid0(VALU_DEP_4) | instskip(NEXT) | instid1(VALU_DEP_3)
	v_exp_f32_e32 v52, v52
	v_add_f32_e32 v68, v124, v103
	v_sub_f32_e32 v103, v107, v3
	s_delay_alu instid0(VALU_DEP_2) | instskip(NEXT) | instid1(VALU_DEP_1)
	v_exp_f32_e32 v68, v68
	v_mul_f32_e32 v104, 0x3fb8aa3b, v103
	s_waitcnt_depctr 0xfff
	v_ldexp_f32 v52, v52, v137
	v_fma_f32 v107, 0x3fb8aa3b, v103, -v104
	v_rndne_f32_e32 v124, v104
	s_delay_alu instid0(VALU_DEP_3)
	v_cndmask_b32_e32 v52, 0, v52, vcc_lo
	v_cmp_nlt_f32_e32 vcc_lo, 0x42b17218, v66
	v_ldexp_f32 v66, v68, v106
	v_fmac_f32_e32 v107, 0x32a5705f, v103
	v_mul_f32_e32 v106, 0x3fb8aa3b, v100
	v_cndmask_b32_e32 v52, 0x7f800000, v52, vcc_lo
	v_cmp_ngt_f32_e32 vcc_lo, 0xc2ce8ed0, v101
	s_delay_alu instid0(VALU_DEP_3) | instskip(NEXT) | instid1(VALU_DEP_3)
	v_rndne_f32_e32 v137, v106
	v_add_f32_e32 v68, v52, v5
	v_cndmask_b32_e32 v66, 0, v66, vcc_lo
	v_cmp_nlt_f32_e32 vcc_lo, 0x42b17218, v101
	s_delay_alu instid0(VALU_DEP_2) | instskip(SKIP_3) | instid1(VALU_DEP_4)
	v_cndmask_b32_e32 v66, 0x7f800000, v66, vcc_lo
	v_cmp_nlt_f32_e32 vcc_lo, 0x42b17218, v118
	v_sub_f32_e32 v104, v104, v124
	v_cvt_f16_f32_e32 v118, v5
	v_dual_fmac_f32 v68, v4, v66 :: v_dual_cndmask_b32 v51, 0x7f800000, v51
	s_delay_alu instid0(VALU_DEP_3) | instskip(SKIP_3) | instid1(VALU_DEP_4)
	v_add_f32_e32 v104, v104, v107
	v_fma_f32 v107, 0x3fb8aa3b, v100, -v106
	v_cvt_f16_f32_e32 v5, v66
	v_cmp_ngt_f32_e32 vcc_lo, 0xc2ce8ed0, v103
	v_exp_f32_e32 v101, v104
	s_delay_alu instid0(VALU_DEP_3) | instskip(SKIP_1) | instid1(VALU_DEP_2)
	v_dual_fmac_f32 v107, 0x32a5705f, v100 :: v_dual_sub_f32 v104, v106, v137
	v_cvt_i32_f32_e32 v106, v124
	v_add_f32_e32 v4, v104, v107
	v_max_f32_e32 v104, v119, v119
	v_pk_mul_f16 v107, v5, v49 op_sel_hi:[0,1]
	s_waitcnt_depctr 0xfff
	v_ldexp_f32 v66, v101, v106
	v_max_f32_e32 v101, v120, v120
	v_exp_f32_e32 v106, v4
	v_cvt_i32_f32_e32 v5, v137
	s_delay_alu instid0(VALU_DEP_2)
	v_max_f32_e32 v4, v104, v101
	v_max_f32_e32 v104, v126, v126
	v_cndmask_b32_e32 v66, 0, v66, vcc_lo
	v_cmp_nlt_f32_e32 vcc_lo, 0x42b17218, v103
	v_cvt_f16_f32_e32 v101, v51
	v_max_f32_e32 v103, v127, v127
	s_delay_alu instid0(TRANS32_DEP_1) | instskip(SKIP_4) | instid1(VALU_DEP_3)
	v_ldexp_f32 v5, v106, v5
	v_sub_f32_e32 v105, v105, v4
	v_dual_cndmask_b32 v49, 0x7f800000, v66 :: v_dual_sub_f32 v66, v67, v4
	v_cmp_ngt_f32_e32 vcc_lo, 0xc2ce8ed0, v100
	v_cvt_f16_f32_e32 v52, v52
	v_add_f32_e32 v67, v51, v49
	s_delay_alu instid0(VALU_DEP_4) | instskip(SKIP_3) | instid1(VALU_DEP_4)
	v_mul_f32_e32 v51, 0x3fb8aa3b, v66
	v_cndmask_b32_e32 v5, 0, v5, vcc_lo
	v_cmp_nlt_f32_e32 vcc_lo, 0x42b17218, v100
	v_cvt_f16_f32_e32 v49, v49
	v_fma_f32 v106, 0x3fb8aa3b, v66, -v51
	v_rndne_f32_e32 v119, v51
	v_cndmask_b32_e32 v100, 0x7f800000, v5, vcc_lo
	v_cmp_ngt_f32_e32 vcc_lo, 0xc2ce8ed0, v66
	s_delay_alu instid0(VALU_DEP_3) | instskip(NEXT) | instid1(VALU_DEP_3)
	v_dual_fmac_f32 v106, 0x32a5705f, v66 :: v_dual_sub_f32 v51, v51, v119
	v_fmac_f32_e32 v67, v7, v100
	v_cvt_f16_f32_e32 v7, v100
	v_cvt_i32_f32_e32 v119, v119
	s_delay_alu instid0(VALU_DEP_4) | instskip(NEXT) | instid1(VALU_DEP_3)
	v_add_f32_e32 v51, v51, v106
	v_pk_mul_f16 v137, v7, v48 op_sel_hi:[0,1]
	s_delay_alu instid0(VALU_DEP_2) | instskip(SKIP_3) | instid1(VALU_DEP_2)
	v_exp_f32_e32 v51, v51
	s_waitcnt_depctr 0xfff
	v_ldexp_f32 v7, v51, v119
	v_max_f32_e32 v119, v123, v123
	v_cndmask_b32_e32 v7, 0, v7, vcc_lo
	v_cmp_nlt_f32_e32 vcc_lo, 0x42b17218, v66
	s_delay_alu instid0(VALU_DEP_2) | instskip(SKIP_3) | instid1(VALU_DEP_3)
	v_cndmask_b32_e32 v7, 0x7f800000, v7, vcc_lo
	v_max_f32_e32 v5, v104, v103
	v_mul_f32_e32 v103, 0x3fb8aa3b, v105
	v_cmp_ngt_f32_e32 vcc_lo, 0xc2ce8ed0, v105
	v_sub_f32_e32 v98, v98, v5
	s_delay_alu instid0(VALU_DEP_3) | instskip(SKIP_2) | instid1(VALU_DEP_2)
	v_fma_f32 v104, 0x3fb8aa3b, v105, -v103
	v_rndne_f32_e32 v106, v103
	v_sub_f32_e32 v65, v65, v5
	v_dual_fmac_f32 v104, 0x32a5705f, v105 :: v_dual_sub_f32 v103, v103, v106
	v_cvt_i32_f32_e32 v51, v106
	v_sub_f32_e32 v99, v99, v4
	s_delay_alu instid0(VALU_DEP_3) | instskip(NEXT) | instid1(VALU_DEP_1)
	v_add_f32_e32 v103, v103, v104
	v_exp_f32_e32 v103, v103
	s_waitcnt_depctr 0xfff
	v_ldexp_f32 v51, v103, v51
	s_delay_alu instid0(VALU_DEP_1) | instskip(SKIP_3) | instid1(VALU_DEP_4)
	v_cndmask_b32_e32 v51, 0, v51, vcc_lo
	v_cmp_nlt_f32_e32 vcc_lo, 0x42b17218, v105
	v_sub_f32_e32 v100, v122, v5
	v_mul_f32_e32 v122, 0x3fb8aa3b, v99
	v_cndmask_b32_e32 v51, 0x7f800000, v51, vcc_lo
	s_delay_alu instid0(VALU_DEP_3) | instskip(NEXT) | instid1(VALU_DEP_3)
	v_cmp_ngt_f32_e32 vcc_lo, 0xc2ce8ed0, v100
	v_fma_f32 v104, 0x3fb8aa3b, v99, -v122
	v_rndne_f32_e32 v127, v122
	s_delay_alu instid0(VALU_DEP_2) | instskip(NEXT) | instid1(VALU_DEP_2)
	v_fmac_f32_e32 v104, 0x32a5705f, v99
	v_sub_f32_e32 v122, v122, v127
	s_delay_alu instid0(VALU_DEP_1) | instskip(NEXT) | instid1(VALU_DEP_1)
	v_add_f32_e32 v104, v122, v104
	v_exp_f32_e32 v103, v104
	v_cvt_i32_f32_e32 v104, v127
	s_waitcnt_depctr 0xfff
	v_ldexp_f32 v103, v103, v104
	v_mul_f32_e32 v120, 0x3fb8aa3b, v100
	v_mul_f32_e32 v104, 0x3fb8aa3b, v65
	s_delay_alu instid0(VALU_DEP_2) | instskip(SKIP_1) | instid1(VALU_DEP_3)
	v_fma_f32 v124, 0x3fb8aa3b, v100, -v120
	v_rndne_f32_e32 v126, v120
	v_fma_f32 v105, 0x3fb8aa3b, v65, -v104
	v_rndne_f32_e32 v106, v104
	s_delay_alu instid0(VALU_DEP_4) | instskip(NEXT) | instid1(VALU_DEP_3)
	v_fmac_f32_e32 v124, 0x32a5705f, v100
	v_dual_sub_f32 v120, v120, v126 :: v_dual_fmac_f32 v105, 0x32a5705f, v65
	v_cvt_i32_f32_e32 v66, v126
	s_delay_alu instid0(VALU_DEP_2) | instskip(NEXT) | instid1(VALU_DEP_1)
	v_add_f32_e32 v48, v120, v124
	v_exp_f32_e32 v48, v48
	s_waitcnt_depctr 0xfff
	v_ldexp_f32 v48, v48, v66
	v_add_f32_e32 v66, v51, v7
	v_cvt_f16_f32_e32 v51, v51
	s_delay_alu instid0(VALU_DEP_3) | instskip(SKIP_3) | instid1(VALU_DEP_2)
	v_cndmask_b32_e32 v48, 0, v48, vcc_lo
	v_cmp_ngt_f32_e32 vcc_lo, 0xc2ce8ed0, v99
	v_cndmask_b32_e32 v103, 0, v103, vcc_lo
	v_cmp_nlt_f32_e32 vcc_lo, 0x42b17218, v99
	v_cndmask_b32_e32 v99, 0x7f800000, v103, vcc_lo
	v_sub_f32_e32 v103, v104, v106
	v_mul_f32_e32 v104, 0x3fb8aa3b, v98
	v_cmp_nlt_f32_e32 vcc_lo, 0x42b17218, v100
	v_cvt_f16_f32_e32 v100, v7
	v_fmac_f32_e32 v66, v6, v99
	v_add_f32_e32 v6, v103, v105
	v_fma_f32 v7, 0x3fb8aa3b, v98, -v104
	v_rndne_f32_e32 v103, v104
	v_max_f32_e32 v105, v125, v125
	v_cvt_f16_f32_e32 v99, v99
	v_exp_f32_e32 v120, v6
	s_delay_alu instid0(VALU_DEP_3) | instskip(NEXT) | instid1(VALU_DEP_3)
	v_dual_fmac_f32 v7, 0x32a5705f, v98 :: v_dual_sub_f32 v104, v104, v103
	v_max_f32_e32 v6, v119, v105
	s_delay_alu instid0(VALU_DEP_3)
	v_pk_mul_f16 v119, v99, v47 op_sel_hi:[0,1]
	v_cvt_i32_f32_e32 v99, v106
	s_waitcnt lgkmcnt(0)
	v_max_f32_e32 v105, v146, v146
	v_dual_add_f32 v7, v104, v7 :: v_dual_sub_f32 v104, v121, v6
	v_cvt_i32_f32_e32 v103, v103
	s_delay_alu instid0(TRANS32_DEP_1) | instskip(NEXT) | instid1(VALU_DEP_3)
	v_ldexp_f32 v99, v120, v99
	v_exp_f32_e32 v106, v7
	s_delay_alu instid0(VALU_DEP_3) | instskip(NEXT) | instid1(VALU_DEP_1)
	v_dual_mul_f32 v120, 0x3fb8aa3b, v104 :: v_dual_max_f32 v7, v143, v105
	v_fma_f32 v105, 0x3fb8aa3b, v104, -v120
	v_rndne_f32_e32 v121, v120
	s_delay_alu instid0(VALU_DEP_3)
	v_sub_f32_e32 v64, v64, v7
	v_sub_f32_e32 v122, v128, v7
	s_waitcnt_depctr 0xfff
	v_ldexp_f32 v103, v106, v103
	v_dual_fmac_f32 v105, 0x32a5705f, v104 :: v_dual_sub_f32 v106, v120, v121
	v_cndmask_b32_e32 v48, 0x7f800000, v48, vcc_lo
	v_cmp_ngt_f32_e32 vcc_lo, 0xc2ce8ed0, v65
	v_mul_f32_e32 v120, 0x3fb8aa3b, v122
	s_delay_alu instid0(VALU_DEP_3) | instskip(SKIP_2) | instid1(VALU_DEP_2)
	v_cvt_f16_f32_e32 v47, v48
	v_cndmask_b32_e32 v99, 0, v99, vcc_lo
	v_cmp_nlt_f32_e32 vcc_lo, 0x42b17218, v65
	v_cndmask_b32_e32 v99, 0x7f800000, v99, vcc_lo
	v_cmp_ngt_f32_e32 vcc_lo, 0xc2ce8ed0, v98
	s_delay_alu instid0(VALU_DEP_2)
	v_add_f32_e32 v65, v48, v99
	v_cndmask_b32_e32 v48, 0, v103, vcc_lo
	v_cmp_nlt_f32_e32 vcc_lo, 0x42b17218, v98
	v_add_f32_e32 v103, v106, v105
	v_fma_f32 v105, 0x3fb8aa3b, v122, -v120
	v_rndne_f32_e32 v106, v120
	v_cvt_f16_f32_e32 v99, v99
	v_cndmask_b32_e32 v123, 0x7f800000, v48, vcc_lo
	v_cmp_ngt_f32_e32 vcc_lo, 0xc2ce8ed0, v104
	v_fmac_f32_e32 v105, 0x32a5705f, v122
	v_sub_f32_e32 v98, v120, v106
	v_cvt_i32_f32_e32 v106, v106
	v_dual_fmac_f32 v65, v97, v123 :: v_dual_sub_f32 v48, v63, v6
	v_exp_f32_e32 v63, v103
	v_cvt_i32_f32_e32 v97, v121
	v_dual_add_f32 v98, v98, v105 :: v_dual_sub_f32 v105, v96, v6
	s_delay_alu instid0(VALU_DEP_3) | instskip(NEXT) | instid1(VALU_DEP_1)
	v_mul_f32_e32 v103, 0x3fb8aa3b, v48
	v_fma_f32 v96, 0x3fb8aa3b, v48, -v103
	s_waitcnt_depctr 0xfff
	v_ldexp_f32 v63, v63, v97
	v_exp_f32_e32 v97, v98
	v_rndne_f32_e32 v120, v103
	s_delay_alu instid0(VALU_DEP_2) | instskip(SKIP_1) | instid1(VALU_DEP_3)
	v_cndmask_b32_e32 v63, 0, v63, vcc_lo
	v_cmp_nlt_f32_e32 vcc_lo, 0x42b17218, v104
	v_sub_f32_e32 v98, v103, v120
	v_mul_f32_e32 v103, 0x3fb8aa3b, v64
	v_cvt_i32_f32_e32 v120, v120
	s_delay_alu instid0(TRANS32_DEP_1) | instskip(SKIP_1) | instid1(VALU_DEP_4)
	v_ldexp_f32 v97, v97, v106
	v_mul_f32_e32 v106, 0x3fb8aa3b, v105
	v_rndne_f32_e32 v104, v103
	v_cndmask_b32_e32 v63, 0x7f800000, v63, vcc_lo
	v_cmp_ngt_f32_e32 vcc_lo, 0xc2ce8ed0, v122
	s_delay_alu instid0(VALU_DEP_4) | instskip(SKIP_2) | instid1(VALU_DEP_3)
	v_fma_f32 v121, 0x3fb8aa3b, v105, -v106
	v_cndmask_b32_e32 v97, 0, v97, vcc_lo
	v_cmp_nlt_f32_e32 vcc_lo, 0x42b17218, v122
	v_dual_fmac_f32 v121, 0x32a5705f, v105 :: v_dual_fmac_f32 v96, 0x32a5705f, v48
	s_delay_alu instid0(VALU_DEP_1) | instskip(SKIP_3) | instid1(VALU_DEP_4)
	v_add_f32_e32 v96, v98, v96
	v_fma_f32 v98, 0x3fb8aa3b, v64, -v103
	v_sub_f32_e32 v103, v103, v104
	v_cvt_i32_f32_e32 v104, v104
	v_exp_f32_e32 v96, v96
	s_delay_alu instid0(VALU_DEP_3) | instskip(NEXT) | instid1(VALU_DEP_1)
	v_fmac_f32_e32 v98, 0x32a5705f, v64
	v_dual_add_f32 v98, v103, v98 :: v_dual_cndmask_b32 v103, 0x7f800000, v97
	v_rndne_f32_e32 v97, v106
	v_cmp_ngt_f32_e32 vcc_lo, 0xc2ce8ed0, v48
	s_waitcnt_depctr 0xfff
	v_ldexp_f32 v96, v96, v120
	v_exp_f32_e32 v98, v98
	v_dual_sub_f32 v120, v95, v7 :: v_dual_sub_f32 v95, v106, v97
	v_cvt_i32_f32_e32 v97, v97
	s_delay_alu instid0(VALU_DEP_3) | instskip(SKIP_1) | instid1(VALU_DEP_4)
	v_cndmask_b32_e32 v96, 0, v96, vcc_lo
	v_cmp_nlt_f32_e32 vcc_lo, 0x42b17218, v48
	v_dual_mul_f32 v106, 0x3fb8aa3b, v120 :: v_dual_add_f32 v95, v95, v121
	s_delay_alu instid0(VALU_DEP_3) | instskip(NEXT) | instid1(TRANS32_DEP_1)
	v_cndmask_b32_e32 v121, 0x7f800000, v96, vcc_lo
	v_ldexp_f32 v48, v98, v104
	s_delay_alu instid0(VALU_DEP_3) | instskip(SKIP_3) | instid1(VALU_DEP_3)
	v_fma_f32 v96, 0x3fb8aa3b, v120, -v106
	v_rndne_f32_e32 v98, v106
	v_cmp_ngt_f32_e32 vcc_lo, 0xc2ce8ed0, v64
	v_exp_f32_e32 v95, v95
	v_fmac_f32_e32 v96, 0x32a5705f, v120
	s_delay_alu instid0(VALU_DEP_3)
	v_sub_f32_e32 v104, v106, v98
	v_cndmask_b32_e32 v48, 0, v48, vcc_lo
	v_cmp_nlt_f32_e32 vcc_lo, 0x42b17218, v64
	v_cvt_i32_f32_e32 v125, v98
	v_cvt_f16_f32_e32 v64, v103
	v_cvt_f16_f32_e32 v106, v63
	v_cndmask_b32_e32 v122, 0x7f800000, v48, vcc_lo
	v_add_f32_e32 v48, v104, v96
	v_ldexp_f32 v104, v95, v97
	v_cmp_ngt_f32_e32 vcc_lo, 0xc2ce8ed0, v105
	v_cvt_f16_f32_e32 v96, v121
	v_cvt_f16_f32_e32 v124, v122
	v_exp_f32_e32 v48, v48
	v_pack_b32_f16 v97, v51, v47
	v_cndmask_b32_e32 v47, 0, v104, vcc_lo
	v_cmp_ngt_f32_e32 vcc_lo, 0xc2ce8ed0, v120
	v_pack_b32_f16 v98, v96, v64
	v_pack_b32_f16 v96, v52, v101
	;; [unrolled: 1-line block ×6, first 2 shown]
	v_ldexp_f32 v51, v48, v125
	v_pack_b32_f16 v99, v145, v138
	ds_store_b128 v91, v[95:98]
	ds_store_b128 v91, v[99:102] offset:512
	s_waitcnt vmcnt(3)
	ds_store_b128 v85, v[108:111]
	s_waitcnt vmcnt(2)
	ds_store_b128 v87, v[112:115]
	;; [unrolled: 2-line block ×4, first 2 shown]
	v_cndmask_b32_e32 v51, 0, v51, vcc_lo
	v_cmp_nlt_f32_e32 vcc_lo, 0x42b17218, v105
	s_waitcnt lgkmcnt(0)
	s_barrier
	buffer_gl0_inv
	ds_load_2addr_b32 v[48:49], v42 offset1:32
	ds_load_b128 v[95:98], v86
	v_cndmask_b32_e32 v47, 0x7f800000, v47, vcc_lo
	v_cmp_nlt_f32_e32 vcc_lo, 0x42b17218, v120
	ds_load_b128 v[99:102], v86 offset:16
	v_cvt_f16_f32_e32 v52, v123
	v_add_f32_e32 v64, v121, v63
	v_cvt_f16_f32_e32 v104, v47
	v_cndmask_b32_e32 v51, 0x7f800000, v51, vcc_lo
	v_add_f32_e32 v63, v103, v122
	v_pk_mul_f16 v108, v52, v46 op_sel_hi:[0,1]
	v_fmac_f32_e32 v64, v93, v47
	v_pk_mul_f16 v93, v104, v45 op_sel_hi:[0,1]
	v_cvt_f16_f32_e32 v103, v51
	v_fmac_f32_e32 v63, v94, v51
	s_delay_alu instid0(VALU_DEP_2)
	v_pk_mul_f16 v94, v103, v44 op_sel_hi:[0,1]
	ds_load_2addr_b32 v[51:52], v42 offset0:64 offset1:96
	ds_load_b128 v[44:47], v86 offset:32
	ds_load_b128 v[103:106], v86 offset:48
	s_waitcnt lgkmcnt(4)
	v_pk_fma_f16 v109, v48, v95, v116 op_sel_hi:[1,0,1]
	v_pk_fma_f16 v95, v48, v95, v141 op_sel:[0,1,0]
	v_pk_fma_f16 v107, v48, v96, v107 op_sel_hi:[1,0,1]
	v_pk_fma_f16 v96, v48, v96, v137 op_sel:[0,1,0]
	;; [unrolled: 2-line block ×4, first 2 shown]
	s_waitcnt lgkmcnt(3)
	v_pk_fma_f16 v98, v49, v99, v109 op_sel_hi:[1,0,1]
	v_pk_fma_f16 v99, v49, v99, v95 op_sel:[0,1,0]
	v_pk_fma_f16 v109, v49, v100, v107 op_sel_hi:[1,0,1]
	v_pk_fma_f16 v100, v49, v100, v96 op_sel:[0,1,0]
	ds_load_2addr_b32 v[107:108], v42 offset0:128 offset1:160
	ds_load_b128 v[93:96], v86 offset:64
	v_pk_fma_f16 v110, v49, v101, v110 op_sel_hi:[1,0,1]
	v_pk_fma_f16 v97, v49, v101, v97 op_sel:[0,1,0]
	v_pk_fma_f16 v101, v49, v102, v111 op_sel_hi:[1,0,1]
	v_pk_fma_f16 v48, v49, v102, v48 op_sel:[0,1,0]
	s_waitcnt lgkmcnt(3)
	v_pk_fma_f16 v49, v51, v44, v98 op_sel_hi:[1,0,1]
	v_pk_fma_f16 v44, v51, v44, v99 op_sel:[0,1,0]
	v_pk_fma_f16 v102, v51, v45, v109 op_sel_hi:[1,0,1]
	v_pk_fma_f16 v45, v51, v45, v100 op_sel:[0,1,0]
	;; [unrolled: 2-line block ×3, first 2 shown]
	v_pk_fma_f16 v101, v51, v47, v101 op_sel_hi:[1,0,1]
	ds_load_b128 v[97:100], v86 offset:80
	v_pk_fma_f16 v47, v51, v47, v48 op_sel:[0,1,0]
	s_waitcnt lgkmcnt(3)
	v_pk_fma_f16 v48, v52, v103, v49 op_sel_hi:[1,0,1]
	v_pk_fma_f16 v51, v52, v103, v44 op_sel:[0,1,0]
	v_pk_fma_f16 v102, v52, v104, v102 op_sel_hi:[1,0,1]
	v_pk_fma_f16 v103, v52, v104, v45 op_sel:[0,1,0]
	;; [unrolled: 2-line block ×4, first 2 shown]
	s_waitcnt lgkmcnt(1)
	v_pk_fma_f16 v106, v107, v93, v48 op_sel_hi:[1,0,1]
	ds_load_2addr_b32 v[48:49], v42 offset0:192 offset1:224
	ds_load_b128 v[44:47], v86 offset:96
	v_pk_fma_f16 v51, v107, v93, v51 op_sel:[0,1,0]
	v_pk_fma_f16 v102, v107, v94, v102 op_sel_hi:[1,0,1]
	v_pk_fma_f16 v103, v107, v94, v103 op_sel:[0,1,0]
	v_pk_fma_f16 v104, v107, v95, v104 op_sel_hi:[1,0,1]
	;; [unrolled: 2-line block ×3, first 2 shown]
	v_pk_fma_f16 v52, v107, v96, v52 op_sel:[0,1,0]
	ds_load_b128 v[93:96], v86 offset:112
	v_add_nc_u32_e32 v109, 0x400, v42
	s_waitcnt lgkmcnt(3)
	v_pk_fma_f16 v106, v108, v97, v106 op_sel_hi:[1,0,1]
	v_pk_fma_f16 v107, v108, v97, v51 op_sel:[0,1,0]
	v_pk_fma_f16 v102, v108, v98, v102 op_sel_hi:[1,0,1]
	v_pk_fma_f16 v103, v108, v98, v103 op_sel:[0,1,0]
	;; [unrolled: 2-line block ×4, first 2 shown]
	ds_load_2addr_b32 v[51:52], v109 offset1:32
	ds_load_b128 v[97:100], v86 offset:128
	s_waitcnt lgkmcnt(3)
	v_pk_fma_f16 v106, v48, v44, v106 op_sel_hi:[1,0,1]
	v_pk_fma_f16 v107, v48, v44, v107 op_sel:[0,1,0]
	v_pk_fma_f16 v102, v48, v45, v102 op_sel_hi:[1,0,1]
	v_pk_fma_f16 v103, v48, v45, v103 op_sel:[0,1,0]
	v_pk_fma_f16 v104, v48, v46, v104 op_sel_hi:[1,0,1]
	v_pk_fma_f16 v105, v48, v46, v105 op_sel:[0,1,0]
	v_pk_fma_f16 v101, v48, v47, v101 op_sel_hi:[1,0,1]
	v_pk_fma_f16 v48, v48, v47, v108 op_sel:[0,1,0]
	ds_load_b128 v[44:47], v86 offset:144
	s_waitcnt lgkmcnt(3)
	v_pk_fma_f16 v106, v49, v93, v106 op_sel_hi:[1,0,1]
	v_pk_fma_f16 v107, v49, v93, v107 op_sel:[0,1,0]
	v_pk_fma_f16 v102, v49, v94, v102 op_sel_hi:[1,0,1]
	v_pk_fma_f16 v103, v49, v94, v103 op_sel:[0,1,0]
	;; [unrolled: 2-line block ×4, first 2 shown]
	ds_load_2addr_b32 v[48:49], v109 offset0:64 offset1:96
	ds_load_b128 v[93:96], v86 offset:160
	s_waitcnt lgkmcnt(3)
	v_pk_fma_f16 v106, v51, v97, v106 op_sel_hi:[1,0,1]
	v_pk_fma_f16 v107, v51, v97, v107 op_sel:[0,1,0]
	v_pk_fma_f16 v102, v51, v98, v102 op_sel_hi:[1,0,1]
	v_pk_fma_f16 v103, v51, v98, v103 op_sel:[0,1,0]
	;; [unrolled: 2-line block ×4, first 2 shown]
	ds_load_b128 v[97:100], v86 offset:176
	s_waitcnt lgkmcnt(3)
	v_pk_fma_f16 v108, v52, v44, v106 op_sel_hi:[1,0,1]
	v_pk_fma_f16 v44, v52, v44, v107 op_sel:[0,1,0]
	v_pk_fma_f16 v107, v52, v45, v102 op_sel_hi:[1,0,1]
	v_pk_fma_f16 v45, v52, v45, v103 op_sel:[0,1,0]
	;; [unrolled: 2-line block ×3, first 2 shown]
	ds_load_2addr_b32 v[105:106], v109 offset0:128 offset1:160
	ds_load_b128 v[101:104], v86 offset:192
	v_pk_fma_f16 v110, v52, v47, v110 op_sel_hi:[1,0,1]
	v_pk_fma_f16 v51, v52, v47, v51 op_sel:[0,1,0]
	s_waitcnt lgkmcnt(3)
	v_pk_fma_f16 v52, v48, v93, v108 op_sel_hi:[1,0,1]
	v_pk_fma_f16 v93, v48, v93, v44 op_sel:[0,1,0]
	v_pk_fma_f16 v107, v48, v94, v107 op_sel_hi:[1,0,1]
	v_pk_fma_f16 v94, v48, v94, v45 op_sel:[0,1,0]
	;; [unrolled: 2-line block ×3, first 2 shown]
	v_pk_fma_f16 v110, v48, v96, v110 op_sel_hi:[1,0,1]
	ds_load_b128 v[44:47], v86 offset:208
	v_pk_fma_f16 v48, v48, v96, v51 op_sel:[0,1,0]
	s_waitcnt lgkmcnt(3)
	v_pk_fma_f16 v51, v49, v97, v52 op_sel_hi:[1,0,1]
	v_pk_fma_f16 v52, v49, v97, v93 op_sel:[0,1,0]
	v_pk_fma_f16 v97, v49, v98, v107 op_sel_hi:[1,0,1]
	v_pk_fma_f16 v98, v49, v98, v94 op_sel:[0,1,0]
	;; [unrolled: 2-line block ×4, first 2 shown]
	ds_load_2addr_b32 v[48:49], v109 offset0:192 offset1:224
	ds_load_b128 v[93:96], v86 offset:224
	s_waitcnt lgkmcnt(3)
	v_pk_fma_f16 v51, v105, v101, v51 op_sel_hi:[1,0,1]
	v_pk_fma_f16 v52, v105, v101, v52 op_sel:[0,1,0]
	v_pk_fma_f16 v101, v105, v102, v97 op_sel_hi:[1,0,1]
	v_pk_fma_f16 v102, v105, v102, v98 op_sel:[0,1,0]
	;; [unrolled: 2-line block ×4, first 2 shown]
	ds_load_b128 v[97:100], v86 offset:240
	v_add_nc_u32_e32 v110, 0x800, v42
	s_waitcnt lgkmcnt(3)
	v_pk_fma_f16 v105, v106, v44, v51 op_sel_hi:[1,0,1]
	v_pk_fma_f16 v109, v106, v44, v52 op_sel:[0,1,0]
	v_pk_fma_f16 v101, v106, v45, v101 op_sel_hi:[1,0,1]
	v_pk_fma_f16 v102, v106, v45, v102 op_sel:[0,1,0]
	;; [unrolled: 2-line block ×4, first 2 shown]
	ds_load_2addr_b32 v[51:52], v110 offset1:32
	ds_load_b128 v[44:47], v86 offset:256
	s_waitcnt lgkmcnt(3)
	v_pk_fma_f16 v105, v48, v93, v105 op_sel_hi:[1,0,1]
	v_pk_fma_f16 v106, v48, v93, v109 op_sel:[0,1,0]
	v_pk_fma_f16 v101, v48, v94, v101 op_sel_hi:[1,0,1]
	v_pk_fma_f16 v102, v48, v94, v102 op_sel:[0,1,0]
	;; [unrolled: 2-line block ×4, first 2 shown]
	ds_load_b128 v[93:96], v86 offset:272
	s_waitcnt lgkmcnt(3)
	v_pk_fma_f16 v104, v49, v97, v105 op_sel_hi:[1,0,1]
	v_pk_fma_f16 v105, v49, v97, v106 op_sel:[0,1,0]
	v_pk_fma_f16 v101, v49, v98, v101 op_sel_hi:[1,0,1]
	v_pk_fma_f16 v102, v49, v98, v102 op_sel:[0,1,0]
	;; [unrolled: 2-line block ×4, first 2 shown]
	ds_load_2addr_b32 v[48:49], v110 offset0:64 offset1:96
	ds_load_b128 v[97:100], v86 offset:288
	s_waitcnt lgkmcnt(3)
	v_pk_fma_f16 v104, v51, v44, v104 op_sel_hi:[1,0,1]
	v_pk_fma_f16 v105, v51, v44, v105 op_sel:[0,1,0]
	v_pk_fma_f16 v101, v51, v45, v101 op_sel_hi:[1,0,1]
	v_pk_fma_f16 v102, v51, v45, v102 op_sel:[0,1,0]
	;; [unrolled: 2-line block ×4, first 2 shown]
	ds_load_b128 v[44:47], v86 offset:304
	s_waitcnt lgkmcnt(3)
	v_pk_fma_f16 v108, v52, v93, v104 op_sel_hi:[1,0,1]
	v_pk_fma_f16 v93, v52, v93, v105 op_sel:[0,1,0]
	v_pk_fma_f16 v109, v52, v94, v101 op_sel_hi:[1,0,1]
	v_pk_fma_f16 v94, v52, v94, v102 op_sel:[0,1,0]
	;; [unrolled: 2-line block ×3, first 2 shown]
	ds_load_2addr_b32 v[105:106], v110 offset0:128 offset1:160
	ds_load_b128 v[101:104], v86 offset:320
	v_pk_fma_f16 v107, v52, v96, v107 op_sel_hi:[1,0,1]
	v_pk_fma_f16 v51, v52, v96, v51 op_sel:[0,1,0]
	s_waitcnt lgkmcnt(3)
	v_pk_fma_f16 v52, v48, v97, v108 op_sel_hi:[1,0,1]
	v_pk_fma_f16 v97, v48, v97, v93 op_sel:[0,1,0]
	v_pk_fma_f16 v108, v48, v98, v109 op_sel_hi:[1,0,1]
	v_pk_fma_f16 v98, v48, v98, v94 op_sel:[0,1,0]
	;; [unrolled: 2-line block ×3, first 2 shown]
	ds_load_b128 v[93:96], v86 offset:336
	v_pk_fma_f16 v107, v48, v100, v107 op_sel_hi:[1,0,1]
	v_pk_fma_f16 v48, v48, v100, v51 op_sel:[0,1,0]
	s_waitcnt lgkmcnt(3)
	v_pk_fma_f16 v51, v49, v44, v52 op_sel_hi:[1,0,1]
	v_pk_fma_f16 v52, v49, v44, v97 op_sel:[0,1,0]
	v_pk_fma_f16 v97, v49, v45, v108 op_sel_hi:[1,0,1]
	v_pk_fma_f16 v98, v49, v45, v98 op_sel:[0,1,0]
	;; [unrolled: 2-line block ×4, first 2 shown]
	ds_load_2addr_b32 v[48:49], v110 offset0:192 offset1:224
	ds_load_b128 v[44:47], v86 offset:352
	s_waitcnt lgkmcnt(3)
	v_pk_fma_f16 v51, v105, v101, v51 op_sel_hi:[1,0,1]
	v_pk_fma_f16 v52, v105, v101, v52 op_sel:[0,1,0]
	v_pk_fma_f16 v101, v105, v102, v97 op_sel_hi:[1,0,1]
	v_pk_fma_f16 v102, v105, v102, v98 op_sel:[0,1,0]
	;; [unrolled: 2-line block ×4, first 2 shown]
	ds_load_b128 v[97:100], v86 offset:368
	v_add_nc_u32_e32 v110, 0xc00, v42
	s_waitcnt lgkmcnt(3)
	v_pk_fma_f16 v105, v106, v93, v51 op_sel_hi:[1,0,1]
	v_pk_fma_f16 v108, v106, v93, v52 op_sel:[0,1,0]
	v_pk_fma_f16 v101, v106, v94, v101 op_sel_hi:[1,0,1]
	v_pk_fma_f16 v102, v106, v94, v102 op_sel:[0,1,0]
	;; [unrolled: 2-line block ×4, first 2 shown]
	ds_load_2addr_b32 v[51:52], v110 offset1:32
	ds_load_b128 v[93:96], v86 offset:384
	s_waitcnt lgkmcnt(3)
	v_pk_fma_f16 v105, v48, v44, v105 op_sel_hi:[1,0,1]
	v_pk_fma_f16 v106, v48, v44, v108 op_sel:[0,1,0]
	v_pk_fma_f16 v101, v48, v45, v101 op_sel_hi:[1,0,1]
	v_pk_fma_f16 v102, v48, v45, v102 op_sel:[0,1,0]
	v_pk_fma_f16 v108, v48, v46, v109 op_sel_hi:[1,0,1]
	v_pk_fma_f16 v103, v48, v46, v103 op_sel:[0,1,0]
	v_pk_fma_f16 v107, v48, v47, v107 op_sel_hi:[1,0,1]
	v_pk_fma_f16 v48, v48, v47, v104 op_sel:[0,1,0]
	ds_load_b128 v[44:47], v86 offset:400
	s_waitcnt lgkmcnt(3)
	v_pk_fma_f16 v104, v49, v97, v105 op_sel_hi:[1,0,1]
	v_pk_fma_f16 v105, v49, v97, v106 op_sel:[0,1,0]
	v_pk_fma_f16 v101, v49, v98, v101 op_sel_hi:[1,0,1]
	v_pk_fma_f16 v102, v49, v98, v102 op_sel:[0,1,0]
	;; [unrolled: 2-line block ×4, first 2 shown]
	ds_load_2addr_b32 v[48:49], v110 offset0:64 offset1:96
	ds_load_b128 v[97:100], v86 offset:416
	s_waitcnt lgkmcnt(3)
	v_pk_fma_f16 v104, v51, v93, v104 op_sel_hi:[1,0,1]
	v_pk_fma_f16 v105, v51, v93, v105 op_sel:[0,1,0]
	v_pk_fma_f16 v101, v51, v94, v101 op_sel_hi:[1,0,1]
	v_pk_fma_f16 v102, v51, v94, v102 op_sel:[0,1,0]
	;; [unrolled: 2-line block ×4, first 2 shown]
	ds_load_b128 v[93:96], v86 offset:432
	s_waitcnt lgkmcnt(3)
	v_pk_fma_f16 v108, v52, v44, v104 op_sel_hi:[1,0,1]
	v_pk_fma_f16 v44, v52, v44, v105 op_sel:[0,1,0]
	v_pk_fma_f16 v109, v52, v45, v101 op_sel_hi:[1,0,1]
	v_pk_fma_f16 v45, v52, v45, v102 op_sel:[0,1,0]
	;; [unrolled: 2-line block ×3, first 2 shown]
	ds_load_2addr_b32 v[105:106], v110 offset0:128 offset1:160
	ds_load_b128 v[101:104], v86 offset:448
	v_pk_fma_f16 v107, v52, v47, v107 op_sel_hi:[1,0,1]
	v_pk_fma_f16 v51, v52, v47, v51 op_sel:[0,1,0]
	s_waitcnt lgkmcnt(3)
	v_pk_fma_f16 v52, v48, v97, v108 op_sel_hi:[1,0,1]
	v_pk_fma_f16 v97, v48, v97, v44 op_sel:[0,1,0]
	v_pk_fma_f16 v108, v48, v98, v109 op_sel_hi:[1,0,1]
	v_pk_fma_f16 v98, v48, v98, v45 op_sel:[0,1,0]
	;; [unrolled: 2-line block ×3, first 2 shown]
	v_pk_fma_f16 v107, v48, v100, v107 op_sel_hi:[1,0,1]
	ds_load_b128 v[44:47], v86 offset:464
	v_pk_fma_f16 v48, v48, v100, v51 op_sel:[0,1,0]
	s_waitcnt lgkmcnt(3)
	v_pk_fma_f16 v51, v49, v93, v52 op_sel_hi:[1,0,1]
	v_pk_fma_f16 v52, v49, v93, v97 op_sel:[0,1,0]
	v_pk_fma_f16 v97, v49, v94, v108 op_sel_hi:[1,0,1]
	v_pk_fma_f16 v98, v49, v94, v98 op_sel:[0,1,0]
	v_pk_fma_f16 v100, v49, v95, v109 op_sel_hi:[1,0,1]
	v_pk_fma_f16 v99, v49, v95, v99 op_sel:[0,1,0]
	v_pk_fma_f16 v107, v49, v96, v107 op_sel_hi:[1,0,1]
	v_pk_fma_f16 v108, v49, v96, v48 op_sel:[0,1,0]
	ds_load_2addr_b32 v[48:49], v110 offset0:192 offset1:224
	ds_load_b128 v[93:96], v86 offset:480
	s_waitcnt lgkmcnt(3)
	v_pk_fma_f16 v51, v105, v101, v51 op_sel_hi:[1,0,1]
	v_pk_fma_f16 v52, v105, v101, v52 op_sel:[0,1,0]
	v_pk_fma_f16 v101, v105, v102, v97 op_sel_hi:[1,0,1]
	v_pk_fma_f16 v102, v105, v102, v98 op_sel:[0,1,0]
	;; [unrolled: 2-line block ×4, first 2 shown]
	ds_load_b128 v[97:100], v86 offset:496
	v_add_nc_u32_e32 v110, 0x1000, v42
	s_waitcnt lgkmcnt(3)
	v_pk_fma_f16 v105, v106, v44, v51 op_sel_hi:[1,0,1]
	v_pk_fma_f16 v108, v106, v44, v52 op_sel:[0,1,0]
	v_pk_fma_f16 v101, v106, v45, v101 op_sel_hi:[1,0,1]
	v_pk_fma_f16 v102, v106, v45, v102 op_sel:[0,1,0]
	;; [unrolled: 2-line block ×4, first 2 shown]
	ds_load_2addr_b32 v[51:52], v110 offset1:32
	ds_load_b128 v[44:47], v86 offset:512
	s_waitcnt lgkmcnt(3)
	v_pk_fma_f16 v105, v48, v93, v105 op_sel_hi:[1,0,1]
	v_pk_fma_f16 v106, v48, v93, v108 op_sel:[0,1,0]
	v_pk_fma_f16 v101, v48, v94, v101 op_sel_hi:[1,0,1]
	v_pk_fma_f16 v102, v48, v94, v102 op_sel:[0,1,0]
	;; [unrolled: 2-line block ×4, first 2 shown]
	ds_load_b128 v[93:96], v86 offset:528
	s_waitcnt lgkmcnt(3)
	v_pk_fma_f16 v104, v49, v97, v105 op_sel_hi:[1,0,1]
	v_pk_fma_f16 v105, v49, v97, v106 op_sel:[0,1,0]
	v_pk_fma_f16 v101, v49, v98, v101 op_sel_hi:[1,0,1]
	v_pk_fma_f16 v102, v49, v98, v102 op_sel:[0,1,0]
	;; [unrolled: 2-line block ×4, first 2 shown]
	ds_load_2addr_b32 v[48:49], v110 offset0:64 offset1:96
	ds_load_b128 v[97:100], v86 offset:544
	s_waitcnt lgkmcnt(3)
	v_pk_fma_f16 v104, v51, v44, v104 op_sel_hi:[1,0,1]
	v_pk_fma_f16 v105, v51, v44, v105 op_sel:[0,1,0]
	v_pk_fma_f16 v101, v51, v45, v101 op_sel_hi:[1,0,1]
	v_pk_fma_f16 v102, v51, v45, v102 op_sel:[0,1,0]
	;; [unrolled: 2-line block ×4, first 2 shown]
	ds_load_b128 v[44:47], v86 offset:560
	s_waitcnt lgkmcnt(3)
	v_pk_fma_f16 v108, v52, v93, v104 op_sel_hi:[1,0,1]
	v_pk_fma_f16 v93, v52, v93, v105 op_sel:[0,1,0]
	v_pk_fma_f16 v109, v52, v94, v101 op_sel_hi:[1,0,1]
	v_pk_fma_f16 v94, v52, v94, v102 op_sel:[0,1,0]
	v_pk_fma_f16 v111, v52, v95, v106 op_sel_hi:[1,0,1]
	v_pk_fma_f16 v95, v52, v95, v103 op_sel:[0,1,0]
	ds_load_2addr_b32 v[105:106], v110 offset0:128 offset1:160
	ds_load_b128 v[101:104], v86 offset:576
	v_pk_fma_f16 v107, v52, v96, v107 op_sel_hi:[1,0,1]
	v_pk_fma_f16 v51, v52, v96, v51 op_sel:[0,1,0]
	s_waitcnt lgkmcnt(3)
	v_pk_fma_f16 v52, v48, v97, v108 op_sel_hi:[1,0,1]
	v_pk_fma_f16 v97, v48, v97, v93 op_sel:[0,1,0]
	v_pk_fma_f16 v108, v48, v98, v109 op_sel_hi:[1,0,1]
	v_pk_fma_f16 v98, v48, v98, v94 op_sel:[0,1,0]
	;; [unrolled: 2-line block ×3, first 2 shown]
	v_pk_fma_f16 v107, v48, v100, v107 op_sel_hi:[1,0,1]
	ds_load_b128 v[93:96], v86 offset:592
	v_pk_fma_f16 v48, v48, v100, v51 op_sel:[0,1,0]
	s_waitcnt lgkmcnt(3)
	v_pk_fma_f16 v51, v49, v44, v52 op_sel_hi:[1,0,1]
	v_pk_fma_f16 v52, v49, v44, v97 op_sel:[0,1,0]
	v_pk_fma_f16 v97, v49, v45, v108 op_sel_hi:[1,0,1]
	v_pk_fma_f16 v98, v49, v45, v98 op_sel:[0,1,0]
	;; [unrolled: 2-line block ×4, first 2 shown]
	ds_load_2addr_b32 v[48:49], v110 offset0:192 offset1:224
	ds_load_b128 v[44:47], v86 offset:608
	s_waitcnt lgkmcnt(3)
	v_pk_fma_f16 v51, v105, v101, v51 op_sel_hi:[1,0,1]
	v_pk_fma_f16 v52, v105, v101, v52 op_sel:[0,1,0]
	v_pk_fma_f16 v101, v105, v102, v97 op_sel_hi:[1,0,1]
	v_pk_fma_f16 v102, v105, v102, v98 op_sel:[0,1,0]
	v_pk_fma_f16 v109, v105, v103, v100 op_sel_hi:[1,0,1]
	v_pk_fma_f16 v103, v105, v103, v99 op_sel:[0,1,0]
	ds_load_b128 v[97:100], v86 offset:624
	v_pk_fma_f16 v107, v105, v104, v107 op_sel_hi:[1,0,1]
	v_pk_fma_f16 v104, v105, v104, v108 op_sel:[0,1,0]
	v_add_nc_u32_e32 v110, 0x1400, v42
	s_waitcnt lgkmcnt(3)
	v_pk_fma_f16 v105, v106, v93, v51 op_sel_hi:[1,0,1]
	v_pk_fma_f16 v108, v106, v93, v52 op_sel:[0,1,0]
	v_pk_fma_f16 v101, v106, v94, v101 op_sel_hi:[1,0,1]
	v_pk_fma_f16 v102, v106, v94, v102 op_sel:[0,1,0]
	;; [unrolled: 2-line block ×4, first 2 shown]
	ds_load_2addr_b32 v[51:52], v110 offset1:32
	ds_load_b128 v[93:96], v86 offset:640
	s_waitcnt lgkmcnt(3)
	v_pk_fma_f16 v105, v48, v44, v105 op_sel_hi:[1,0,1]
	v_pk_fma_f16 v106, v48, v44, v108 op_sel:[0,1,0]
	v_pk_fma_f16 v101, v48, v45, v101 op_sel_hi:[1,0,1]
	v_pk_fma_f16 v102, v48, v45, v102 op_sel:[0,1,0]
	;; [unrolled: 2-line block ×4, first 2 shown]
	ds_load_b128 v[44:47], v86 offset:656
	s_waitcnt lgkmcnt(3)
	v_pk_fma_f16 v104, v49, v97, v105 op_sel_hi:[1,0,1]
	v_pk_fma_f16 v105, v49, v97, v106 op_sel:[0,1,0]
	v_pk_fma_f16 v101, v49, v98, v101 op_sel_hi:[1,0,1]
	v_pk_fma_f16 v102, v49, v98, v102 op_sel:[0,1,0]
	;; [unrolled: 2-line block ×4, first 2 shown]
	ds_load_2addr_b32 v[48:49], v110 offset0:64 offset1:96
	ds_load_b128 v[97:100], v86 offset:672
	s_waitcnt lgkmcnt(3)
	v_pk_fma_f16 v104, v51, v93, v104 op_sel_hi:[1,0,1]
	v_pk_fma_f16 v105, v51, v93, v105 op_sel:[0,1,0]
	v_pk_fma_f16 v101, v51, v94, v101 op_sel_hi:[1,0,1]
	v_pk_fma_f16 v102, v51, v94, v102 op_sel:[0,1,0]
	;; [unrolled: 2-line block ×4, first 2 shown]
	ds_load_b128 v[93:96], v86 offset:688
	s_waitcnt lgkmcnt(3)
	v_pk_fma_f16 v108, v52, v44, v104 op_sel_hi:[1,0,1]
	v_pk_fma_f16 v44, v52, v44, v105 op_sel:[0,1,0]
	v_pk_fma_f16 v109, v52, v45, v101 op_sel_hi:[1,0,1]
	v_pk_fma_f16 v45, v52, v45, v102 op_sel:[0,1,0]
	;; [unrolled: 2-line block ×3, first 2 shown]
	ds_load_2addr_b32 v[105:106], v110 offset0:128 offset1:160
	ds_load_b128 v[101:104], v86 offset:704
	v_pk_fma_f16 v107, v52, v47, v107 op_sel_hi:[1,0,1]
	v_pk_fma_f16 v51, v52, v47, v51 op_sel:[0,1,0]
	s_waitcnt lgkmcnt(3)
	v_pk_fma_f16 v52, v48, v97, v108 op_sel_hi:[1,0,1]
	v_pk_fma_f16 v97, v48, v97, v44 op_sel:[0,1,0]
	v_pk_fma_f16 v108, v48, v98, v109 op_sel_hi:[1,0,1]
	v_pk_fma_f16 v98, v48, v98, v45 op_sel:[0,1,0]
	;; [unrolled: 2-line block ×3, first 2 shown]
	ds_load_b128 v[44:47], v86 offset:720
	v_pk_fma_f16 v107, v48, v100, v107 op_sel_hi:[1,0,1]
	v_pk_fma_f16 v48, v48, v100, v51 op_sel:[0,1,0]
	s_waitcnt lgkmcnt(3)
	v_pk_fma_f16 v51, v49, v93, v52 op_sel_hi:[1,0,1]
	v_pk_fma_f16 v52, v49, v93, v97 op_sel:[0,1,0]
	v_pk_fma_f16 v97, v49, v94, v108 op_sel_hi:[1,0,1]
	v_pk_fma_f16 v98, v49, v94, v98 op_sel:[0,1,0]
	;; [unrolled: 2-line block ×4, first 2 shown]
	ds_load_2addr_b32 v[48:49], v110 offset0:192 offset1:224
	ds_load_b128 v[93:96], v86 offset:736
	s_waitcnt lgkmcnt(3)
	v_pk_fma_f16 v51, v105, v101, v51 op_sel_hi:[1,0,1]
	v_pk_fma_f16 v52, v105, v101, v52 op_sel:[0,1,0]
	v_pk_fma_f16 v101, v105, v102, v97 op_sel_hi:[1,0,1]
	v_pk_fma_f16 v102, v105, v102, v98 op_sel:[0,1,0]
	;; [unrolled: 2-line block ×4, first 2 shown]
	ds_load_b128 v[97:100], v86 offset:752
	v_add_nc_u32_e32 v110, 0x1800, v42
	s_waitcnt lgkmcnt(3)
	v_pk_fma_f16 v105, v106, v44, v51 op_sel_hi:[1,0,1]
	v_pk_fma_f16 v108, v106, v44, v52 op_sel:[0,1,0]
	v_pk_fma_f16 v101, v106, v45, v101 op_sel_hi:[1,0,1]
	v_pk_fma_f16 v102, v106, v45, v102 op_sel:[0,1,0]
	;; [unrolled: 2-line block ×4, first 2 shown]
	ds_load_2addr_b32 v[51:52], v110 offset1:32
	ds_load_b128 v[44:47], v86 offset:768
	s_waitcnt lgkmcnt(3)
	v_pk_fma_f16 v105, v48, v93, v105 op_sel_hi:[1,0,1]
	v_pk_fma_f16 v106, v48, v93, v108 op_sel:[0,1,0]
	v_pk_fma_f16 v101, v48, v94, v101 op_sel_hi:[1,0,1]
	v_pk_fma_f16 v102, v48, v94, v102 op_sel:[0,1,0]
	;; [unrolled: 2-line block ×4, first 2 shown]
	ds_load_b128 v[93:96], v86 offset:784
	s_waitcnt lgkmcnt(3)
	v_pk_fma_f16 v104, v49, v97, v105 op_sel_hi:[1,0,1]
	v_pk_fma_f16 v105, v49, v97, v106 op_sel:[0,1,0]
	v_pk_fma_f16 v101, v49, v98, v101 op_sel_hi:[1,0,1]
	v_pk_fma_f16 v102, v49, v98, v102 op_sel:[0,1,0]
	;; [unrolled: 2-line block ×4, first 2 shown]
	ds_load_2addr_b32 v[48:49], v110 offset0:64 offset1:96
	ds_load_b128 v[97:100], v86 offset:800
	s_waitcnt lgkmcnt(3)
	v_pk_fma_f16 v104, v51, v44, v104 op_sel_hi:[1,0,1]
	v_pk_fma_f16 v105, v51, v44, v105 op_sel:[0,1,0]
	v_pk_fma_f16 v101, v51, v45, v101 op_sel_hi:[1,0,1]
	v_pk_fma_f16 v102, v51, v45, v102 op_sel:[0,1,0]
	;; [unrolled: 2-line block ×4, first 2 shown]
	ds_load_b128 v[44:47], v86 offset:816
	s_waitcnt lgkmcnt(3)
	v_pk_fma_f16 v108, v52, v93, v104 op_sel_hi:[1,0,1]
	v_pk_fma_f16 v93, v52, v93, v105 op_sel:[0,1,0]
	v_pk_fma_f16 v109, v52, v94, v101 op_sel_hi:[1,0,1]
	v_pk_fma_f16 v94, v52, v94, v102 op_sel:[0,1,0]
	;; [unrolled: 2-line block ×3, first 2 shown]
	ds_load_2addr_b32 v[105:106], v110 offset0:128 offset1:160
	ds_load_b128 v[101:104], v86 offset:832
	v_pk_fma_f16 v107, v52, v96, v107 op_sel_hi:[1,0,1]
	v_pk_fma_f16 v51, v52, v96, v51 op_sel:[0,1,0]
	s_waitcnt lgkmcnt(3)
	v_pk_fma_f16 v52, v48, v97, v108 op_sel_hi:[1,0,1]
	v_pk_fma_f16 v97, v48, v97, v93 op_sel:[0,1,0]
	v_pk_fma_f16 v108, v48, v98, v109 op_sel_hi:[1,0,1]
	v_pk_fma_f16 v98, v48, v98, v94 op_sel:[0,1,0]
	;; [unrolled: 2-line block ×3, first 2 shown]
	v_pk_fma_f16 v107, v48, v100, v107 op_sel_hi:[1,0,1]
	ds_load_b128 v[93:96], v86 offset:848
	v_pk_fma_f16 v48, v48, v100, v51 op_sel:[0,1,0]
	s_waitcnt lgkmcnt(3)
	v_pk_fma_f16 v51, v49, v44, v52 op_sel_hi:[1,0,1]
	v_pk_fma_f16 v52, v49, v44, v97 op_sel:[0,1,0]
	v_pk_fma_f16 v97, v49, v45, v108 op_sel_hi:[1,0,1]
	v_pk_fma_f16 v98, v49, v45, v98 op_sel:[0,1,0]
	;; [unrolled: 2-line block ×4, first 2 shown]
	ds_load_2addr_b32 v[48:49], v110 offset0:192 offset1:224
	ds_load_b128 v[44:47], v86 offset:864
	s_waitcnt lgkmcnt(3)
	v_pk_fma_f16 v51, v105, v101, v51 op_sel_hi:[1,0,1]
	v_pk_fma_f16 v52, v105, v101, v52 op_sel:[0,1,0]
	v_pk_fma_f16 v101, v105, v102, v97 op_sel_hi:[1,0,1]
	v_pk_fma_f16 v102, v105, v102, v98 op_sel:[0,1,0]
	;; [unrolled: 2-line block ×4, first 2 shown]
	ds_load_b128 v[97:100], v86 offset:880
	v_add_nc_u32_e32 v110, 0x1c00, v42
	s_waitcnt lgkmcnt(3)
	v_pk_fma_f16 v105, v106, v93, v51 op_sel_hi:[1,0,1]
	v_pk_fma_f16 v108, v106, v93, v52 op_sel:[0,1,0]
	v_pk_fma_f16 v101, v106, v94, v101 op_sel_hi:[1,0,1]
	v_pk_fma_f16 v102, v106, v94, v102 op_sel:[0,1,0]
	;; [unrolled: 2-line block ×4, first 2 shown]
	ds_load_2addr_b32 v[51:52], v110 offset1:32
	ds_load_b128 v[93:96], v86 offset:896
	s_waitcnt lgkmcnt(3)
	v_pk_fma_f16 v105, v48, v44, v105 op_sel_hi:[1,0,1]
	v_pk_fma_f16 v106, v48, v44, v108 op_sel:[0,1,0]
	v_pk_fma_f16 v101, v48, v45, v101 op_sel_hi:[1,0,1]
	v_pk_fma_f16 v102, v48, v45, v102 op_sel:[0,1,0]
	;; [unrolled: 2-line block ×4, first 2 shown]
	ds_load_b128 v[44:47], v86 offset:912
	s_waitcnt lgkmcnt(3)
	v_pk_fma_f16 v104, v49, v97, v105 op_sel_hi:[1,0,1]
	v_pk_fma_f16 v105, v49, v97, v106 op_sel:[0,1,0]
	v_pk_fma_f16 v101, v49, v98, v101 op_sel_hi:[1,0,1]
	v_pk_fma_f16 v102, v49, v98, v102 op_sel:[0,1,0]
	;; [unrolled: 2-line block ×4, first 2 shown]
	ds_load_2addr_b32 v[48:49], v110 offset0:64 offset1:96
	ds_load_b128 v[97:100], v86 offset:928
	s_waitcnt lgkmcnt(3)
	v_pk_fma_f16 v104, v51, v93, v104 op_sel_hi:[1,0,1]
	v_pk_fma_f16 v105, v51, v93, v105 op_sel:[0,1,0]
	v_pk_fma_f16 v101, v51, v94, v101 op_sel_hi:[1,0,1]
	v_pk_fma_f16 v102, v51, v94, v102 op_sel:[0,1,0]
	;; [unrolled: 2-line block ×4, first 2 shown]
	ds_load_b128 v[93:96], v86 offset:944
	s_waitcnt lgkmcnt(3)
	v_pk_fma_f16 v108, v52, v44, v104 op_sel_hi:[1,0,1]
	v_pk_fma_f16 v44, v52, v44, v105 op_sel:[0,1,0]
	v_pk_fma_f16 v109, v52, v45, v101 op_sel_hi:[1,0,1]
	v_pk_fma_f16 v45, v52, v45, v102 op_sel:[0,1,0]
	;; [unrolled: 2-line block ×3, first 2 shown]
	ds_load_2addr_b32 v[105:106], v110 offset0:128 offset1:160
	ds_load_b128 v[101:104], v86 offset:960
	v_pk_fma_f16 v107, v52, v47, v107 op_sel_hi:[1,0,1]
	v_pk_fma_f16 v51, v52, v47, v51 op_sel:[0,1,0]
	s_waitcnt lgkmcnt(3)
	v_pk_fma_f16 v52, v48, v97, v108 op_sel_hi:[1,0,1]
	v_pk_fma_f16 v97, v48, v97, v44 op_sel:[0,1,0]
	v_pk_fma_f16 v108, v48, v98, v109 op_sel_hi:[1,0,1]
	v_pk_fma_f16 v98, v48, v98, v45 op_sel:[0,1,0]
	;; [unrolled: 2-line block ×3, first 2 shown]
	v_pk_fma_f16 v107, v48, v100, v107 op_sel_hi:[1,0,1]
	ds_load_b128 v[44:47], v86 offset:976
	v_pk_fma_f16 v48, v48, v100, v51 op_sel:[0,1,0]
	s_waitcnt lgkmcnt(3)
	v_pk_fma_f16 v51, v49, v93, v52 op_sel_hi:[1,0,1]
	v_pk_fma_f16 v52, v49, v93, v97 op_sel:[0,1,0]
	v_pk_fma_f16 v97, v49, v94, v108 op_sel_hi:[1,0,1]
	v_pk_fma_f16 v98, v49, v94, v98 op_sel:[0,1,0]
	;; [unrolled: 2-line block ×4, first 2 shown]
	ds_load_2addr_b32 v[107:108], v110 offset0:192 offset1:224
	ds_load_b128 v[93:96], v86 offset:992
	s_waitcnt lgkmcnt(3)
	v_pk_fma_f16 v49, v105, v101, v51 op_sel_hi:[1,0,1]
	v_pk_fma_f16 v51, v105, v101, v52 op_sel:[0,1,0]
	v_pk_fma_f16 v52, v105, v102, v97 op_sel_hi:[1,0,1]
	v_pk_fma_f16 v101, v105, v102, v98 op_sel:[0,1,0]
	;; [unrolled: 2-line block ×3, first 2 shown]
	ds_load_b128 v[97:100], v86 offset:1008
	s_waitcnt lgkmcnt(0)
	s_barrier
	buffer_gl0_inv
	s_load_b32 s7, s[2:3], 0x4
	v_pk_fma_f16 v109, v105, v104, v109 op_sel_hi:[1,0,1]
	v_pk_fma_f16 v48, v105, v104, v48 op_sel:[0,1,0]
	v_pk_fma_f16 v49, v106, v44, v49 op_sel_hi:[1,0,1]
	v_pk_fma_f16 v44, v106, v44, v51 op_sel:[0,1,0]
	v_pk_fma_f16 v51, v106, v45, v52 op_sel_hi:[1,0,1]
	v_pk_fma_f16 v45, v106, v45, v101 op_sel:[0,1,0]
	v_pk_fma_f16 v52, v106, v46, v102 op_sel_hi:[1,0,1]
	v_pk_fma_f16 v46, v106, v46, v103 op_sel:[0,1,0]
	v_pk_fma_f16 v101, v106, v47, v109 op_sel_hi:[1,0,1]
	v_pk_fma_f16 v47, v106, v47, v48 op_sel:[0,1,0]
	v_pk_fma_f16 v48, v107, v93, v49 op_sel_hi:[1,0,1]
	v_pk_fma_f16 v44, v107, v93, v44 op_sel:[0,1,0]
	v_pk_fma_f16 v49, v107, v94, v51 op_sel_hi:[1,0,1]
	v_pk_fma_f16 v45, v107, v94, v45 op_sel:[0,1,0]
	v_pk_fma_f16 v93, v107, v95, v52 op_sel_hi:[1,0,1]
	v_pk_fma_f16 v46, v107, v95, v46 op_sel:[0,1,0]
	v_pk_fma_f16 v94, v107, v96, v101 op_sel_hi:[1,0,1]
	v_pk_fma_f16 v95, v107, v96, v47 op_sel:[0,1,0]
	v_pk_fma_f16 v52, v108, v97, v48 op_sel_hi:[1,0,1]
	s_waitcnt lgkmcnt(0)
	s_lshl_b32 s7, s7, 6
	v_pk_fma_f16 v51, v108, v97, v44 op_sel:[0,1,0]
	v_pk_fma_f16 v49, v108, v98, v49 op_sel_hi:[1,0,1]
	v_pk_fma_f16 v48, v108, v98, v45 op_sel:[0,1,0]
	v_pk_fma_f16 v47, v108, v99, v93 op_sel_hi:[1,0,1]
	;; [unrolled: 2-line block ×3, first 2 shown]
	v_pk_fma_f16 v44, v108, v100, v95 op_sel:[0,1,0]
	s_add_i32 s12, s7, s12
	s_delay_alu instid0(SALU_CYCLE_1)
	s_cmp_lt_i32 s12, s20
	s_cbranch_scc0 .LBB56_44
; %bb.42:                               ;   in Loop: Header=BB56_8 Depth=1
	v_dual_mov_b32 v102, v0 :: v_dual_mov_b32 v103, v1
	v_dual_mov_b32 v101, v2 :: v_dual_mov_b32 v100, v3
	;; [unrolled: 1-line block ×8, first 2 shown]
	s_branch .LBB56_8
.LBB56_43:
	s_mov_b32 s5, s4
	s_mov_b32 s6, s4
	;; [unrolled: 1-line block ×7, first 2 shown]
	v_dual_mov_b32 v0, s4 :: v_dual_mov_b32 v1, s5
	v_dual_mov_b32 v2, s6 :: v_dual_mov_b32 v3, s7
	;; [unrolled: 1-line block ×11, first 2 shown]
.LBB56_44:
	v_lshlrev_b32_e32 v54, 1, v39
	s_cmp_gt_i32 s46, s12
	s_cbranch_scc1 .LBB56_46
; %bb.45:
	v_mbcnt_lo_u32_b32 v8, -1, 0
	v_mov_b32_e32 v20, 32
	s_delay_alu instid0(VALU_DEP_2)
	v_xor_b32_e32 v23, 16, v8
	v_xor_b32_e32 v22, 8, v8
	;; [unrolled: 1-line block ×5, first 2 shown]
	s_cbranch_execz .LBB56_47
	s_branch .LBB56_128
.LBB56_46:
                                        ; implicit-def: $vgpr8
                                        ; implicit-def: $vgpr20
                                        ; implicit-def: $vgpr23
                                        ; implicit-def: $vgpr22
                                        ; implicit-def: $vgpr21
                                        ; implicit-def: $vgpr19
                                        ; implicit-def: $vgpr18
.LBB56_47:
	v_lshl_add_u32 v72, v71, 2, v72
	s_mov_b32 s40, 0
	s_mul_hi_i32 s3, s12, s23
	s_mul_i32 s2, s12, s23
	s_mov_b32 s41, s40
	v_mul_lo_u32 v15, s23, v72
	s_mov_b32 s42, s40
	v_and_b32_e32 v10, 28, v42
	s_lshl_b64 s[2:3], s[2:3], 2
	s_sub_i32 s8, s46, s12
	s_mov_b64 s[6:7], src_private_base
	s_add_u32 s2, s18, s2
	s_addc_u32 s6, s19, s3
	v_ashrrev_i32_e32 v16, 31, v15
	s_lshl_b32 s9, s23, 4
	v_dual_mov_b32 v12, s40 :: v_dual_mov_b32 v13, s41
	v_dual_mov_b32 v76, 0 :: v_dual_lshlrev_b32 v71, 2, v10
	s_delay_alu instid0(VALU_DEP_3)
	v_lshlrev_b64 v[8:9], 2, v[15:16]
	v_cmp_gt_i32_e64 s5, s8, v72
	v_dual_mov_b32 v14, s42 :: v_dual_add_nc_u32 v73, 16, v72
	v_add_nc_u32_e32 v15, s9, v15
	s_clause 0x1
	scratch_store_b32 off, v76, off
	scratch_store_b96 off, v[12:14], off offset:4
	v_add_co_u32 v8, vcc_lo, s2, v8
	v_add_co_ci_u32_e32 v9, vcc_lo, s6, v9, vcc_lo
	v_ashrrev_i32_e32 v16, 31, v15
	s_delay_alu instid0(VALU_DEP_3) | instskip(NEXT) | instid1(VALU_DEP_3)
	v_add_co_u32 v8, vcc_lo, v8, v71
	v_add_co_ci_u32_e32 v9, vcc_lo, 0, v9, vcc_lo
	s_delay_alu instid0(VALU_DEP_3) | instskip(NEXT) | instid1(VALU_DEP_3)
	v_lshlrev_b64 v[16:17], 2, v[15:16]
	v_cndmask_b32_e64 v8, 0, v8, s5
	v_cmp_gt_i32_e64 s4, s8, v73
	s_delay_alu instid0(VALU_DEP_4)
	v_cndmask_b32_e64 v9, s7, v9, s5
	v_mad_u32_u24 v18, 0x90, v72, v71
	v_dual_mov_b32 v90, 0 :: v_dual_add_nc_u32 v15, s9, v15
	v_add_co_u32 v16, vcc_lo, s2, v16
	flat_load_b128 v[8:11], v[8:9]
	v_add_co_ci_u32_e32 v17, vcc_lo, s6, v17, vcc_lo
	v_add_co_u32 v16, vcc_lo, v16, v71
	s_clause 0x1
	scratch_store_b32 off, v76, off
	scratch_store_b96 off, v[12:14], off offset:4
	v_add_co_ci_u32_e32 v17, vcc_lo, 0, v17, vcc_lo
	v_cndmask_b32_e64 v16, 0, v16, s4
	v_dual_mov_b32 v77, 0 :: v_dual_add_nc_u32 v74, 32, v72
	s_delay_alu instid0(VALU_DEP_3) | instskip(SKIP_1) | instid1(VALU_DEP_3)
	v_cndmask_b32_e64 v17, s7, v17, s4
	v_dual_mov_b32 v86, 0 :: v_dual_add_nc_u32 v75, 48, v72
	v_cmp_gt_i32_e64 s3, s8, v74
	v_dual_mov_b32 v84, 0 :: v_dual_mov_b32 v91, 0
	v_dual_mov_b32 v82, 0 :: v_dual_mov_b32 v89, 0
	;; [unrolled: 1-line block ×4, first 2 shown]
	v_mov_b32_e32 v83, 0
	v_mov_b32_e32 v81, 0
	;; [unrolled: 1-line block ×3, first 2 shown]
	s_cmp_lg_u64 s[44:45], 0
	v_mov_b32_e32 v88, 0
	s_waitcnt vmcnt(0) lgkmcnt(0)
	ds_store_b128 v18, v[8:11]
	flat_load_b128 v[8:11], v[16:17]
	v_ashrrev_i32_e32 v16, 31, v15
	s_clause 0x1
	scratch_store_b32 off, v76, off
	scratch_store_b96 off, v[12:14], off offset:4
	v_lshlrev_b64 v[16:17], 2, v[15:16]
	v_add_nc_u32_e32 v15, s9, v15
	s_delay_alu instid0(VALU_DEP_2) | instskip(NEXT) | instid1(VALU_DEP_3)
	v_add_co_u32 v16, vcc_lo, s2, v16
	v_add_co_ci_u32_e32 v17, vcc_lo, s6, v17, vcc_lo
	s_delay_alu instid0(VALU_DEP_2) | instskip(NEXT) | instid1(VALU_DEP_2)
	v_add_co_u32 v16, vcc_lo, v16, v71
	v_add_co_ci_u32_e32 v17, vcc_lo, 0, v17, vcc_lo
	s_delay_alu instid0(VALU_DEP_2) | instskip(NEXT) | instid1(VALU_DEP_2)
	v_cndmask_b32_e64 v16, 0, v16, s3
	v_cndmask_b32_e64 v17, s7, v17, s3
	s_waitcnt vmcnt(0) lgkmcnt(0)
	ds_store_b128 v18, v[8:11] offset:2304
	flat_load_b128 v[8:11], v[16:17]
	v_ashrrev_i32_e32 v16, 31, v15
	s_clause 0x1
	scratch_store_b32 off, v76, off
	scratch_store_b96 off, v[12:14], off offset:4
	v_lshlrev_b64 v[15:16], 2, v[15:16]
	s_delay_alu instid0(VALU_DEP_1) | instskip(NEXT) | instid1(VALU_DEP_2)
	v_add_co_u32 v15, vcc_lo, s2, v15
	v_add_co_ci_u32_e32 v16, vcc_lo, s6, v16, vcc_lo
	v_cmp_gt_i32_e64 s2, s8, v75
	s_delay_alu instid0(VALU_DEP_3) | instskip(NEXT) | instid1(VALU_DEP_3)
	v_add_co_u32 v15, vcc_lo, v15, v71
	v_add_co_ci_u32_e32 v16, vcc_lo, 0, v16, vcc_lo
	v_cmp_gt_i32_e64 s6, s8, v39
	s_delay_alu instid0(VALU_DEP_3) | instskip(NEXT) | instid1(VALU_DEP_3)
	v_cndmask_b32_e64 v15, 0, v15, s2
	v_cndmask_b32_e64 v16, s7, v16, s2
	s_cselect_b32 s7, -1, 0
	s_waitcnt vmcnt(0) lgkmcnt(0)
	ds_store_b128 v18, v[8:11] offset:4608
	flat_load_b128 v[8:11], v[15:16]
	s_waitcnt vmcnt(0) lgkmcnt(0)
	ds_store_b128 v18, v[8:11] offset:6912
	s_waitcnt lgkmcnt(0)
	s_waitcnt_vscnt null, 0x0
	s_barrier
	buffer_gl0_inv
	ds_load_b128 v[8:11], v62
	ds_load_b128 v[12:15], v43 offset:13312
	ds_load_b128 v[16:19], v43 offset:13440
	;; [unrolled: 1-line block ×9, first 2 shown]
	s_waitcnt lgkmcnt(8)
	;;#ASMSTART
	v_dot2_f32_f16 v90, v8, v12, v90
	;;#ASMEND
	;;#ASMSTART
	v_dot2_f32_f16 v90, v9, v13, v90
	;;#ASMEND
	;;#ASMSTART
	v_dot2_f32_f16 v90, v10, v14, v90
	;;#ASMEND
	;;#ASMSTART
	v_dot2_f32_f16 v90, v11, v15, v90
	;;#ASMEND
	s_waitcnt lgkmcnt(7)
	;;#ASMSTART
	v_dot2_f32_f16 v88, v8, v16, v88
	;;#ASMEND
	;;#ASMSTART
	v_dot2_f32_f16 v88, v9, v17, v88
	;;#ASMEND
	;;#ASMSTART
	v_dot2_f32_f16 v88, v10, v18, v88
	;;#ASMEND
	;;#ASMSTART
	v_dot2_f32_f16 v88, v11, v19, v88
	;;#ASMEND
	;; [unrolled: 13-line block ×8, first 2 shown]
	;;#ASMSTART
	v_dot2_f32_f16 v91, v96, v12, v91
	;;#ASMEND
	;;#ASMSTART
	v_dot2_f32_f16 v91, v97, v13, v91
	;;#ASMEND
	;; [unrolled: 3-line block ×32, first 2 shown]
	ds_load_b128 v[8:11], v62 offset:16
	ds_load_b128 v[12:15], v43 offset:13328
	;; [unrolled: 1-line block ×10, first 2 shown]
	s_waitcnt lgkmcnt(8)
	;;#ASMSTART
	v_dot2_f32_f16 v90, v8, v12, v90
	;;#ASMEND
	;;#ASMSTART
	v_dot2_f32_f16 v90, v9, v13, v90
	;;#ASMEND
	;;#ASMSTART
	v_dot2_f32_f16 v90, v10, v14, v90
	;;#ASMEND
	;;#ASMSTART
	v_dot2_f32_f16 v90, v11, v15, v90
	;;#ASMEND
	s_waitcnt lgkmcnt(7)
	;;#ASMSTART
	v_dot2_f32_f16 v88, v8, v16, v88
	;;#ASMEND
	;;#ASMSTART
	v_dot2_f32_f16 v88, v9, v17, v88
	;;#ASMEND
	;;#ASMSTART
	v_dot2_f32_f16 v88, v10, v18, v88
	;;#ASMEND
	;;#ASMSTART
	v_dot2_f32_f16 v88, v11, v19, v88
	;;#ASMEND
	;; [unrolled: 13-line block ×8, first 2 shown]
	;;#ASMSTART
	v_dot2_f32_f16 v91, v96, v12, v91
	;;#ASMEND
	;;#ASMSTART
	v_dot2_f32_f16 v91, v97, v13, v91
	;;#ASMEND
	;; [unrolled: 3-line block ×32, first 2 shown]
	ds_load_b128 v[8:11], v62 offset:32
	ds_load_b128 v[12:15], v43 offset:13344
	;; [unrolled: 1-line block ×10, first 2 shown]
	s_waitcnt lgkmcnt(8)
	;;#ASMSTART
	v_dot2_f32_f16 v90, v8, v12, v90
	;;#ASMEND
	;;#ASMSTART
	v_dot2_f32_f16 v90, v9, v13, v90
	;;#ASMEND
	;;#ASMSTART
	v_dot2_f32_f16 v90, v10, v14, v90
	;;#ASMEND
	;;#ASMSTART
	v_dot2_f32_f16 v90, v11, v15, v90
	;;#ASMEND
	s_waitcnt lgkmcnt(7)
	;;#ASMSTART
	v_dot2_f32_f16 v88, v8, v16, v88
	;;#ASMEND
	;;#ASMSTART
	v_dot2_f32_f16 v88, v9, v17, v88
	;;#ASMEND
	;;#ASMSTART
	v_dot2_f32_f16 v88, v10, v18, v88
	;;#ASMEND
	;;#ASMSTART
	v_dot2_f32_f16 v88, v11, v19, v88
	;;#ASMEND
	;; [unrolled: 13-line block ×8, first 2 shown]
	;;#ASMSTART
	v_dot2_f32_f16 v91, v96, v12, v91
	;;#ASMEND
	;;#ASMSTART
	v_dot2_f32_f16 v91, v97, v13, v91
	;;#ASMEND
	;; [unrolled: 3-line block ×32, first 2 shown]
	ds_load_b128 v[8:11], v62 offset:48
	ds_load_b128 v[12:15], v43 offset:13360
	;; [unrolled: 1-line block ×10, first 2 shown]
	s_waitcnt lgkmcnt(8)
	;;#ASMSTART
	v_dot2_f32_f16 v90, v8, v12, v90
	;;#ASMEND
	;;#ASMSTART
	v_dot2_f32_f16 v90, v9, v13, v90
	;;#ASMEND
	;;#ASMSTART
	v_dot2_f32_f16 v90, v10, v14, v90
	;;#ASMEND
	;;#ASMSTART
	v_dot2_f32_f16 v90, v11, v15, v90
	;;#ASMEND
	s_waitcnt lgkmcnt(7)
	;;#ASMSTART
	v_dot2_f32_f16 v88, v8, v16, v88
	;;#ASMEND
	;;#ASMSTART
	v_dot2_f32_f16 v88, v9, v17, v88
	;;#ASMEND
	;;#ASMSTART
	v_dot2_f32_f16 v88, v10, v18, v88
	;;#ASMEND
	;;#ASMSTART
	v_dot2_f32_f16 v88, v11, v19, v88
	;;#ASMEND
	;; [unrolled: 13-line block ×8, first 2 shown]
	;;#ASMSTART
	v_dot2_f32_f16 v91, v96, v12, v91
	;;#ASMEND
	;;#ASMSTART
	v_dot2_f32_f16 v91, v97, v13, v91
	;;#ASMEND
	;; [unrolled: 3-line block ×32, first 2 shown]
	ds_load_b128 v[8:11], v62 offset:64
	ds_load_b128 v[12:15], v43 offset:13376
	;; [unrolled: 1-line block ×10, first 2 shown]
	s_waitcnt lgkmcnt(8)
	;;#ASMSTART
	v_dot2_f32_f16 v90, v8, v12, v90
	;;#ASMEND
	;;#ASMSTART
	v_dot2_f32_f16 v90, v9, v13, v90
	;;#ASMEND
	;;#ASMSTART
	v_dot2_f32_f16 v90, v10, v14, v90
	;;#ASMEND
	;;#ASMSTART
	v_dot2_f32_f16 v90, v11, v15, v90
	;;#ASMEND
	s_waitcnt lgkmcnt(7)
	;;#ASMSTART
	v_dot2_f32_f16 v88, v8, v16, v88
	;;#ASMEND
	;;#ASMSTART
	v_dot2_f32_f16 v88, v9, v17, v88
	;;#ASMEND
	;;#ASMSTART
	v_dot2_f32_f16 v88, v10, v18, v88
	;;#ASMEND
	;;#ASMSTART
	v_dot2_f32_f16 v88, v11, v19, v88
	;;#ASMEND
	;; [unrolled: 13-line block ×8, first 2 shown]
	;;#ASMSTART
	v_dot2_f32_f16 v91, v96, v12, v91
	;;#ASMEND
	;;#ASMSTART
	v_dot2_f32_f16 v91, v97, v13, v91
	;;#ASMEND
	;; [unrolled: 3-line block ×32, first 2 shown]
	ds_load_b128 v[8:11], v62 offset:80
	ds_load_b128 v[12:15], v43 offset:13392
	;; [unrolled: 1-line block ×10, first 2 shown]
	s_waitcnt lgkmcnt(8)
	;;#ASMSTART
	v_dot2_f32_f16 v90, v8, v12, v90
	;;#ASMEND
	;;#ASMSTART
	v_dot2_f32_f16 v90, v9, v13, v90
	;;#ASMEND
	;;#ASMSTART
	v_dot2_f32_f16 v90, v10, v14, v90
	;;#ASMEND
	;;#ASMSTART
	v_dot2_f32_f16 v90, v11, v15, v90
	;;#ASMEND
	s_waitcnt lgkmcnt(7)
	;;#ASMSTART
	v_dot2_f32_f16 v88, v8, v16, v88
	;;#ASMEND
	;;#ASMSTART
	v_dot2_f32_f16 v88, v9, v17, v88
	;;#ASMEND
	;;#ASMSTART
	v_dot2_f32_f16 v88, v10, v18, v88
	;;#ASMEND
	;;#ASMSTART
	v_dot2_f32_f16 v88, v11, v19, v88
	;;#ASMEND
	;; [unrolled: 13-line block ×8, first 2 shown]
	;;#ASMSTART
	v_dot2_f32_f16 v91, v96, v12, v91
	;;#ASMEND
	;;#ASMSTART
	v_dot2_f32_f16 v91, v97, v13, v91
	;;#ASMEND
	;; [unrolled: 3-line block ×32, first 2 shown]
	ds_load_b128 v[8:11], v62 offset:96
	ds_load_b128 v[12:15], v43 offset:13408
	;; [unrolled: 1-line block ×10, first 2 shown]
	s_waitcnt lgkmcnt(8)
	;;#ASMSTART
	v_dot2_f32_f16 v90, v8, v12, v90
	;;#ASMEND
	;;#ASMSTART
	v_dot2_f32_f16 v90, v9, v13, v90
	;;#ASMEND
	;;#ASMSTART
	v_dot2_f32_f16 v90, v10, v14, v90
	;;#ASMEND
	;;#ASMSTART
	v_dot2_f32_f16 v90, v11, v15, v90
	;;#ASMEND
	s_waitcnt lgkmcnt(7)
	;;#ASMSTART
	v_dot2_f32_f16 v88, v8, v16, v88
	;;#ASMEND
	;;#ASMSTART
	v_dot2_f32_f16 v88, v9, v17, v88
	;;#ASMEND
	;;#ASMSTART
	v_dot2_f32_f16 v88, v10, v18, v88
	;;#ASMEND
	;;#ASMSTART
	v_dot2_f32_f16 v88, v11, v19, v88
	;;#ASMEND
	;; [unrolled: 13-line block ×8, first 2 shown]
	;;#ASMSTART
	v_dot2_f32_f16 v91, v96, v12, v91
	;;#ASMEND
	;;#ASMSTART
	v_dot2_f32_f16 v91, v97, v13, v91
	;;#ASMEND
	;; [unrolled: 3-line block ×32, first 2 shown]
	ds_load_b128 v[18:21], v62 offset:112
	ds_load_b128 v[93:96], v43 offset:13424
	;; [unrolled: 1-line block ×10, first 2 shown]
	s_waitcnt lgkmcnt(8)
	;;#ASMSTART
	v_dot2_f32_f16 v90, v18, v93, v90
	;;#ASMEND
	;;#ASMSTART
	v_dot2_f32_f16 v90, v19, v94, v90
	;;#ASMEND
	;;#ASMSTART
	v_dot2_f32_f16 v90, v20, v95, v90
	;;#ASMEND
	;;#ASMSTART
	v_dot2_f32_f16 v90, v21, v96, v90
	;;#ASMEND
	s_waitcnt lgkmcnt(7)
	;;#ASMSTART
	v_dot2_f32_f16 v88, v18, v97, v88
	;;#ASMEND
	;;#ASMSTART
	v_dot2_f32_f16 v88, v19, v98, v88
	;;#ASMEND
	;;#ASMSTART
	v_dot2_f32_f16 v88, v20, v99, v88
	;;#ASMEND
	;;#ASMSTART
	v_dot2_f32_f16 v88, v21, v100, v88
	;;#ASMEND
	;; [unrolled: 13-line block ×8, first 2 shown]
	;;#ASMSTART
	v_dot2_f32_f16 v91, v109, v93, v91
	;;#ASMEND
	;;#ASMSTART
	v_dot2_f32_f16 v91, v110, v94, v91
	;;#ASMEND
	;; [unrolled: 3-line block ×21, first 2 shown]
	v_mad_u64_u32 v[16:17], null, v60, s22, s[12:13]
	;;#ASMSTART
	v_dot2_f32_f16 v81, v110, v118, v81
	;;#ASMEND
	;;#ASMSTART
	v_dot2_f32_f16 v81, v111, v119, v81
	;;#ASMEND
	v_dual_mov_b32 v15, v7 :: v_dual_mov_b32 v8, v0
	;;#ASMSTART
	v_dot2_f32_f16 v81, v112, v120, v81
	;;#ASMEND
	;;#ASMSTART
	v_dot2_f32_f16 v79, v109, v121, v79
	;;#ASMEND
	v_dual_mov_b32 v14, v6 :: v_dual_mov_b32 v13, v5
	v_dual_mov_b32 v12, v4 :: v_dual_mov_b32 v11, v3
	;; [unrolled: 1-line block ×3, first 2 shown]
	v_cndmask_b32_e64 v92, 0, 1, s7
	;;#ASMSTART
	v_dot2_f32_f16 v79, v110, v122, v79
	;;#ASMEND
	;;#ASMSTART
	v_dot2_f32_f16 v79, v111, v123, v79
	;;#ASMEND
	;; [unrolled: 3-line block ×7, first 2 shown]
	s_and_saveexec_b32 s9, s6
	s_cbranch_execz .LBB56_52
; %bb.48:
	s_and_not1_b32 vcc_lo, exec_lo, s7
	s_cbranch_vccnz .LBB56_50
; %bb.49:
	v_add_nc_u32_e32 v8, v16, v39
	s_delay_alu instid0(VALU_DEP_1) | instskip(NEXT) | instid1(VALU_DEP_1)
	v_ashrrev_i32_e32 v9, 31, v8
	v_lshlrev_b64 v[8:9], 1, v[8:9]
	s_delay_alu instid0(VALU_DEP_1) | instskip(NEXT) | instid1(VALU_DEP_2)
	v_add_co_u32 v8, vcc_lo, s44, v8
	v_add_co_ci_u32_e32 v9, vcc_lo, s45, v9, vcc_lo
	flat_load_u16 v8, v[8:9]
	s_waitcnt vmcnt(0) lgkmcnt(0)
	v_cvt_f32_f16_e32 v8, v8
	s_delay_alu instid0(VALU_DEP_1)
	v_mul_f32_e32 v8, v50, v8
	s_branch .LBB56_51
.LBB56_50:
	v_mov_b32_e32 v8, 0
.LBB56_51:
	s_delay_alu instid0(VALU_DEP_1) | instskip(NEXT) | instid1(VALU_DEP_1)
	v_add_f32_e32 v90, v90, v8
	v_dual_max_f32 v9, v0, v0 :: v_dual_add_f32 v8, 0x40051340, v90
	s_delay_alu instid0(VALU_DEP_1)
	v_max_f32_e32 v17, v9, v8
	v_dual_mov_b32 v15, v7 :: v_dual_mov_b32 v14, v6
	v_dual_mov_b32 v9, v1 :: v_dual_mov_b32 v8, v0
	v_dual_mov_b32 v13, v5 :: v_dual_mov_b32 v12, v4
	v_dual_mov_b32 v11, v3 :: v_dual_mov_b32 v10, v2
	v_mov_b32_e32 v8, v17
.LBB56_52:
	s_or_b32 exec_lo, exec_lo, s9
	v_add_nc_u32_e32 v60, 32, v39
	s_delay_alu instid0(VALU_DEP_1) | instskip(NEXT) | instid1(VALU_DEP_1)
	v_cmp_gt_i32_e64 s7, s8, v60
	s_and_saveexec_b32 s9, s7
	s_cbranch_execz .LBB56_57
; %bb.53:
	v_cmp_ne_u32_e32 vcc_lo, 1, v92
	s_cbranch_vccnz .LBB56_55
; %bb.54:
	v_ashrrev_i32_e32 v17, 31, v16
	v_add_co_u32 v16, vcc_lo, v16, v39
	s_delay_alu instid0(VALU_DEP_2) | instskip(NEXT) | instid1(VALU_DEP_1)
	v_add_co_ci_u32_e32 v17, vcc_lo, 0, v17, vcc_lo
	v_lshlrev_b64 v[16:17], 1, v[16:17]
	s_delay_alu instid0(VALU_DEP_1) | instskip(NEXT) | instid1(VALU_DEP_2)
	v_add_co_u32 v16, vcc_lo, s44, v16
	v_add_co_ci_u32_e32 v17, vcc_lo, s45, v17, vcc_lo
	flat_load_u16 v16, v[16:17] offset:64
	s_waitcnt vmcnt(0) lgkmcnt(0)
	v_cvt_f32_f16_e32 v16, v16
	s_delay_alu instid0(VALU_DEP_1)
	v_mul_f32_e32 v16, v50, v16
	s_branch .LBB56_56
.LBB56_55:
	v_mov_b32_e32 v16, 0
.LBB56_56:
	s_delay_alu instid0(VALU_DEP_1) | instskip(SKIP_1) | instid1(VALU_DEP_2)
	v_add_f32_e32 v91, v91, v16
	v_max_f32_e32 v8, v8, v8
	v_add_f32_e32 v16, 0x40051340, v91
	s_delay_alu instid0(VALU_DEP_1)
	v_max_f32_e32 v8, v8, v16
.LBB56_57:
	s_or_b32 exec_lo, exec_lo, s9
	v_xor_b32_e32 v23, 16, v41
	v_xor_b32_e32 v22, 8, v41
	;; [unrolled: 1-line block ×5, first 2 shown]
	v_cmp_gt_i32_e32 vcc_lo, 32, v23
	v_mul_hi_u32 v20, s36, v61
	v_cndmask_b32_e32 v16, v41, v23, vcc_lo
	v_cmp_gt_i32_e32 vcc_lo, 32, v22
	v_cndmask_b32_e32 v17, v41, v22, vcc_lo
	v_cmp_gt_i32_e32 vcc_lo, 32, v21
	s_delay_alu instid0(VALU_DEP_2)
	v_lshlrev_b32_e32 v93, 2, v17
	v_dual_cndmask_b32 v17, v41, v21 :: v_dual_lshlrev_b32 v62, 2, v16
	v_cmp_gt_i32_e32 vcc_lo, 32, v19
	ds_bpermute_b32 v16, v62, v8
	v_max_f32_e32 v8, v8, v8
	v_dual_cndmask_b32 v17, v41, v19 :: v_dual_lshlrev_b32 v94, 2, v17
	v_cmp_gt_i32_e32 vcc_lo, 32, v18
	s_delay_alu instid0(VALU_DEP_2) | instskip(SKIP_1) | instid1(VALU_DEP_1)
	v_lshlrev_b32_e32 v95, 2, v17
	v_cndmask_b32_e32 v17, v41, v18, vcc_lo
	v_lshlrev_b32_e32 v96, 2, v17
	s_waitcnt lgkmcnt(0)
	v_max_f32_e32 v16, v16, v16
	s_delay_alu instid0(VALU_DEP_1) | instskip(SKIP_3) | instid1(VALU_DEP_1)
	v_max_f32_e32 v8, v8, v16
	ds_bpermute_b32 v16, v93, v8
	s_waitcnt lgkmcnt(0)
	v_max_f32_e32 v16, v16, v16
	v_max_f32_e32 v8, v8, v16
	ds_bpermute_b32 v16, v94, v8
	s_waitcnt lgkmcnt(0)
	v_max_f32_e32 v16, v16, v16
	s_delay_alu instid0(VALU_DEP_1) | instskip(SKIP_3) | instid1(VALU_DEP_1)
	v_max_f32_e32 v8, v8, v16
	ds_bpermute_b32 v16, v95, v8
	s_waitcnt lgkmcnt(0)
	v_max_f32_e32 v16, v16, v16
	v_max_f32_e32 v8, v8, v16
	v_add_nc_u32_e32 v16, v61, v20
	ds_bpermute_b32 v17, v96, v8
	v_lshrrev_b32_e32 v16, s37, v16
	s_delay_alu instid0(VALU_DEP_1) | instskip(NEXT) | instid1(VALU_DEP_1)
	v_mul_lo_u32 v16, v16, s38
	v_sub_nc_u32_e32 v20, v61, v16
	s_waitcnt lgkmcnt(0)
	v_max_f32_e32 v61, v17, v17
	s_delay_alu instid0(VALU_DEP_2) | instskip(SKIP_1) | instid1(VALU_DEP_3)
	v_mad_u64_u32 v[16:17], null, v20, s22, s[12:13]
	v_mov_b32_e32 v20, 32
	v_max_f32_e32 v8, v8, v61
	s_and_saveexec_b32 s9, s6
	s_cbranch_execz .LBB56_62
; %bb.58:
	v_cmp_ne_u32_e32 vcc_lo, 1, v92
	s_cbranch_vccnz .LBB56_60
; %bb.59:
	s_delay_alu instid0(VALU_DEP_4) | instskip(NEXT) | instid1(VALU_DEP_1)
	v_add_nc_u32_e32 v97, v16, v39
	v_ashrrev_i32_e32 v98, 31, v97
	s_delay_alu instid0(VALU_DEP_1) | instskip(NEXT) | instid1(VALU_DEP_1)
	v_lshlrev_b64 v[97:98], 1, v[97:98]
	v_add_co_u32 v97, vcc_lo, s44, v97
	s_delay_alu instid0(VALU_DEP_2) | instskip(SKIP_3) | instid1(VALU_DEP_1)
	v_add_co_ci_u32_e32 v98, vcc_lo, s45, v98, vcc_lo
	flat_load_u16 v17, v[97:98]
	s_waitcnt vmcnt(0) lgkmcnt(0)
	v_cvt_f32_f16_e32 v17, v17
	v_mul_f32_e32 v17, v50, v17
	s_branch .LBB56_61
.LBB56_60:
	v_mov_b32_e32 v17, 0
.LBB56_61:
	s_delay_alu instid0(VALU_DEP_1) | instskip(SKIP_1) | instid1(VALU_DEP_2)
	v_add_f32_e32 v88, v88, v17
	v_max_f32_e32 v9, v9, v9
	v_add_f32_e32 v17, 0x40051340, v88
	s_delay_alu instid0(VALU_DEP_1)
	v_max_f32_e32 v9, v9, v17
.LBB56_62:
	s_or_b32 exec_lo, exec_lo, s9
	s_and_saveexec_b32 s9, s7
	s_cbranch_execz .LBB56_67
; %bb.63:
	v_cmp_ne_u32_e32 vcc_lo, 1, v92
	s_cbranch_vccnz .LBB56_65
; %bb.64:
	v_ashrrev_i32_e32 v17, 31, v16
	v_add_co_u32 v16, vcc_lo, v16, v39
	s_delay_alu instid0(VALU_DEP_2) | instskip(NEXT) | instid1(VALU_DEP_1)
	v_add_co_ci_u32_e32 v17, vcc_lo, 0, v17, vcc_lo
	v_lshlrev_b64 v[16:17], 1, v[16:17]
	s_delay_alu instid0(VALU_DEP_1) | instskip(NEXT) | instid1(VALU_DEP_2)
	v_add_co_u32 v16, vcc_lo, s44, v16
	v_add_co_ci_u32_e32 v17, vcc_lo, s45, v17, vcc_lo
	flat_load_u16 v16, v[16:17] offset:64
	s_waitcnt vmcnt(0) lgkmcnt(0)
	v_cvt_f32_f16_e32 v16, v16
	s_delay_alu instid0(VALU_DEP_1)
	v_mul_f32_e32 v16, v50, v16
	s_branch .LBB56_66
.LBB56_65:
	v_mov_b32_e32 v16, 0
.LBB56_66:
	s_delay_alu instid0(VALU_DEP_1) | instskip(SKIP_1) | instid1(VALU_DEP_2)
	v_add_f32_e32 v89, v89, v16
	v_max_f32_e32 v9, v9, v9
	v_add_f32_e32 v16, 0x40051340, v89
	s_delay_alu instid0(VALU_DEP_1)
	v_max_f32_e32 v9, v9, v16
.LBB56_67:
	s_or_b32 exec_lo, exec_lo, s9
	ds_bpermute_b32 v16, v62, v9
	v_mul_hi_u32 v17, s36, v59
	s_waitcnt lgkmcnt(0)
	v_dual_max_f32 v9, v9, v9 :: v_dual_max_f32 v16, v16, v16
	s_delay_alu instid0(VALU_DEP_1) | instskip(SKIP_3) | instid1(VALU_DEP_1)
	v_max_f32_e32 v9, v9, v16
	ds_bpermute_b32 v16, v93, v9
	s_waitcnt lgkmcnt(0)
	v_max_f32_e32 v16, v16, v16
	v_max_f32_e32 v9, v9, v16
	ds_bpermute_b32 v16, v94, v9
	s_waitcnt lgkmcnt(0)
	v_max_f32_e32 v16, v16, v16
	s_delay_alu instid0(VALU_DEP_1) | instskip(SKIP_3) | instid1(VALU_DEP_1)
	v_max_f32_e32 v9, v9, v16
	ds_bpermute_b32 v16, v95, v9
	s_waitcnt lgkmcnt(0)
	v_max_f32_e32 v16, v16, v16
	v_dual_max_f32 v9, v9, v16 :: v_dual_add_nc_u32 v16, v59, v17
	ds_bpermute_b32 v17, v96, v9
	v_lshrrev_b32_e32 v16, s37, v16
	s_delay_alu instid0(VALU_DEP_1) | instskip(NEXT) | instid1(VALU_DEP_1)
	v_mul_lo_u32 v16, v16, s38
	v_sub_nc_u32_e32 v59, v59, v16
	s_waitcnt lgkmcnt(0)
	v_max_f32_e32 v61, v17, v17
	s_delay_alu instid0(VALU_DEP_2) | instskip(NEXT) | instid1(VALU_DEP_2)
	v_mad_u64_u32 v[16:17], null, v59, s22, s[12:13]
	v_max_f32_e32 v9, v9, v61
	s_and_saveexec_b32 s9, s6
	s_cbranch_execz .LBB56_72
; %bb.68:
	v_cmp_ne_u32_e32 vcc_lo, 1, v92
	s_cbranch_vccnz .LBB56_70
; %bb.69:
	s_delay_alu instid0(VALU_DEP_3) | instskip(NEXT) | instid1(VALU_DEP_1)
	v_add_nc_u32_e32 v97, v16, v39
	v_ashrrev_i32_e32 v98, 31, v97
	s_delay_alu instid0(VALU_DEP_1) | instskip(NEXT) | instid1(VALU_DEP_1)
	v_lshlrev_b64 v[97:98], 1, v[97:98]
	v_add_co_u32 v97, vcc_lo, s44, v97
	s_delay_alu instid0(VALU_DEP_2) | instskip(SKIP_3) | instid1(VALU_DEP_1)
	v_add_co_ci_u32_e32 v98, vcc_lo, s45, v98, vcc_lo
	flat_load_u16 v17, v[97:98]
	s_waitcnt vmcnt(0) lgkmcnt(0)
	v_cvt_f32_f16_e32 v17, v17
	v_mul_f32_e32 v17, v50, v17
	s_branch .LBB56_71
.LBB56_70:
	v_mov_b32_e32 v17, 0
.LBB56_71:
	s_delay_alu instid0(VALU_DEP_1) | instskip(SKIP_1) | instid1(VALU_DEP_2)
	v_add_f32_e32 v86, v86, v17
	v_max_f32_e32 v10, v10, v10
	v_add_f32_e32 v17, 0x40051340, v86
	s_delay_alu instid0(VALU_DEP_1)
	v_max_f32_e32 v10, v10, v17
.LBB56_72:
	s_or_b32 exec_lo, exec_lo, s9
	s_and_saveexec_b32 s9, s7
	s_cbranch_execz .LBB56_77
; %bb.73:
	v_cmp_ne_u32_e32 vcc_lo, 1, v92
	s_cbranch_vccnz .LBB56_75
; %bb.74:
	v_ashrrev_i32_e32 v17, 31, v16
	v_add_co_u32 v16, vcc_lo, v16, v39
	s_delay_alu instid0(VALU_DEP_2) | instskip(NEXT) | instid1(VALU_DEP_1)
	v_add_co_ci_u32_e32 v17, vcc_lo, 0, v17, vcc_lo
	v_lshlrev_b64 v[16:17], 1, v[16:17]
	s_delay_alu instid0(VALU_DEP_1) | instskip(NEXT) | instid1(VALU_DEP_2)
	v_add_co_u32 v16, vcc_lo, s44, v16
	v_add_co_ci_u32_e32 v17, vcc_lo, s45, v17, vcc_lo
	flat_load_u16 v16, v[16:17] offset:64
	s_waitcnt vmcnt(0) lgkmcnt(0)
	v_cvt_f32_f16_e32 v16, v16
	s_delay_alu instid0(VALU_DEP_1)
	v_mul_f32_e32 v16, v50, v16
	s_branch .LBB56_76
.LBB56_75:
	v_mov_b32_e32 v16, 0
.LBB56_76:
	s_delay_alu instid0(VALU_DEP_1) | instskip(NEXT) | instid1(VALU_DEP_1)
	v_dual_add_f32 v87, v87, v16 :: v_dual_max_f32 v10, v10, v10
	v_add_f32_e32 v16, 0x40051340, v87
	s_delay_alu instid0(VALU_DEP_1)
	v_max_f32_e32 v10, v10, v16
.LBB56_77:
	s_or_b32 exec_lo, exec_lo, s9
	ds_bpermute_b32 v16, v62, v10
	v_max_f32_e32 v10, v10, v10
	v_mul_hi_u32 v17, s36, v58
	s_waitcnt lgkmcnt(0)
	v_max_f32_e32 v16, v16, v16
	s_delay_alu instid0(VALU_DEP_1) | instskip(SKIP_3) | instid1(VALU_DEP_1)
	v_max_f32_e32 v10, v10, v16
	ds_bpermute_b32 v16, v93, v10
	s_waitcnt lgkmcnt(0)
	v_max_f32_e32 v16, v16, v16
	v_max_f32_e32 v10, v10, v16
	ds_bpermute_b32 v16, v94, v10
	s_waitcnt lgkmcnt(0)
	v_max_f32_e32 v16, v16, v16
	s_delay_alu instid0(VALU_DEP_1) | instskip(SKIP_3) | instid1(VALU_DEP_1)
	v_max_f32_e32 v10, v10, v16
	ds_bpermute_b32 v16, v95, v10
	s_waitcnt lgkmcnt(0)
	v_max_f32_e32 v16, v16, v16
	v_max_f32_e32 v10, v10, v16
	v_add_nc_u32_e32 v16, v58, v17
	ds_bpermute_b32 v17, v96, v10
	v_lshrrev_b32_e32 v16, s37, v16
	s_delay_alu instid0(VALU_DEP_1) | instskip(NEXT) | instid1(VALU_DEP_1)
	v_mul_lo_u32 v16, v16, s38
	v_sub_nc_u32_e32 v58, v58, v16
	s_waitcnt lgkmcnt(0)
	v_max_f32_e32 v59, v17, v17
	s_delay_alu instid0(VALU_DEP_2) | instskip(NEXT) | instid1(VALU_DEP_2)
	v_mad_u64_u32 v[16:17], null, v58, s22, s[12:13]
	v_max_f32_e32 v10, v10, v59
	s_and_saveexec_b32 s9, s6
	s_cbranch_execz .LBB56_82
; %bb.78:
	v_cmp_ne_u32_e32 vcc_lo, 1, v92
	s_cbranch_vccnz .LBB56_80
; %bb.79:
	s_delay_alu instid0(VALU_DEP_3) | instskip(NEXT) | instid1(VALU_DEP_1)
	v_add_nc_u32_e32 v58, v16, v39
	v_ashrrev_i32_e32 v59, 31, v58
	s_delay_alu instid0(VALU_DEP_1) | instskip(NEXT) | instid1(VALU_DEP_1)
	v_lshlrev_b64 v[58:59], 1, v[58:59]
	v_add_co_u32 v58, vcc_lo, s44, v58
	s_delay_alu instid0(VALU_DEP_2) | instskip(SKIP_3) | instid1(VALU_DEP_1)
	v_add_co_ci_u32_e32 v59, vcc_lo, s45, v59, vcc_lo
	flat_load_u16 v17, v[58:59]
	s_waitcnt vmcnt(0) lgkmcnt(0)
	v_cvt_f32_f16_e32 v17, v17
	v_mul_f32_e32 v17, v50, v17
	s_branch .LBB56_81
.LBB56_80:
	v_mov_b32_e32 v17, 0
.LBB56_81:
	s_delay_alu instid0(VALU_DEP_1) | instskip(NEXT) | instid1(VALU_DEP_1)
	v_dual_add_f32 v84, v84, v17 :: v_dual_max_f32 v11, v11, v11
	v_add_f32_e32 v17, 0x40051340, v84
	s_delay_alu instid0(VALU_DEP_1)
	v_max_f32_e32 v11, v11, v17
.LBB56_82:
	s_or_b32 exec_lo, exec_lo, s9
	s_and_saveexec_b32 s9, s7
	s_cbranch_execz .LBB56_87
; %bb.83:
	v_cmp_ne_u32_e32 vcc_lo, 1, v92
	s_cbranch_vccnz .LBB56_85
; %bb.84:
	v_ashrrev_i32_e32 v17, 31, v16
	v_add_co_u32 v16, vcc_lo, v16, v39
	s_delay_alu instid0(VALU_DEP_2) | instskip(NEXT) | instid1(VALU_DEP_1)
	v_add_co_ci_u32_e32 v17, vcc_lo, 0, v17, vcc_lo
	v_lshlrev_b64 v[16:17], 1, v[16:17]
	s_delay_alu instid0(VALU_DEP_1) | instskip(NEXT) | instid1(VALU_DEP_2)
	v_add_co_u32 v16, vcc_lo, s44, v16
	v_add_co_ci_u32_e32 v17, vcc_lo, s45, v17, vcc_lo
	flat_load_u16 v16, v[16:17] offset:64
	s_waitcnt vmcnt(0) lgkmcnt(0)
	v_cvt_f32_f16_e32 v16, v16
	s_delay_alu instid0(VALU_DEP_1)
	v_mul_f32_e32 v16, v50, v16
	s_branch .LBB56_86
.LBB56_85:
	v_mov_b32_e32 v16, 0
.LBB56_86:
	s_delay_alu instid0(VALU_DEP_1) | instskip(NEXT) | instid1(VALU_DEP_1)
	v_add_f32_e32 v85, v85, v16
	v_dual_max_f32 v11, v11, v11 :: v_dual_add_f32 v16, 0x40051340, v85
	s_delay_alu instid0(VALU_DEP_1)
	v_max_f32_e32 v11, v11, v16
.LBB56_87:
	s_or_b32 exec_lo, exec_lo, s9
	ds_bpermute_b32 v16, v62, v11
	v_mul_hi_u32 v17, s36, v57
	s_waitcnt lgkmcnt(0)
	v_dual_max_f32 v11, v11, v11 :: v_dual_max_f32 v16, v16, v16
	s_delay_alu instid0(VALU_DEP_1) | instskip(SKIP_3) | instid1(VALU_DEP_1)
	v_max_f32_e32 v11, v11, v16
	ds_bpermute_b32 v16, v93, v11
	s_waitcnt lgkmcnt(0)
	v_max_f32_e32 v16, v16, v16
	v_max_f32_e32 v11, v11, v16
	ds_bpermute_b32 v16, v94, v11
	s_waitcnt lgkmcnt(0)
	v_max_f32_e32 v16, v16, v16
	s_delay_alu instid0(VALU_DEP_1) | instskip(SKIP_3) | instid1(VALU_DEP_1)
	v_max_f32_e32 v11, v11, v16
	ds_bpermute_b32 v16, v95, v11
	s_waitcnt lgkmcnt(0)
	v_max_f32_e32 v16, v16, v16
	v_dual_max_f32 v11, v11, v16 :: v_dual_add_nc_u32 v16, v57, v17
	ds_bpermute_b32 v17, v96, v11
	v_lshrrev_b32_e32 v16, s37, v16
	s_delay_alu instid0(VALU_DEP_1) | instskip(NEXT) | instid1(VALU_DEP_1)
	v_mul_lo_u32 v16, v16, s38
	v_sub_nc_u32_e32 v57, v57, v16
	s_waitcnt lgkmcnt(0)
	v_max_f32_e32 v58, v17, v17
	s_delay_alu instid0(VALU_DEP_2) | instskip(NEXT) | instid1(VALU_DEP_2)
	v_mad_u64_u32 v[16:17], null, v57, s22, s[12:13]
	v_max_f32_e32 v11, v11, v58
	s_and_saveexec_b32 s9, s6
	s_cbranch_execz .LBB56_92
; %bb.88:
	v_cmp_ne_u32_e32 vcc_lo, 1, v92
	s_cbranch_vccnz .LBB56_90
; %bb.89:
	s_delay_alu instid0(VALU_DEP_3) | instskip(NEXT) | instid1(VALU_DEP_1)
	v_add_nc_u32_e32 v57, v16, v39
	v_ashrrev_i32_e32 v58, 31, v57
	s_delay_alu instid0(VALU_DEP_1) | instskip(NEXT) | instid1(VALU_DEP_1)
	v_lshlrev_b64 v[57:58], 1, v[57:58]
	v_add_co_u32 v57, vcc_lo, s44, v57
	s_delay_alu instid0(VALU_DEP_2) | instskip(SKIP_3) | instid1(VALU_DEP_1)
	v_add_co_ci_u32_e32 v58, vcc_lo, s45, v58, vcc_lo
	flat_load_u16 v17, v[57:58]
	s_waitcnt vmcnt(0) lgkmcnt(0)
	v_cvt_f32_f16_e32 v17, v17
	v_mul_f32_e32 v17, v50, v17
	s_branch .LBB56_91
.LBB56_90:
	v_mov_b32_e32 v17, 0
.LBB56_91:
	s_delay_alu instid0(VALU_DEP_1) | instskip(NEXT) | instid1(VALU_DEP_1)
	v_add_f32_e32 v82, v82, v17
	v_dual_max_f32 v12, v12, v12 :: v_dual_add_f32 v17, 0x40051340, v82
	s_delay_alu instid0(VALU_DEP_1)
	v_max_f32_e32 v12, v12, v17
.LBB56_92:
	s_or_b32 exec_lo, exec_lo, s9
	s_and_saveexec_b32 s9, s7
	s_cbranch_execz .LBB56_97
; %bb.93:
	v_cmp_ne_u32_e32 vcc_lo, 1, v92
	s_cbranch_vccnz .LBB56_95
; %bb.94:
	v_ashrrev_i32_e32 v17, 31, v16
	v_add_co_u32 v16, vcc_lo, v16, v39
	s_delay_alu instid0(VALU_DEP_2) | instskip(NEXT) | instid1(VALU_DEP_1)
	v_add_co_ci_u32_e32 v17, vcc_lo, 0, v17, vcc_lo
	v_lshlrev_b64 v[16:17], 1, v[16:17]
	s_delay_alu instid0(VALU_DEP_1) | instskip(NEXT) | instid1(VALU_DEP_2)
	v_add_co_u32 v16, vcc_lo, s44, v16
	v_add_co_ci_u32_e32 v17, vcc_lo, s45, v17, vcc_lo
	flat_load_u16 v16, v[16:17] offset:64
	s_waitcnt vmcnt(0) lgkmcnt(0)
	v_cvt_f32_f16_e32 v16, v16
	s_delay_alu instid0(VALU_DEP_1)
	v_mul_f32_e32 v16, v50, v16
	s_branch .LBB56_96
.LBB56_95:
	v_mov_b32_e32 v16, 0
.LBB56_96:
	s_delay_alu instid0(VALU_DEP_1) | instskip(SKIP_1) | instid1(VALU_DEP_2)
	v_add_f32_e32 v83, v83, v16
	v_max_f32_e32 v12, v12, v12
	v_add_f32_e32 v16, 0x40051340, v83
	s_delay_alu instid0(VALU_DEP_1)
	v_max_f32_e32 v12, v12, v16
.LBB56_97:
	s_or_b32 exec_lo, exec_lo, s9
	ds_bpermute_b32 v16, v62, v12
	v_max_f32_e32 v12, v12, v12
	v_mul_hi_u32 v17, s36, v56
	s_waitcnt lgkmcnt(0)
	v_max_f32_e32 v16, v16, v16
	s_delay_alu instid0(VALU_DEP_1) | instskip(SKIP_3) | instid1(VALU_DEP_1)
	v_max_f32_e32 v12, v12, v16
	ds_bpermute_b32 v16, v93, v12
	s_waitcnt lgkmcnt(0)
	v_max_f32_e32 v16, v16, v16
	v_max_f32_e32 v12, v12, v16
	ds_bpermute_b32 v16, v94, v12
	s_waitcnt lgkmcnt(0)
	v_max_f32_e32 v16, v16, v16
	s_delay_alu instid0(VALU_DEP_1) | instskip(SKIP_3) | instid1(VALU_DEP_1)
	v_max_f32_e32 v12, v12, v16
	ds_bpermute_b32 v16, v95, v12
	s_waitcnt lgkmcnt(0)
	v_max_f32_e32 v16, v16, v16
	v_max_f32_e32 v12, v12, v16
	v_add_nc_u32_e32 v16, v56, v17
	ds_bpermute_b32 v17, v96, v12
	v_lshrrev_b32_e32 v16, s37, v16
	s_delay_alu instid0(VALU_DEP_1) | instskip(NEXT) | instid1(VALU_DEP_1)
	v_mul_lo_u32 v16, v16, s38
	v_sub_nc_u32_e32 v56, v56, v16
	s_waitcnt lgkmcnt(0)
	v_max_f32_e32 v57, v17, v17
	s_delay_alu instid0(VALU_DEP_2) | instskip(NEXT) | instid1(VALU_DEP_2)
	v_mad_u64_u32 v[16:17], null, v56, s22, s[12:13]
	v_max_f32_e32 v12, v12, v57
	s_and_saveexec_b32 s9, s6
	s_cbranch_execz .LBB56_102
; %bb.98:
	v_cmp_ne_u32_e32 vcc_lo, 1, v92
	s_cbranch_vccnz .LBB56_100
; %bb.99:
	s_delay_alu instid0(VALU_DEP_3) | instskip(NEXT) | instid1(VALU_DEP_1)
	v_add_nc_u32_e32 v56, v16, v39
	v_ashrrev_i32_e32 v57, 31, v56
	s_delay_alu instid0(VALU_DEP_1) | instskip(NEXT) | instid1(VALU_DEP_1)
	v_lshlrev_b64 v[56:57], 1, v[56:57]
	v_add_co_u32 v56, vcc_lo, s44, v56
	s_delay_alu instid0(VALU_DEP_2) | instskip(SKIP_3) | instid1(VALU_DEP_1)
	v_add_co_ci_u32_e32 v57, vcc_lo, s45, v57, vcc_lo
	flat_load_u16 v17, v[56:57]
	s_waitcnt vmcnt(0) lgkmcnt(0)
	v_cvt_f32_f16_e32 v17, v17
	v_mul_f32_e32 v17, v50, v17
	s_branch .LBB56_101
.LBB56_100:
	v_mov_b32_e32 v17, 0
.LBB56_101:
	s_delay_alu instid0(VALU_DEP_1) | instskip(SKIP_1) | instid1(VALU_DEP_2)
	v_add_f32_e32 v80, v80, v17
	v_max_f32_e32 v13, v13, v13
	v_add_f32_e32 v17, 0x40051340, v80
	s_delay_alu instid0(VALU_DEP_1)
	v_max_f32_e32 v13, v13, v17
.LBB56_102:
	s_or_b32 exec_lo, exec_lo, s9
	s_and_saveexec_b32 s9, s7
	s_cbranch_execz .LBB56_107
; %bb.103:
	v_cmp_ne_u32_e32 vcc_lo, 1, v92
	s_cbranch_vccnz .LBB56_105
; %bb.104:
	v_ashrrev_i32_e32 v17, 31, v16
	v_add_co_u32 v16, vcc_lo, v16, v39
	s_delay_alu instid0(VALU_DEP_2) | instskip(NEXT) | instid1(VALU_DEP_1)
	v_add_co_ci_u32_e32 v17, vcc_lo, 0, v17, vcc_lo
	v_lshlrev_b64 v[16:17], 1, v[16:17]
	s_delay_alu instid0(VALU_DEP_1) | instskip(NEXT) | instid1(VALU_DEP_2)
	v_add_co_u32 v16, vcc_lo, s44, v16
	v_add_co_ci_u32_e32 v17, vcc_lo, s45, v17, vcc_lo
	flat_load_u16 v16, v[16:17] offset:64
	s_waitcnt vmcnt(0) lgkmcnt(0)
	v_cvt_f32_f16_e32 v16, v16
	s_delay_alu instid0(VALU_DEP_1)
	v_mul_f32_e32 v16, v50, v16
	s_branch .LBB56_106
.LBB56_105:
	v_mov_b32_e32 v16, 0
.LBB56_106:
	s_delay_alu instid0(VALU_DEP_1) | instskip(SKIP_1) | instid1(VALU_DEP_2)
	v_add_f32_e32 v81, v81, v16
	v_max_f32_e32 v13, v13, v13
	v_add_f32_e32 v16, 0x40051340, v81
	s_delay_alu instid0(VALU_DEP_1)
	v_max_f32_e32 v13, v13, v16
.LBB56_107:
	s_or_b32 exec_lo, exec_lo, s9
	ds_bpermute_b32 v16, v62, v13
	v_mul_hi_u32 v17, s36, v55
	s_waitcnt lgkmcnt(0)
	v_dual_max_f32 v13, v13, v13 :: v_dual_max_f32 v16, v16, v16
	s_delay_alu instid0(VALU_DEP_1) | instskip(SKIP_3) | instid1(VALU_DEP_1)
	v_max_f32_e32 v13, v13, v16
	ds_bpermute_b32 v16, v93, v13
	s_waitcnt lgkmcnt(0)
	v_max_f32_e32 v16, v16, v16
	v_max_f32_e32 v13, v13, v16
	ds_bpermute_b32 v16, v94, v13
	s_waitcnt lgkmcnt(0)
	v_max_f32_e32 v16, v16, v16
	s_delay_alu instid0(VALU_DEP_1) | instskip(SKIP_3) | instid1(VALU_DEP_1)
	v_max_f32_e32 v13, v13, v16
	ds_bpermute_b32 v16, v95, v13
	s_waitcnt lgkmcnt(0)
	v_max_f32_e32 v16, v16, v16
	v_dual_max_f32 v13, v13, v16 :: v_dual_add_nc_u32 v16, v55, v17
	ds_bpermute_b32 v17, v96, v13
	v_lshrrev_b32_e32 v16, s37, v16
	s_delay_alu instid0(VALU_DEP_1) | instskip(NEXT) | instid1(VALU_DEP_1)
	v_mul_lo_u32 v16, v16, s38
	v_sub_nc_u32_e32 v55, v55, v16
	s_waitcnt lgkmcnt(0)
	v_max_f32_e32 v56, v17, v17
	s_delay_alu instid0(VALU_DEP_2) | instskip(NEXT) | instid1(VALU_DEP_2)
	v_mad_u64_u32 v[16:17], null, v55, s22, s[12:13]
	v_max_f32_e32 v13, v13, v56
	s_and_saveexec_b32 s9, s6
	s_cbranch_execz .LBB56_112
; %bb.108:
	v_cmp_ne_u32_e32 vcc_lo, 1, v92
	s_cbranch_vccnz .LBB56_110
; %bb.109:
	s_delay_alu instid0(VALU_DEP_3) | instskip(NEXT) | instid1(VALU_DEP_1)
	v_add_nc_u32_e32 v55, v16, v39
	v_ashrrev_i32_e32 v56, 31, v55
	s_delay_alu instid0(VALU_DEP_1) | instskip(NEXT) | instid1(VALU_DEP_1)
	v_lshlrev_b64 v[55:56], 1, v[55:56]
	v_add_co_u32 v55, vcc_lo, s44, v55
	s_delay_alu instid0(VALU_DEP_2) | instskip(SKIP_3) | instid1(VALU_DEP_1)
	v_add_co_ci_u32_e32 v56, vcc_lo, s45, v56, vcc_lo
	flat_load_u16 v17, v[55:56]
	s_waitcnt vmcnt(0) lgkmcnt(0)
	v_cvt_f32_f16_e32 v17, v17
	v_mul_f32_e32 v17, v50, v17
	s_branch .LBB56_111
.LBB56_110:
	v_mov_b32_e32 v17, 0
.LBB56_111:
	s_delay_alu instid0(VALU_DEP_1) | instskip(SKIP_1) | instid1(VALU_DEP_2)
	v_add_f32_e32 v78, v78, v17
	v_max_f32_e32 v14, v14, v14
	v_add_f32_e32 v17, 0x40051340, v78
	s_delay_alu instid0(VALU_DEP_1)
	v_max_f32_e32 v14, v14, v17
.LBB56_112:
	s_or_b32 exec_lo, exec_lo, s9
	s_and_saveexec_b32 s9, s7
	s_cbranch_execz .LBB56_117
; %bb.113:
	v_cmp_ne_u32_e32 vcc_lo, 1, v92
	s_cbranch_vccnz .LBB56_115
; %bb.114:
	v_ashrrev_i32_e32 v17, 31, v16
	v_add_co_u32 v16, vcc_lo, v16, v39
	s_delay_alu instid0(VALU_DEP_2) | instskip(NEXT) | instid1(VALU_DEP_1)
	v_add_co_ci_u32_e32 v17, vcc_lo, 0, v17, vcc_lo
	v_lshlrev_b64 v[16:17], 1, v[16:17]
	s_delay_alu instid0(VALU_DEP_1) | instskip(NEXT) | instid1(VALU_DEP_2)
	v_add_co_u32 v16, vcc_lo, s44, v16
	v_add_co_ci_u32_e32 v17, vcc_lo, s45, v17, vcc_lo
	flat_load_u16 v16, v[16:17] offset:64
	s_waitcnt vmcnt(0) lgkmcnt(0)
	v_cvt_f32_f16_e32 v16, v16
	s_delay_alu instid0(VALU_DEP_1)
	v_mul_f32_e32 v16, v50, v16
	s_branch .LBB56_116
.LBB56_115:
	v_mov_b32_e32 v16, 0
.LBB56_116:
	s_delay_alu instid0(VALU_DEP_1) | instskip(NEXT) | instid1(VALU_DEP_1)
	v_dual_add_f32 v79, v79, v16 :: v_dual_max_f32 v14, v14, v14
	v_add_f32_e32 v16, 0x40051340, v79
	s_delay_alu instid0(VALU_DEP_1)
	v_max_f32_e32 v14, v14, v16
.LBB56_117:
	s_or_b32 exec_lo, exec_lo, s9
	ds_bpermute_b32 v16, v62, v14
	v_max_f32_e32 v14, v14, v14
	v_mul_hi_u32 v17, s36, v53
	s_waitcnt lgkmcnt(0)
	v_max_f32_e32 v16, v16, v16
	s_delay_alu instid0(VALU_DEP_1) | instskip(SKIP_3) | instid1(VALU_DEP_1)
	v_max_f32_e32 v14, v14, v16
	ds_bpermute_b32 v16, v93, v14
	s_waitcnt lgkmcnt(0)
	v_max_f32_e32 v16, v16, v16
	v_max_f32_e32 v14, v14, v16
	ds_bpermute_b32 v16, v94, v14
	s_waitcnt lgkmcnt(0)
	v_max_f32_e32 v16, v16, v16
	s_delay_alu instid0(VALU_DEP_1) | instskip(SKIP_3) | instid1(VALU_DEP_1)
	v_max_f32_e32 v14, v14, v16
	ds_bpermute_b32 v16, v95, v14
	s_waitcnt lgkmcnt(0)
	v_max_f32_e32 v16, v16, v16
	v_max_f32_e32 v14, v14, v16
	v_add_nc_u32_e32 v16, v53, v17
	ds_bpermute_b32 v17, v96, v14
	v_lshrrev_b32_e32 v16, s37, v16
	s_delay_alu instid0(VALU_DEP_1) | instskip(NEXT) | instid1(VALU_DEP_1)
	v_mul_lo_u32 v16, v16, s38
	v_sub_nc_u32_e32 v53, v53, v16
	s_waitcnt lgkmcnt(0)
	v_max_f32_e32 v55, v17, v17
	s_delay_alu instid0(VALU_DEP_2) | instskip(NEXT) | instid1(VALU_DEP_2)
	v_mad_u64_u32 v[16:17], null, v53, s22, s[12:13]
	v_max_f32_e32 v14, v14, v55
	s_and_saveexec_b32 s9, s6
	s_cbranch_execz .LBB56_122
; %bb.118:
	v_cmp_ne_u32_e32 vcc_lo, 1, v92
	s_cbranch_vccnz .LBB56_120
; %bb.119:
	s_delay_alu instid0(VALU_DEP_3) | instskip(NEXT) | instid1(VALU_DEP_1)
	v_add_nc_u32_e32 v55, v16, v39
	v_ashrrev_i32_e32 v56, 31, v55
	s_delay_alu instid0(VALU_DEP_1) | instskip(NEXT) | instid1(VALU_DEP_1)
	v_lshlrev_b64 v[55:56], 1, v[55:56]
	v_add_co_u32 v55, vcc_lo, s44, v55
	s_delay_alu instid0(VALU_DEP_2) | instskip(SKIP_3) | instid1(VALU_DEP_1)
	v_add_co_ci_u32_e32 v56, vcc_lo, s45, v56, vcc_lo
	flat_load_u16 v17, v[55:56]
	s_waitcnt vmcnt(0) lgkmcnt(0)
	v_cvt_f32_f16_e32 v17, v17
	v_mul_f32_e32 v17, v50, v17
	s_branch .LBB56_121
.LBB56_120:
	v_mov_b32_e32 v17, 0
.LBB56_121:
	s_delay_alu instid0(VALU_DEP_1) | instskip(SKIP_1) | instid1(VALU_DEP_2)
	v_add_f32_e32 v77, v77, v17
	v_max_f32_e32 v15, v15, v15
	v_add_f32_e32 v17, 0x40051340, v77
	s_delay_alu instid0(VALU_DEP_1)
	v_max_f32_e32 v15, v15, v17
.LBB56_122:
	s_or_b32 exec_lo, exec_lo, s9
	s_and_saveexec_b32 s6, s7
	s_cbranch_execz .LBB56_127
; %bb.123:
	v_cmp_ne_u32_e32 vcc_lo, 1, v92
	s_cbranch_vccnz .LBB56_125
; %bb.124:
	v_ashrrev_i32_e32 v17, 31, v16
	v_add_co_u32 v16, vcc_lo, v16, v39
	s_delay_alu instid0(VALU_DEP_2) | instskip(NEXT) | instid1(VALU_DEP_1)
	v_add_co_ci_u32_e32 v17, vcc_lo, 0, v17, vcc_lo
	v_lshlrev_b64 v[16:17], 1, v[16:17]
	s_delay_alu instid0(VALU_DEP_1) | instskip(NEXT) | instid1(VALU_DEP_2)
	v_add_co_u32 v16, vcc_lo, s44, v16
	v_add_co_ci_u32_e32 v17, vcc_lo, s45, v17, vcc_lo
	flat_load_u16 v16, v[16:17] offset:64
	s_waitcnt vmcnt(0) lgkmcnt(0)
	v_cvt_f32_f16_e32 v16, v16
	s_delay_alu instid0(VALU_DEP_1)
	v_mul_f32_e32 v16, v50, v16
	s_branch .LBB56_126
.LBB56_125:
	v_mov_b32_e32 v16, 0
.LBB56_126:
	s_delay_alu instid0(VALU_DEP_1) | instskip(NEXT) | instid1(VALU_DEP_1)
	v_dual_add_f32 v76, v76, v16 :: v_dual_max_f32 v15, v15, v15
	v_add_f32_e32 v16, 0x40051340, v76
	s_delay_alu instid0(VALU_DEP_1)
	v_max_f32_e32 v15, v15, v16
.LBB56_127:
	s_or_b32 exec_lo, exec_lo, s6
	ds_bpermute_b32 v16, v62, v15
	v_cmp_gt_u32_e64 s6, s8, v39
	s_waitcnt lgkmcnt(0)
	s_barrier
	buffer_gl0_inv
	v_dual_max_f32 v15, v15, v15 :: v_dual_max_f32 v16, v16, v16
	s_delay_alu instid0(VALU_DEP_1) | instskip(SKIP_3) | instid1(VALU_DEP_1)
	v_max_f32_e32 v15, v15, v16
	ds_bpermute_b32 v16, v93, v15
	s_waitcnt lgkmcnt(0)
	v_max_f32_e32 v16, v16, v16
	v_max_f32_e32 v15, v15, v16
	ds_bpermute_b32 v16, v94, v15
	s_waitcnt lgkmcnt(0)
	v_max_f32_e32 v16, v16, v16
	s_delay_alu instid0(VALU_DEP_1) | instskip(SKIP_3) | instid1(VALU_DEP_1)
	v_max_f32_e32 v15, v15, v16
	ds_bpermute_b32 v16, v95, v15
	s_waitcnt lgkmcnt(0)
	v_max_f32_e32 v16, v16, v16
	v_max_f32_e32 v15, v15, v16
	ds_bpermute_b32 v16, v96, v15
	s_waitcnt lgkmcnt(0)
	v_max_f32_e32 v16, v16, v16
	s_delay_alu instid0(VALU_DEP_1) | instskip(SKIP_2) | instid1(VALU_DEP_1)
	v_max_f32_e32 v15, v15, v16
	v_sub_f32_e32 v16, v0, v8
	v_sub_f32_e32 v0, v90, v8
	v_mul_f32_e32 v17, 0x3fb8aa3b, v0
	v_cmp_ngt_f32_e32 vcc_lo, 0xc2ce8ed0, v0
	s_delay_alu instid0(VALU_DEP_2) | instskip(SKIP_1) | instid1(VALU_DEP_1)
	v_fma_f32 v50, 0x3fb8aa3b, v0, -v17
	v_rndne_f32_e32 v53, v17
	v_dual_fmac_f32 v50, 0x32a5705f, v0 :: v_dual_sub_f32 v17, v17, v53
	s_delay_alu instid0(VALU_DEP_1) | instskip(SKIP_1) | instid1(VALU_DEP_2)
	v_add_f32_e32 v17, v17, v50
	v_cvt_i32_f32_e32 v50, v53
	v_exp_f32_e32 v17, v17
	s_waitcnt_depctr 0xfff
	v_ldexp_f32 v17, v17, v50
	s_delay_alu instid0(VALU_DEP_1) | instskip(SKIP_1) | instid1(VALU_DEP_2)
	v_cndmask_b32_e32 v17, 0, v17, vcc_lo
	v_cmp_nlt_f32_e32 vcc_lo, 0x42b17218, v0
	v_dual_cndmask_b32 v0, 0x7f800000, v17 :: v_dual_sub_f32 v17, v91, v8
	v_cmp_gt_u32_e32 vcc_lo, s8, v60
	s_delay_alu instid0(VALU_DEP_2) | instskip(NEXT) | instid1(VALU_DEP_3)
	v_cndmask_b32_e64 v0, 0, v0, s6
	v_mul_f32_e32 v53, 0x3fb8aa3b, v17
	v_cmp_ngt_f32_e64 s7, 0xc2ce8ed0, v17
	s_delay_alu instid0(VALU_DEP_3) | instskip(NEXT) | instid1(VALU_DEP_3)
	v_cvt_f16_f32_e32 v50, v0
	v_fma_f32 v55, 0x3fb8aa3b, v17, -v53
	v_rndne_f32_e32 v56, v53
	s_delay_alu instid0(VALU_DEP_2) | instskip(NEXT) | instid1(VALU_DEP_2)
	v_fmac_f32_e32 v55, 0x32a5705f, v17
	v_sub_f32_e32 v53, v53, v56
	s_delay_alu instid0(VALU_DEP_1) | instskip(SKIP_1) | instid1(VALU_DEP_2)
	v_add_f32_e32 v53, v53, v55
	v_cvt_i32_f32_e32 v55, v56
	v_exp_f32_e32 v53, v53
	s_waitcnt_depctr 0xfff
	v_ldexp_f32 v53, v53, v55
	s_delay_alu instid0(VALU_DEP_1) | instskip(SKIP_1) | instid1(VALU_DEP_1)
	v_cndmask_b32_e64 v53, 0, v53, s7
	v_cmp_nlt_f32_e64 s7, 0x42b17218, v17
	v_cndmask_b32_e64 v17, 0x7f800000, v53, s7
	v_cmp_ngt_f32_e64 s7, 0xc2ce8ed0, v16
	s_delay_alu instid0(VALU_DEP_2) | instskip(NEXT) | instid1(VALU_DEP_1)
	v_cndmask_b32_e32 v17, 0, v17, vcc_lo
	v_add_f32_e32 v0, v0, v17
	v_cvt_f16_f32_e32 v53, v17
	v_mul_f32_e32 v17, 0x3fb8aa3b, v16
	s_delay_alu instid0(VALU_DEP_1) | instskip(SKIP_1) | instid1(VALU_DEP_2)
	v_fma_f32 v55, 0x3fb8aa3b, v16, -v17
	v_rndne_f32_e32 v56, v17
	v_fmac_f32_e32 v55, 0x32a5705f, v16
	s_delay_alu instid0(VALU_DEP_2) | instskip(NEXT) | instid1(VALU_DEP_1)
	v_sub_f32_e32 v17, v17, v56
	v_add_f32_e32 v17, v17, v55
	v_cvt_i32_f32_e32 v55, v56
	s_delay_alu instid0(VALU_DEP_2) | instskip(SKIP_2) | instid1(VALU_DEP_1)
	v_exp_f32_e32 v17, v17
	s_waitcnt_depctr 0xfff
	v_ldexp_f32 v17, v17, v55
	v_cndmask_b32_e64 v17, 0, v17, s7
	v_cmp_nlt_f32_e64 s7, 0x42b17218, v16
	s_delay_alu instid0(VALU_DEP_1) | instskip(SKIP_1) | instid1(VALU_DEP_2)
	v_cndmask_b32_e64 v16, 0x7f800000, v17, s7
	v_sub_f32_e32 v17, v1, v9
	v_dual_sub_f32 v1, v88, v9 :: v_dual_fmac_f32 v0, v70, v16
	v_cvt_f16_f32_e32 v16, v16
	s_delay_alu instid0(VALU_DEP_2) | instskip(NEXT) | instid1(VALU_DEP_2)
	v_cmp_ngt_f32_e64 s7, 0xc2ce8ed0, v1
	v_pk_mul_f16 v16, v16, v52 op_sel_hi:[0,1]
	v_mul_f32_e32 v52, 0x3fb8aa3b, v1
	s_delay_alu instid0(VALU_DEP_1) | instskip(SKIP_1) | instid1(VALU_DEP_1)
	v_fma_f32 v55, 0x3fb8aa3b, v1, -v52
	v_rndne_f32_e32 v56, v52
	v_dual_fmac_f32 v55, 0x32a5705f, v1 :: v_dual_sub_f32 v52, v52, v56
	s_delay_alu instid0(VALU_DEP_1) | instskip(SKIP_1) | instid1(VALU_DEP_2)
	v_add_f32_e32 v52, v52, v55
	v_cvt_i32_f32_e32 v55, v56
	v_exp_f32_e32 v52, v52
	s_waitcnt_depctr 0xfff
	v_ldexp_f32 v52, v52, v55
	v_sub_f32_e32 v55, v89, v9
	s_delay_alu instid0(VALU_DEP_2) | instskip(NEXT) | instid1(VALU_DEP_2)
	v_cndmask_b32_e64 v52, 0, v52, s7
	v_mul_f32_e32 v56, 0x3fb8aa3b, v55
	v_cmp_nlt_f32_e64 s7, 0x42b17218, v1
	s_delay_alu instid0(VALU_DEP_2) | instskip(SKIP_1) | instid1(VALU_DEP_3)
	v_fma_f32 v57, 0x3fb8aa3b, v55, -v56
	v_rndne_f32_e32 v58, v56
	v_cndmask_b32_e64 v1, 0x7f800000, v52, s7
	v_cmp_ngt_f32_e64 s7, 0xc2ce8ed0, v55
	s_delay_alu instid0(VALU_DEP_3) | instskip(NEXT) | instid1(VALU_DEP_3)
	v_dual_fmac_f32 v57, 0x32a5705f, v55 :: v_dual_sub_f32 v56, v56, v58
	v_cndmask_b32_e64 v1, 0, v1, s6
	s_delay_alu instid0(VALU_DEP_2) | instskip(SKIP_1) | instid1(VALU_DEP_3)
	v_add_f32_e32 v56, v56, v57
	v_cvt_i32_f32_e32 v57, v58
	v_cvt_f16_f32_e32 v52, v1
	s_delay_alu instid0(VALU_DEP_3) | instskip(SKIP_2) | instid1(VALU_DEP_1)
	v_exp_f32_e32 v56, v56
	s_waitcnt_depctr 0xfff
	v_ldexp_f32 v56, v56, v57
	v_cndmask_b32_e64 v56, 0, v56, s7
	v_cmp_nlt_f32_e64 s7, 0x42b17218, v55
	s_delay_alu instid0(VALU_DEP_1) | instskip(SKIP_2) | instid1(VALU_DEP_3)
	v_cndmask_b32_e64 v55, 0x7f800000, v56, s7
	v_mul_f32_e32 v56, 0x3fb8aa3b, v17
	v_cmp_ngt_f32_e64 s7, 0xc2ce8ed0, v17
	v_cndmask_b32_e32 v55, 0, v55, vcc_lo
	s_delay_alu instid0(VALU_DEP_3) | instskip(SKIP_1) | instid1(VALU_DEP_3)
	v_fma_f32 v57, 0x3fb8aa3b, v17, -v56
	v_rndne_f32_e32 v58, v56
	v_add_f32_e32 v1, v1, v55
	s_delay_alu instid0(VALU_DEP_2) | instskip(NEXT) | instid1(VALU_DEP_1)
	v_dual_fmac_f32 v57, 0x32a5705f, v17 :: v_dual_sub_f32 v56, v56, v58
	v_add_f32_e32 v56, v56, v57
	v_cvt_i32_f32_e32 v57, v58
	s_delay_alu instid0(VALU_DEP_2) | instskip(SKIP_4) | instid1(VALU_DEP_3)
	v_exp_f32_e32 v56, v56
	s_waitcnt_depctr 0xfff
	v_ldexp_f32 v56, v56, v57
	v_sub_f32_e32 v57, v2, v10
	v_sub_f32_e32 v2, v86, v10
	v_cndmask_b32_e64 v56, 0, v56, s7
	v_cmp_nlt_f32_e64 s7, 0x42b17218, v17
	s_delay_alu instid0(VALU_DEP_1) | instskip(NEXT) | instid1(VALU_DEP_4)
	v_cndmask_b32_e64 v17, 0x7f800000, v56, s7
	v_cmp_ngt_f32_e64 s7, 0xc2ce8ed0, v2
	s_delay_alu instid0(VALU_DEP_2) | instskip(SKIP_1) | instid1(VALU_DEP_1)
	v_fmac_f32_e32 v1, v69, v17
	v_cvt_f16_f32_e32 v17, v17
	v_pk_mul_f16 v17, v17, v51 op_sel_hi:[0,1]
	v_mul_f32_e32 v51, 0x3fb8aa3b, v2
	s_delay_alu instid0(VALU_DEP_1) | instskip(SKIP_1) | instid1(VALU_DEP_2)
	v_fma_f32 v56, 0x3fb8aa3b, v2, -v51
	v_rndne_f32_e32 v58, v51
	v_fmac_f32_e32 v56, 0x32a5705f, v2
	s_delay_alu instid0(VALU_DEP_2) | instskip(NEXT) | instid1(VALU_DEP_1)
	v_sub_f32_e32 v51, v51, v58
	v_add_f32_e32 v51, v51, v56
	v_cvt_i32_f32_e32 v56, v58
	s_delay_alu instid0(VALU_DEP_2) | instskip(SKIP_3) | instid1(VALU_DEP_2)
	v_exp_f32_e32 v51, v51
	s_waitcnt_depctr 0xfff
	v_ldexp_f32 v51, v51, v56
	v_sub_f32_e32 v56, v87, v10
	v_cndmask_b32_e64 v51, 0, v51, s7
	s_delay_alu instid0(VALU_DEP_2) | instskip(SKIP_1) | instid1(VALU_DEP_2)
	v_mul_f32_e32 v58, 0x3fb8aa3b, v56
	v_cmp_nlt_f32_e64 s7, 0x42b17218, v2
	v_fma_f32 v59, 0x3fb8aa3b, v56, -v58
	v_rndne_f32_e32 v61, v58
	s_delay_alu instid0(VALU_DEP_3) | instskip(SKIP_1) | instid1(VALU_DEP_3)
	v_cndmask_b32_e64 v2, 0x7f800000, v51, s7
	v_cmp_ngt_f32_e64 s7, 0xc2ce8ed0, v56
	v_dual_fmac_f32 v59, 0x32a5705f, v56 :: v_dual_sub_f32 v58, v58, v61
	s_delay_alu instid0(VALU_DEP_3) | instskip(NEXT) | instid1(VALU_DEP_2)
	v_cndmask_b32_e64 v2, 0, v2, s6
	v_add_f32_e32 v58, v58, v59
	v_cvt_i32_f32_e32 v59, v61
	s_delay_alu instid0(VALU_DEP_3) | instskip(NEXT) | instid1(VALU_DEP_3)
	v_cvt_f16_f32_e32 v51, v2
	v_exp_f32_e32 v58, v58
	s_waitcnt_depctr 0xfff
	v_ldexp_f32 v58, v58, v59
	s_delay_alu instid0(VALU_DEP_1) | instskip(SKIP_1) | instid1(VALU_DEP_1)
	v_cndmask_b32_e64 v58, 0, v58, s7
	v_cmp_nlt_f32_e64 s7, 0x42b17218, v56
	v_cndmask_b32_e64 v56, 0x7f800000, v58, s7
	v_mul_f32_e32 v58, 0x3fb8aa3b, v57
	v_cmp_ngt_f32_e64 s7, 0xc2ce8ed0, v57
	s_delay_alu instid0(VALU_DEP_3) | instskip(NEXT) | instid1(VALU_DEP_3)
	v_cndmask_b32_e32 v56, 0, v56, vcc_lo
	v_fma_f32 v59, 0x3fb8aa3b, v57, -v58
	v_rndne_f32_e32 v61, v58
	v_cvt_f16_f32_e32 v55, v55
	s_delay_alu instid0(VALU_DEP_3) | instskip(NEXT) | instid1(VALU_DEP_3)
	v_dual_add_f32 v2, v2, v56 :: v_dual_fmac_f32 v59, 0x32a5705f, v57
	v_sub_f32_e32 v58, v58, v61
	v_cvt_f16_f32_e32 v56, v56
	s_delay_alu instid0(VALU_DEP_2) | instskip(SKIP_1) | instid1(VALU_DEP_2)
	v_add_f32_e32 v58, v58, v59
	v_cvt_i32_f32_e32 v59, v61
	v_exp_f32_e32 v58, v58
	s_waitcnt_depctr 0xfff
	v_ldexp_f32 v58, v58, v59
	v_sub_f32_e32 v59, v3, v11
	v_sub_f32_e32 v3, v84, v11
	s_delay_alu instid0(VALU_DEP_3) | instskip(SKIP_1) | instid1(VALU_DEP_1)
	v_cndmask_b32_e64 v58, 0, v58, s7
	v_cmp_nlt_f32_e64 s7, 0x42b17218, v57
	v_cndmask_b32_e64 v57, 0x7f800000, v58, s7
	s_delay_alu instid0(VALU_DEP_4) | instskip(NEXT) | instid1(VALU_DEP_2)
	v_cmp_ngt_f32_e64 s7, 0xc2ce8ed0, v3
	v_fmac_f32_e32 v2, v68, v57
	v_cvt_f16_f32_e32 v57, v57
	s_delay_alu instid0(VALU_DEP_1) | instskip(SKIP_1) | instid1(VALU_DEP_1)
	v_pk_mul_f16 v49, v57, v49 op_sel_hi:[0,1]
	v_mul_f32_e32 v57, 0x3fb8aa3b, v3
	v_fma_f32 v58, 0x3fb8aa3b, v3, -v57
	v_rndne_f32_e32 v61, v57
	s_delay_alu instid0(VALU_DEP_1) | instskip(NEXT) | instid1(VALU_DEP_1)
	v_dual_fmac_f32 v58, 0x32a5705f, v3 :: v_dual_sub_f32 v57, v57, v61
	v_add_f32_e32 v57, v57, v58
	v_cvt_i32_f32_e32 v58, v61
	s_delay_alu instid0(VALU_DEP_2) | instskip(SKIP_3) | instid1(VALU_DEP_2)
	v_exp_f32_e32 v57, v57
	s_waitcnt_depctr 0xfff
	v_ldexp_f32 v57, v57, v58
	v_sub_f32_e32 v58, v85, v11
	v_cndmask_b32_e64 v57, 0, v57, s7
	s_delay_alu instid0(VALU_DEP_2) | instskip(SKIP_1) | instid1(VALU_DEP_2)
	v_mul_f32_e32 v61, 0x3fb8aa3b, v58
	v_cmp_nlt_f32_e64 s7, 0x42b17218, v3
	v_fma_f32 v62, 0x3fb8aa3b, v58, -v61
	v_rndne_f32_e32 v68, v61
	s_delay_alu instid0(VALU_DEP_3) | instskip(SKIP_1) | instid1(VALU_DEP_3)
	v_cndmask_b32_e64 v3, 0x7f800000, v57, s7
	v_cmp_ngt_f32_e64 s7, 0xc2ce8ed0, v58
	v_dual_fmac_f32 v62, 0x32a5705f, v58 :: v_dual_sub_f32 v61, v61, v68
	s_delay_alu instid0(VALU_DEP_3) | instskip(NEXT) | instid1(VALU_DEP_2)
	v_cndmask_b32_e64 v3, 0, v3, s6
	v_add_f32_e32 v61, v61, v62
	v_cvt_i32_f32_e32 v62, v68
	s_delay_alu instid0(VALU_DEP_3) | instskip(NEXT) | instid1(VALU_DEP_3)
	v_cvt_f16_f32_e32 v57, v3
	v_exp_f32_e32 v61, v61
	s_waitcnt_depctr 0xfff
	v_ldexp_f32 v61, v61, v62
	s_delay_alu instid0(VALU_DEP_1) | instskip(SKIP_1) | instid1(VALU_DEP_1)
	v_cndmask_b32_e64 v61, 0, v61, s7
	v_cmp_nlt_f32_e64 s7, 0x42b17218, v58
	v_cndmask_b32_e64 v58, 0x7f800000, v61, s7
	s_delay_alu instid0(VALU_DEP_1) | instskip(SKIP_1) | instid1(VALU_DEP_2)
	v_dual_cndmask_b32 v58, 0, v58 :: v_dual_mul_f32 v61, 0x3fb8aa3b, v59
	v_cmp_ngt_f32_e64 s7, 0xc2ce8ed0, v59
	v_fma_f32 v62, 0x3fb8aa3b, v59, -v61
	v_rndne_f32_e32 v68, v61
	s_delay_alu instid0(VALU_DEP_1) | instskip(NEXT) | instid1(VALU_DEP_1)
	v_dual_fmac_f32 v62, 0x32a5705f, v59 :: v_dual_sub_f32 v61, v61, v68
	v_add_f32_e32 v61, v61, v62
	v_cvt_i32_f32_e32 v62, v68
	s_delay_alu instid0(VALU_DEP_2) | instskip(SKIP_2) | instid1(VALU_DEP_1)
	v_exp_f32_e32 v61, v61
	s_waitcnt_depctr 0xfff
	v_ldexp_f32 v61, v61, v62
	v_cndmask_b32_e64 v61, 0, v61, s7
	v_cmp_nlt_f32_e64 s7, 0x42b17218, v59
	s_delay_alu instid0(VALU_DEP_1) | instskip(SKIP_3) | instid1(VALU_DEP_2)
	v_cndmask_b32_e64 v59, 0x7f800000, v61, s7
	v_sub_f32_e32 v61, v4, v12
	v_dual_add_f32 v3, v3, v58 :: v_dual_sub_f32 v4, v82, v12
	v_cvt_f16_f32_e32 v58, v58
	v_fmac_f32_e32 v3, v67, v59
	v_cvt_f16_f32_e32 v59, v59
	s_delay_alu instid0(VALU_DEP_4) | instskip(NEXT) | instid1(VALU_DEP_4)
	v_cmp_ngt_f32_e64 s7, 0xc2ce8ed0, v4
	v_pack_b32_f16 v58, v56, v58
	v_lshl_or_b32 v56, v73, 7, v71
	s_delay_alu instid0(VALU_DEP_4) | instskip(SKIP_1) | instid1(VALU_DEP_1)
	v_pk_mul_f16 v48, v59, v48 op_sel_hi:[0,1]
	v_mul_f32_e32 v59, 0x3fb8aa3b, v4
	v_fma_f32 v62, 0x3fb8aa3b, v4, -v59
	v_rndne_f32_e32 v67, v59
	s_delay_alu instid0(VALU_DEP_1) | instskip(NEXT) | instid1(VALU_DEP_1)
	v_dual_fmac_f32 v62, 0x32a5705f, v4 :: v_dual_sub_f32 v59, v59, v67
	v_add_f32_e32 v59, v59, v62
	v_cvt_i32_f32_e32 v62, v67
	s_delay_alu instid0(VALU_DEP_2) | instskip(SKIP_3) | instid1(VALU_DEP_2)
	v_exp_f32_e32 v59, v59
	s_waitcnt_depctr 0xfff
	v_ldexp_f32 v59, v59, v62
	v_sub_f32_e32 v62, v83, v12
	v_cndmask_b32_e64 v59, 0, v59, s7
	s_delay_alu instid0(VALU_DEP_2) | instskip(SKIP_1) | instid1(VALU_DEP_2)
	v_mul_f32_e32 v67, 0x3fb8aa3b, v62
	v_cmp_nlt_f32_e64 s7, 0x42b17218, v4
	v_fma_f32 v68, 0x3fb8aa3b, v62, -v67
	v_rndne_f32_e32 v69, v67
	s_delay_alu instid0(VALU_DEP_3) | instskip(SKIP_1) | instid1(VALU_DEP_3)
	v_cndmask_b32_e64 v4, 0x7f800000, v59, s7
	v_cmp_ngt_f32_e64 s7, 0xc2ce8ed0, v62
	v_dual_fmac_f32 v68, 0x32a5705f, v62 :: v_dual_sub_f32 v67, v67, v69
	s_delay_alu instid0(VALU_DEP_3) | instskip(NEXT) | instid1(VALU_DEP_2)
	v_cndmask_b32_e64 v4, 0, v4, s6
	v_add_f32_e32 v67, v67, v68
	v_cvt_i32_f32_e32 v68, v69
	s_delay_alu instid0(VALU_DEP_3) | instskip(NEXT) | instid1(VALU_DEP_3)
	v_cvt_f16_f32_e32 v59, v4
	v_exp_f32_e32 v67, v67
	s_waitcnt_depctr 0xfff
	v_ldexp_f32 v67, v67, v68
	s_delay_alu instid0(VALU_DEP_1) | instskip(SKIP_1) | instid1(VALU_DEP_1)
	v_cndmask_b32_e64 v67, 0, v67, s7
	v_cmp_nlt_f32_e64 s7, 0x42b17218, v62
	v_cndmask_b32_e64 v62, 0x7f800000, v67, s7
	v_cmp_ngt_f32_e64 s7, 0xc2ce8ed0, v61
	s_delay_alu instid0(VALU_DEP_2) | instskip(NEXT) | instid1(VALU_DEP_1)
	v_cndmask_b32_e32 v62, 0, v62, vcc_lo
	v_add_f32_e32 v4, v4, v62
	v_cvt_f16_f32_e32 v67, v62
	v_mul_f32_e32 v62, 0x3fb8aa3b, v61
	s_delay_alu instid0(VALU_DEP_1) | instskip(SKIP_1) | instid1(VALU_DEP_2)
	v_fma_f32 v68, 0x3fb8aa3b, v61, -v62
	v_rndne_f32_e32 v69, v62
	v_fmac_f32_e32 v68, 0x32a5705f, v61
	s_delay_alu instid0(VALU_DEP_2) | instskip(NEXT) | instid1(VALU_DEP_1)
	v_sub_f32_e32 v62, v62, v69
	v_add_f32_e32 v62, v62, v68
	v_cvt_i32_f32_e32 v68, v69
	s_delay_alu instid0(VALU_DEP_2) | instskip(SKIP_2) | instid1(VALU_DEP_1)
	v_exp_f32_e32 v62, v62
	s_waitcnt_depctr 0xfff
	v_ldexp_f32 v62, v62, v68
	v_cndmask_b32_e64 v62, 0, v62, s7
	v_cmp_nlt_f32_e64 s7, 0x42b17218, v61
	s_delay_alu instid0(VALU_DEP_1) | instskip(NEXT) | instid1(VALU_DEP_1)
	v_cndmask_b32_e64 v61, 0x7f800000, v62, s7
	v_fmac_f32_e32 v4, v66, v61
	v_cvt_f16_f32_e32 v61, v61
	s_delay_alu instid0(VALU_DEP_1) | instskip(SKIP_2) | instid1(VALU_DEP_1)
	v_pk_mul_f16 v47, v61, v47 op_sel_hi:[0,1]
	v_sub_f32_e32 v61, v5, v13
	v_sub_f32_e32 v5, v80, v13
	v_mul_f32_e32 v62, 0x3fb8aa3b, v5
	v_cmp_ngt_f32_e64 s7, 0xc2ce8ed0, v5
	s_delay_alu instid0(VALU_DEP_2) | instskip(SKIP_1) | instid1(VALU_DEP_2)
	v_fma_f32 v66, 0x3fb8aa3b, v5, -v62
	v_rndne_f32_e32 v68, v62
	v_fmac_f32_e32 v66, 0x32a5705f, v5
	s_delay_alu instid0(VALU_DEP_2) | instskip(NEXT) | instid1(VALU_DEP_1)
	v_sub_f32_e32 v62, v62, v68
	v_add_f32_e32 v62, v62, v66
	v_cvt_i32_f32_e32 v66, v68
	s_delay_alu instid0(VALU_DEP_2) | instskip(SKIP_3) | instid1(VALU_DEP_2)
	v_exp_f32_e32 v62, v62
	s_waitcnt_depctr 0xfff
	v_ldexp_f32 v62, v62, v66
	v_sub_f32_e32 v66, v81, v13
	v_cndmask_b32_e64 v62, 0, v62, s7
	s_delay_alu instid0(VALU_DEP_2) | instskip(SKIP_1) | instid1(VALU_DEP_2)
	v_mul_f32_e32 v68, 0x3fb8aa3b, v66
	v_cmp_nlt_f32_e64 s7, 0x42b17218, v5
	v_fma_f32 v69, 0x3fb8aa3b, v66, -v68
	v_rndne_f32_e32 v70, v68
	s_delay_alu instid0(VALU_DEP_3) | instskip(SKIP_1) | instid1(VALU_DEP_4)
	v_cndmask_b32_e64 v5, 0x7f800000, v62, s7
	v_cmp_ngt_f32_e64 s7, 0xc2ce8ed0, v66
	v_fmac_f32_e32 v69, 0x32a5705f, v66
	s_delay_alu instid0(VALU_DEP_4) | instskip(NEXT) | instid1(VALU_DEP_4)
	v_sub_f32_e32 v68, v68, v70
	v_cndmask_b32_e64 v5, 0, v5, s6
	s_delay_alu instid0(VALU_DEP_2) | instskip(SKIP_1) | instid1(VALU_DEP_3)
	v_add_f32_e32 v68, v68, v69
	v_cvt_i32_f32_e32 v69, v70
	v_cvt_f16_f32_e32 v62, v5
	s_delay_alu instid0(VALU_DEP_3) | instskip(SKIP_2) | instid1(VALU_DEP_1)
	v_exp_f32_e32 v68, v68
	s_waitcnt_depctr 0xfff
	v_ldexp_f32 v68, v68, v69
	v_cndmask_b32_e64 v68, 0, v68, s7
	v_cmp_nlt_f32_e64 s7, 0x42b17218, v66
	s_delay_alu instid0(VALU_DEP_1) | instskip(SKIP_2) | instid1(VALU_DEP_3)
	v_cndmask_b32_e64 v66, 0x7f800000, v68, s7
	v_mul_f32_e32 v68, 0x3fb8aa3b, v61
	v_cmp_ngt_f32_e64 s7, 0xc2ce8ed0, v61
	v_cndmask_b32_e32 v66, 0, v66, vcc_lo
	s_delay_alu instid0(VALU_DEP_3) | instskip(SKIP_1) | instid1(VALU_DEP_3)
	v_fma_f32 v69, 0x3fb8aa3b, v61, -v68
	v_rndne_f32_e32 v70, v68
	v_add_f32_e32 v5, v5, v66
	s_delay_alu instid0(VALU_DEP_2) | instskip(SKIP_1) | instid1(VALU_DEP_2)
	v_dual_fmac_f32 v69, 0x32a5705f, v61 :: v_dual_sub_f32 v68, v68, v70
	v_cvt_f16_f32_e32 v66, v66
	v_add_f32_e32 v68, v68, v69
	v_cvt_i32_f32_e32 v69, v70
	s_delay_alu instid0(VALU_DEP_2) | instskip(SKIP_2) | instid1(VALU_DEP_1)
	v_exp_f32_e32 v68, v68
	s_waitcnt_depctr 0xfff
	v_ldexp_f32 v68, v68, v69
	v_cndmask_b32_e64 v68, 0, v68, s7
	v_cmp_nlt_f32_e64 s7, 0x42b17218, v61
	s_delay_alu instid0(VALU_DEP_1) | instskip(NEXT) | instid1(VALU_DEP_1)
	v_cndmask_b32_e64 v61, 0x7f800000, v68, s7
	v_fmac_f32_e32 v5, v65, v61
	v_cvt_f16_f32_e32 v61, v61
	s_delay_alu instid0(VALU_DEP_1) | instskip(SKIP_2) | instid1(VALU_DEP_1)
	v_pk_mul_f16 v68, v61, v46 op_sel_hi:[0,1]
	v_sub_f32_e32 v46, v6, v14
	v_sub_f32_e32 v6, v78, v14
	v_mul_f32_e32 v61, 0x3fb8aa3b, v6
	s_delay_alu instid0(VALU_DEP_1) | instskip(SKIP_1) | instid1(VALU_DEP_1)
	v_fma_f32 v65, 0x3fb8aa3b, v6, -v61
	v_rndne_f32_e32 v69, v61
	v_sub_f32_e32 v61, v61, v69
	s_delay_alu instid0(VALU_DEP_3) | instskip(SKIP_1) | instid1(VALU_DEP_2)
	v_fmac_f32_e32 v65, 0x32a5705f, v6
	v_cmp_ngt_f32_e64 s7, 0xc2ce8ed0, v6
	v_add_f32_e32 v61, v61, v65
	v_cvt_i32_f32_e32 v65, v69
	s_delay_alu instid0(VALU_DEP_2) | instskip(SKIP_3) | instid1(VALU_DEP_2)
	v_exp_f32_e32 v61, v61
	s_waitcnt_depctr 0xfff
	v_ldexp_f32 v61, v61, v65
	v_sub_f32_e32 v65, v79, v14
	v_cndmask_b32_e64 v61, 0, v61, s7
	v_cmp_nlt_f32_e64 s7, 0x42b17218, v6
	s_delay_alu instid0(VALU_DEP_3) | instskip(NEXT) | instid1(VALU_DEP_2)
	v_mul_f32_e32 v69, 0x3fb8aa3b, v65
	v_cndmask_b32_e64 v6, 0x7f800000, v61, s7
	s_delay_alu instid0(VALU_DEP_2) | instskip(SKIP_2) | instid1(VALU_DEP_4)
	v_fma_f32 v70, 0x3fb8aa3b, v65, -v69
	v_rndne_f32_e32 v78, v69
	v_cmp_ngt_f32_e64 s7, 0xc2ce8ed0, v65
	v_cndmask_b32_e64 v6, 0, v6, s6
	s_delay_alu instid0(VALU_DEP_3) | instskip(NEXT) | instid1(VALU_DEP_2)
	v_dual_fmac_f32 v70, 0x32a5705f, v65 :: v_dual_sub_f32 v69, v69, v78
	v_cvt_f16_f32_e32 v61, v6
	s_delay_alu instid0(VALU_DEP_2) | instskip(SKIP_1) | instid1(VALU_DEP_2)
	v_add_f32_e32 v69, v69, v70
	v_cvt_i32_f32_e32 v70, v78
	v_exp_f32_e32 v69, v69
	s_waitcnt_depctr 0xfff
	v_ldexp_f32 v69, v69, v70
	s_delay_alu instid0(VALU_DEP_1) | instskip(SKIP_1) | instid1(VALU_DEP_1)
	v_cndmask_b32_e64 v69, 0, v69, s7
	v_cmp_nlt_f32_e64 s7, 0x42b17218, v65
	v_cndmask_b32_e64 v65, 0x7f800000, v69, s7
	v_mul_f32_e32 v69, 0x3fb8aa3b, v46
	v_cmp_ngt_f32_e64 s7, 0xc2ce8ed0, v46
	s_delay_alu instid0(VALU_DEP_3) | instskip(NEXT) | instid1(VALU_DEP_3)
	v_cndmask_b32_e32 v65, 0, v65, vcc_lo
	v_fma_f32 v70, 0x3fb8aa3b, v46, -v69
	v_rndne_f32_e32 v78, v69
	s_delay_alu instid0(VALU_DEP_3) | instskip(NEXT) | instid1(VALU_DEP_3)
	v_add_f32_e32 v6, v6, v65
	v_fmac_f32_e32 v70, 0x32a5705f, v46
	s_delay_alu instid0(VALU_DEP_3) | instskip(NEXT) | instid1(VALU_DEP_1)
	v_sub_f32_e32 v69, v69, v78
	v_add_f32_e32 v69, v69, v70
	v_cvt_i32_f32_e32 v70, v78
	s_delay_alu instid0(VALU_DEP_2) | instskip(SKIP_2) | instid1(VALU_DEP_1)
	v_exp_f32_e32 v69, v69
	s_waitcnt_depctr 0xfff
	v_ldexp_f32 v69, v69, v70
	v_cndmask_b32_e64 v69, 0, v69, s7
	v_cmp_nlt_f32_e64 s7, 0x42b17218, v46
	s_delay_alu instid0(VALU_DEP_1) | instskip(NEXT) | instid1(VALU_DEP_1)
	v_cndmask_b32_e64 v46, 0x7f800000, v69, s7
	v_fmac_f32_e32 v6, v64, v46
	v_cvt_f16_f32_e32 v46, v46
	s_delay_alu instid0(VALU_DEP_1) | instskip(SKIP_2) | instid1(VALU_DEP_1)
	v_pk_mul_f16 v69, v46, v45 op_sel_hi:[0,1]
	v_sub_f32_e32 v45, v7, v15
	v_sub_f32_e32 v7, v77, v15
	v_mul_f32_e32 v46, 0x3fb8aa3b, v7
	s_delay_alu instid0(VALU_DEP_1) | instskip(SKIP_1) | instid1(VALU_DEP_2)
	v_fma_f32 v64, 0x3fb8aa3b, v7, -v46
	v_rndne_f32_e32 v70, v46
	v_fmac_f32_e32 v64, 0x32a5705f, v7
	s_delay_alu instid0(VALU_DEP_2) | instskip(SKIP_1) | instid1(VALU_DEP_2)
	v_sub_f32_e32 v46, v46, v70
	v_cvt_f16_f32_e32 v65, v65
	v_add_f32_e32 v46, v46, v64
	v_cvt_i32_f32_e32 v64, v70
	s_delay_alu instid0(VALU_DEP_2) | instskip(SKIP_3) | instid1(VALU_DEP_1)
	v_exp_f32_e32 v46, v46
	s_waitcnt_depctr 0xfff
	v_ldexp_f32 v46, v46, v64
	v_sub_f32_e32 v64, v76, v15
	v_mul_f32_e32 v70, 0x3fb8aa3b, v64
	s_delay_alu instid0(VALU_DEP_1) | instskip(SKIP_1) | instid1(VALU_DEP_2)
	v_fma_f32 v76, 0x3fb8aa3b, v64, -v70
	v_rndne_f32_e32 v77, v70
	v_fmac_f32_e32 v76, 0x32a5705f, v64
	s_delay_alu instid0(VALU_DEP_2) | instskip(NEXT) | instid1(VALU_DEP_1)
	v_sub_f32_e32 v70, v70, v77
	v_add_f32_e32 v70, v70, v76
	v_cmp_ngt_f32_e64 s7, 0xc2ce8ed0, v7
	v_cvt_i32_f32_e32 v76, v77
	s_delay_alu instid0(VALU_DEP_3) | instskip(NEXT) | instid1(VALU_DEP_2)
	v_exp_f32_e32 v70, v70
	v_cndmask_b32_e64 v46, 0, v46, s7
	v_cmp_nlt_f32_e64 s7, 0x42b17218, v7
	s_delay_alu instid0(VALU_DEP_1)
	v_cndmask_b32_e64 v7, 0x7f800000, v46, s7
	s_mul_hi_i32 s7, s12, s13
	s_waitcnt_depctr 0xfff
	v_ldexp_f32 v70, v70, v76
	v_cndmask_b32_e64 v7, 0, v7, s6
	v_cmp_ngt_f32_e64 s6, 0xc2ce8ed0, v64
	s_delay_alu instid0(VALU_DEP_2) | instskip(NEXT) | instid1(VALU_DEP_2)
	v_cvt_f16_f32_e32 v46, v7
	v_cndmask_b32_e64 v70, 0, v70, s6
	v_cmp_nlt_f32_e64 s6, 0x42b17218, v64
	s_delay_alu instid0(VALU_DEP_1) | instskip(SKIP_1) | instid1(SALU_CYCLE_1)
	v_cndmask_b32_e64 v64, 0x7f800000, v70, s6
	s_mul_i32 s6, s12, s13
	s_lshl_b64 s[6:7], s[6:7], 2
	s_delay_alu instid0(VALU_DEP_1)
	v_cndmask_b32_e32 v64, 0, v64, vcc_lo
	v_cmp_ngt_f32_e32 vcc_lo, 0xc2ce8ed0, v45
	s_add_u32 s8, s16, s6
	s_addc_u32 s9, s17, s7
	s_mov_b64 s[6:7], src_private_base
	v_add_f32_e32 v7, v7, v64
	v_cvt_f16_f32_e32 v70, v64
	v_mul_f32_e32 v64, 0x3fb8aa3b, v45
	s_lshl_b32 s6, s13, 4
	s_delay_alu instid0(VALU_DEP_1) | instskip(SKIP_1) | instid1(VALU_DEP_2)
	v_fma_f32 v76, 0x3fb8aa3b, v45, -v64
	v_rndne_f32_e32 v77, v64
	v_fmac_f32_e32 v76, 0x32a5705f, v45
	s_delay_alu instid0(VALU_DEP_2) | instskip(NEXT) | instid1(VALU_DEP_1)
	v_sub_f32_e32 v64, v64, v77
	v_add_f32_e32 v64, v64, v76
	v_cvt_i32_f32_e32 v76, v77
	s_delay_alu instid0(VALU_DEP_2) | instskip(SKIP_2) | instid1(VALU_DEP_1)
	v_exp_f32_e32 v64, v64
	s_waitcnt_depctr 0xfff
	v_ldexp_f32 v64, v64, v76
	v_cndmask_b32_e32 v64, 0, v64, vcc_lo
	v_cmp_nlt_f32_e32 vcc_lo, 0x42b17218, v45
	s_delay_alu instid0(VALU_DEP_2) | instskip(SKIP_2) | instid1(VALU_DEP_3)
	v_cndmask_b32_e32 v45, 0x7f800000, v64, vcc_lo
	v_pack_b32_f16 v64, v61, v46
	v_pack_b32_f16 v61, v50, v52
	v_fmac_f32_e32 v7, v63, v45
	v_cvt_f16_f32_e32 v45, v45
	v_pack_b32_f16 v63, v59, v62
	v_pack_b32_f16 v62, v51, v57
	v_pack_b32_f16 v59, v67, v66
	v_pack_b32_f16 v57, v53, v55
	v_pk_mul_f16 v76, v45, v44 op_sel_hi:[0,1]
	v_dual_mov_b32 v67, v3 :: v_dual_add_nc_u32 v44, 0x2400, v43
	v_lshl_or_b32 v55, v72, 7, v71
	s_delay_alu instid0(VALU_DEP_2)
	v_lshl_add_u32 v45, v39, 4, v44
	v_lshl_add_u32 v44, v60, 4, v44
	v_pack_b32_f16 v60, v65, v70
	v_dual_mov_b32 v65, 0 :: v_dual_mov_b32 v70, v0
	ds_store_b128 v45, v[61:64]
	v_lshl_or_b32 v64, v75, 7, v71
	ds_store_b128 v44, v[57:60]
	v_mul_lo_u32 v44, s13, v72
	v_lshl_or_b32 v59, v74, 7, v71
	s_delay_alu instid0(VALU_DEP_2) | instskip(NEXT) | instid1(VALU_DEP_1)
	v_ashrrev_i32_e32 v45, 31, v44
	v_lshlrev_b64 v[45:46], 2, v[44:45]
	v_add_nc_u32_e32 v44, s6, v44
	s_delay_alu instid0(VALU_DEP_2) | instskip(NEXT) | instid1(VALU_DEP_3)
	v_add_co_u32 v45, vcc_lo, s8, v45
	v_add_co_ci_u32_e32 v46, vcc_lo, s9, v46, vcc_lo
	s_delay_alu instid0(VALU_DEP_2) | instskip(NEXT) | instid1(VALU_DEP_4)
	v_add_co_u32 v50, vcc_lo, v45, v71
	v_ashrrev_i32_e32 v45, 31, v44
	s_delay_alu instid0(VALU_DEP_3) | instskip(NEXT) | instid1(VALU_DEP_3)
	v_add_co_ci_u32_e32 v51, vcc_lo, 0, v46, vcc_lo
	v_cndmask_b32_e64 v50, 0, v50, s5
	s_delay_alu instid0(VALU_DEP_3) | instskip(SKIP_1) | instid1(VALU_DEP_4)
	v_lshlrev_b64 v[45:46], 2, v[44:45]
	v_add_nc_u32_e32 v44, s6, v44
	v_cndmask_b32_e64 v51, s7, v51, s5
	s_delay_alu instid0(VALU_DEP_3) | instskip(NEXT) | instid1(VALU_DEP_4)
	v_add_co_u32 v45, vcc_lo, s8, v45
	v_add_co_ci_u32_e32 v46, vcc_lo, s9, v46, vcc_lo
	s_delay_alu instid0(VALU_DEP_2) | instskip(SKIP_1) | instid1(VALU_DEP_3)
	v_add_co_u32 v57, vcc_lo, v45, v71
	v_ashrrev_i32_e32 v45, 31, v44
	v_add_co_ci_u32_e32 v58, vcc_lo, 0, v46, vcc_lo
	s_delay_alu instid0(VALU_DEP_2) | instskip(SKIP_1) | instid1(VALU_DEP_2)
	v_lshlrev_b64 v[45:46], 2, v[44:45]
	v_add_nc_u32_e32 v44, s6, v44
	v_add_co_u32 v45, vcc_lo, s8, v45
	s_delay_alu instid0(VALU_DEP_3) | instskip(NEXT) | instid1(VALU_DEP_2)
	v_add_co_ci_u32_e32 v46, vcc_lo, s9, v46, vcc_lo
	v_add_co_u32 v60, vcc_lo, v45, v71
	s_delay_alu instid0(VALU_DEP_4) | instskip(NEXT) | instid1(VALU_DEP_3)
	v_ashrrev_i32_e32 v45, 31, v44
	v_add_co_ci_u32_e32 v61, vcc_lo, 0, v46, vcc_lo
	s_delay_alu instid0(VALU_DEP_2) | instskip(NEXT) | instid1(VALU_DEP_1)
	v_lshlrev_b64 v[44:45], 2, v[44:45]
	v_add_co_u32 v44, vcc_lo, s8, v44
	s_delay_alu instid0(VALU_DEP_2) | instskip(SKIP_1) | instid1(VALU_DEP_2)
	v_add_co_ci_u32_e32 v45, vcc_lo, s9, v45, vcc_lo
	s_mov_b32 s8, 0
	v_add_co_u32 v62, vcc_lo, v44, v71
	s_mov_b32 s10, s8
	s_mov_b32 s9, s8
	v_add_co_ci_u32_e32 v63, vcc_lo, 0, v45, vcc_lo
	v_dual_mov_b32 v46, s10 :: v_dual_mov_b32 v45, s9
	v_mov_b32_e32 v44, s8
	s_clause 0x1
	scratch_store_b32 off, v65, off
	scratch_store_b96 off, v[44:46], off offset:4
	flat_load_b128 v[50:53], v[50:51]
	s_waitcnt vmcnt(0) lgkmcnt(0)
	ds_store_b128 v55, v[50:53]
	v_cndmask_b32_e64 v51, s7, v58, s4
	v_cndmask_b32_e64 v50, 0, v57, s4
	s_clause 0x1
	scratch_store_b32 off, v65, off
	scratch_store_b96 off, v[44:46], off offset:4
	flat_load_b128 v[50:53], v[50:51]
	s_waitcnt vmcnt(0) lgkmcnt(0)
	ds_store_b128 v56, v[50:53]
	v_cndmask_b32_e64 v51, s7, v61, s3
	v_cndmask_b32_e64 v50, 0, v60, s3
	s_clause 0x1
	scratch_store_b32 off, v65, off
	scratch_store_b96 off, v[44:46], off offset:4
	flat_load_b128 v[50:53], v[50:51]
	s_waitcnt vmcnt(0) lgkmcnt(0)
	ds_store_b128 v59, v[50:53]
	s_clause 0x1
	scratch_store_b32 off, v65, off
	scratch_store_b96 off, v[44:46], off offset:4
	v_cndmask_b32_e64 v45, s7, v63, s2
	v_cndmask_b32_e64 v44, 0, v62, s2
	flat_load_b128 v[50:53], v[44:45]
	s_waitcnt vmcnt(0) lgkmcnt(0)
	ds_store_b128 v64, v[50:53]
	s_waitcnt lgkmcnt(0)
	s_waitcnt_vscnt null, 0x0
	s_barrier
	buffer_gl0_inv
	ds_load_2addr_b32 v[44:45], v42 offset1:32
	ds_load_b128 v[50:53], v43 offset:9216
	ds_load_b128 v[55:58], v43 offset:9232
	;; [unrolled: 1-line block ×4, first 2 shown]
	s_waitcnt lgkmcnt(3)
	v_pk_fma_f16 v16, v44, v50, v16 op_sel_hi:[1,0,1]
	v_pk_fma_f16 v17, v44, v50, v17 op_sel:[0,1,0]
	v_pk_fma_f16 v46, v44, v51, v49 op_sel_hi:[1,0,1]
	v_pk_fma_f16 v48, v44, v51, v48 op_sel:[0,1,0]
	;; [unrolled: 2-line block ×3, first 2 shown]
	s_waitcnt lgkmcnt(2)
	v_pk_fma_f16 v51, v45, v55, v16 op_sel_hi:[1,0,1]
	v_pk_fma_f16 v52, v45, v55, v17 op_sel:[0,1,0]
	ds_load_2addr_b32 v[16:17], v42 offset0:64 offset1:96
	v_pk_fma_f16 v50, v44, v53, v69 op_sel_hi:[1,0,1]
	v_pk_fma_f16 v44, v44, v53, v76 op_sel:[0,1,0]
	v_pk_fma_f16 v46, v45, v56, v46 op_sel_hi:[1,0,1]
	v_pk_fma_f16 v48, v45, v56, v48 op_sel:[0,1,0]
	;; [unrolled: 2-line block ×4, first 2 shown]
	v_add_nc_u32_e32 v57, 0x400, v42
	v_dual_mov_b32 v69, v1 :: v_dual_mov_b32 v68, v2
	s_waitcnt lgkmcnt(0)
	v_pk_fma_f16 v45, v16, v59, v51 op_sel_hi:[1,0,1]
	v_pk_fma_f16 v51, v16, v59, v52 op_sel:[0,1,0]
	v_pk_fma_f16 v46, v16, v60, v46 op_sel_hi:[1,0,1]
	v_pk_fma_f16 v48, v16, v60, v48 op_sel:[0,1,0]
	;; [unrolled: 2-line block ×8, first 2 shown]
	ds_load_2addr_b32 v[16:17], v42 offset0:128 offset1:160
	ds_load_b128 v[44:47], v43 offset:9280
	v_dual_mov_b32 v66, v4 :: v_dual_mov_b32 v63, v7
	v_dual_mov_b32 v64, v6 :: v_dual_mov_b32 v65, v5
	;; [unrolled: 1-line block ×4, first 2 shown]
	v_mov_b32_e32 v7, v15
	v_dual_mov_b32 v3, v11 :: v_dual_mov_b32 v4, v12
	v_mov_b32_e32 v6, v14
	v_mov_b32_e32 v8, v41
	s_waitcnt lgkmcnt(0)
	v_pk_fma_f16 v52, v16, v44, v52 op_sel_hi:[1,0,1]
	v_pk_fma_f16 v51, v16, v44, v51 op_sel:[0,1,0]
	v_pk_fma_f16 v53, v16, v45, v53 op_sel_hi:[1,0,1]
	v_pk_fma_f16 v48, v16, v45, v48 op_sel:[0,1,0]
	;; [unrolled: 2-line block ×4, first 2 shown]
	ds_load_b128 v[44:47], v43 offset:9296
	s_waitcnt lgkmcnt(0)
	v_pk_fma_f16 v52, v17, v44, v52 op_sel_hi:[1,0,1]
	v_pk_fma_f16 v51, v17, v44, v51 op_sel:[0,1,0]
	v_pk_fma_f16 v53, v17, v45, v53 op_sel_hi:[1,0,1]
	v_pk_fma_f16 v48, v17, v45, v48 op_sel:[0,1,0]
	;; [unrolled: 2-line block ×4, first 2 shown]
	ds_load_2addr_b32 v[16:17], v42 offset0:192 offset1:224
	ds_load_b128 v[44:47], v43 offset:9312
	s_waitcnt lgkmcnt(0)
	v_pk_fma_f16 v52, v16, v44, v52 op_sel_hi:[1,0,1]
	v_pk_fma_f16 v51, v16, v44, v51 op_sel:[0,1,0]
	v_pk_fma_f16 v53, v16, v45, v53 op_sel_hi:[1,0,1]
	v_pk_fma_f16 v48, v16, v45, v48 op_sel:[0,1,0]
	;; [unrolled: 2-line block ×4, first 2 shown]
	ds_load_b128 v[44:47], v43 offset:9328
	s_waitcnt lgkmcnt(0)
	v_pk_fma_f16 v52, v17, v44, v52 op_sel_hi:[1,0,1]
	v_pk_fma_f16 v51, v17, v44, v51 op_sel:[0,1,0]
	v_pk_fma_f16 v53, v17, v45, v53 op_sel_hi:[1,0,1]
	v_pk_fma_f16 v48, v17, v45, v48 op_sel:[0,1,0]
	;; [unrolled: 2-line block ×4, first 2 shown]
	ds_load_2addr_b32 v[16:17], v57 offset1:32
	ds_load_b128 v[44:47], v43 offset:9344
	s_waitcnt lgkmcnt(0)
	v_pk_fma_f16 v52, v16, v44, v52 op_sel_hi:[1,0,1]
	v_pk_fma_f16 v51, v16, v44, v51 op_sel:[0,1,0]
	v_pk_fma_f16 v53, v16, v45, v53 op_sel_hi:[1,0,1]
	v_pk_fma_f16 v48, v16, v45, v48 op_sel:[0,1,0]
	v_pk_fma_f16 v55, v16, v46, v55 op_sel_hi:[1,0,1]
	v_pk_fma_f16 v49, v16, v46, v49 op_sel:[0,1,0]
	v_pk_fma_f16 v50, v16, v47, v50 op_sel_hi:[1,0,1]
	v_pk_fma_f16 v16, v16, v47, v56 op_sel:[0,1,0]
	ds_load_b128 v[44:47], v43 offset:9360
	s_waitcnt lgkmcnt(0)
	v_pk_fma_f16 v52, v17, v44, v52 op_sel_hi:[1,0,1]
	v_pk_fma_f16 v51, v17, v44, v51 op_sel:[0,1,0]
	v_pk_fma_f16 v53, v17, v45, v53 op_sel_hi:[1,0,1]
	v_pk_fma_f16 v48, v17, v45, v48 op_sel:[0,1,0]
	v_pk_fma_f16 v55, v17, v46, v55 op_sel_hi:[1,0,1]
	v_pk_fma_f16 v49, v17, v46, v49 op_sel:[0,1,0]
	v_pk_fma_f16 v50, v17, v47, v50 op_sel_hi:[1,0,1]
	v_pk_fma_f16 v56, v17, v47, v16 op_sel:[0,1,0]
	ds_load_2addr_b32 v[16:17], v57 offset0:64 offset1:96
	ds_load_b128 v[44:47], v43 offset:9376
	s_waitcnt lgkmcnt(0)
	v_pk_fma_f16 v52, v16, v44, v52 op_sel_hi:[1,0,1]
	v_pk_fma_f16 v51, v16, v44, v51 op_sel:[0,1,0]
	v_pk_fma_f16 v53, v16, v45, v53 op_sel_hi:[1,0,1]
	v_pk_fma_f16 v48, v16, v45, v48 op_sel:[0,1,0]
	v_pk_fma_f16 v55, v16, v46, v55 op_sel_hi:[1,0,1]
	v_pk_fma_f16 v49, v16, v46, v49 op_sel:[0,1,0]
	v_pk_fma_f16 v50, v16, v47, v50 op_sel_hi:[1,0,1]
	v_pk_fma_f16 v16, v16, v47, v56 op_sel:[0,1,0]
	ds_load_b128 v[44:47], v43 offset:9392
	s_waitcnt lgkmcnt(0)
	v_pk_fma_f16 v52, v17, v44, v52 op_sel_hi:[1,0,1]
	v_pk_fma_f16 v51, v17, v44, v51 op_sel:[0,1,0]
	v_pk_fma_f16 v53, v17, v45, v53 op_sel_hi:[1,0,1]
	v_pk_fma_f16 v48, v17, v45, v48 op_sel:[0,1,0]
	v_pk_fma_f16 v55, v17, v46, v55 op_sel_hi:[1,0,1]
	v_pk_fma_f16 v49, v17, v46, v49 op_sel:[0,1,0]
	v_pk_fma_f16 v50, v17, v47, v50 op_sel_hi:[1,0,1]
	v_pk_fma_f16 v56, v17, v47, v16 op_sel:[0,1,0]
	ds_load_2addr_b32 v[16:17], v57 offset0:128 offset1:160
	;; [unrolled: 21-line block ×3, first 2 shown]
	ds_load_b128 v[44:47], v43 offset:9440
	v_add_nc_u32_e32 v57, 0x800, v42
	s_waitcnt lgkmcnt(0)
	v_pk_fma_f16 v52, v16, v44, v52 op_sel_hi:[1,0,1]
	v_pk_fma_f16 v51, v16, v44, v51 op_sel:[0,1,0]
	v_pk_fma_f16 v53, v16, v45, v53 op_sel_hi:[1,0,1]
	v_pk_fma_f16 v48, v16, v45, v48 op_sel:[0,1,0]
	;; [unrolled: 2-line block ×4, first 2 shown]
	ds_load_b128 v[44:47], v43 offset:9456
	s_waitcnt lgkmcnt(0)
	v_pk_fma_f16 v52, v17, v44, v52 op_sel_hi:[1,0,1]
	v_pk_fma_f16 v51, v17, v44, v51 op_sel:[0,1,0]
	v_pk_fma_f16 v53, v17, v45, v53 op_sel_hi:[1,0,1]
	v_pk_fma_f16 v48, v17, v45, v48 op_sel:[0,1,0]
	;; [unrolled: 2-line block ×4, first 2 shown]
	ds_load_2addr_b32 v[16:17], v57 offset1:32
	ds_load_b128 v[44:47], v43 offset:9472
	s_waitcnt lgkmcnt(0)
	v_pk_fma_f16 v52, v16, v44, v52 op_sel_hi:[1,0,1]
	v_pk_fma_f16 v51, v16, v44, v51 op_sel:[0,1,0]
	v_pk_fma_f16 v53, v16, v45, v53 op_sel_hi:[1,0,1]
	v_pk_fma_f16 v48, v16, v45, v48 op_sel:[0,1,0]
	v_pk_fma_f16 v55, v16, v46, v55 op_sel_hi:[1,0,1]
	v_pk_fma_f16 v49, v16, v46, v49 op_sel:[0,1,0]
	v_pk_fma_f16 v50, v16, v47, v50 op_sel_hi:[1,0,1]
	v_pk_fma_f16 v16, v16, v47, v56 op_sel:[0,1,0]
	ds_load_b128 v[44:47], v43 offset:9488
	s_waitcnt lgkmcnt(0)
	v_pk_fma_f16 v52, v17, v44, v52 op_sel_hi:[1,0,1]
	v_pk_fma_f16 v51, v17, v44, v51 op_sel:[0,1,0]
	v_pk_fma_f16 v53, v17, v45, v53 op_sel_hi:[1,0,1]
	v_pk_fma_f16 v48, v17, v45, v48 op_sel:[0,1,0]
	v_pk_fma_f16 v55, v17, v46, v55 op_sel_hi:[1,0,1]
	v_pk_fma_f16 v49, v17, v46, v49 op_sel:[0,1,0]
	v_pk_fma_f16 v50, v17, v47, v50 op_sel_hi:[1,0,1]
	v_pk_fma_f16 v56, v17, v47, v16 op_sel:[0,1,0]
	ds_load_2addr_b32 v[16:17], v57 offset0:64 offset1:96
	ds_load_b128 v[44:47], v43 offset:9504
	s_waitcnt lgkmcnt(0)
	v_pk_fma_f16 v52, v16, v44, v52 op_sel_hi:[1,0,1]
	v_pk_fma_f16 v51, v16, v44, v51 op_sel:[0,1,0]
	v_pk_fma_f16 v53, v16, v45, v53 op_sel_hi:[1,0,1]
	v_pk_fma_f16 v48, v16, v45, v48 op_sel:[0,1,0]
	v_pk_fma_f16 v55, v16, v46, v55 op_sel_hi:[1,0,1]
	v_pk_fma_f16 v49, v16, v46, v49 op_sel:[0,1,0]
	v_pk_fma_f16 v50, v16, v47, v50 op_sel_hi:[1,0,1]
	v_pk_fma_f16 v16, v16, v47, v56 op_sel:[0,1,0]
	ds_load_b128 v[44:47], v43 offset:9520
	s_waitcnt lgkmcnt(0)
	v_pk_fma_f16 v52, v17, v44, v52 op_sel_hi:[1,0,1]
	v_pk_fma_f16 v51, v17, v44, v51 op_sel:[0,1,0]
	v_pk_fma_f16 v53, v17, v45, v53 op_sel_hi:[1,0,1]
	v_pk_fma_f16 v48, v17, v45, v48 op_sel:[0,1,0]
	v_pk_fma_f16 v55, v17, v46, v55 op_sel_hi:[1,0,1]
	v_pk_fma_f16 v49, v17, v46, v49 op_sel:[0,1,0]
	v_pk_fma_f16 v50, v17, v47, v50 op_sel_hi:[1,0,1]
	v_pk_fma_f16 v56, v17, v47, v16 op_sel:[0,1,0]
	ds_load_2addr_b32 v[16:17], v57 offset0:128 offset1:160
	ds_load_b128 v[44:47], v43 offset:9536
	s_waitcnt lgkmcnt(0)
	v_pk_fma_f16 v52, v16, v44, v52 op_sel_hi:[1,0,1]
	v_pk_fma_f16 v51, v16, v44, v51 op_sel:[0,1,0]
	v_pk_fma_f16 v53, v16, v45, v53 op_sel_hi:[1,0,1]
	v_pk_fma_f16 v48, v16, v45, v48 op_sel:[0,1,0]
	v_pk_fma_f16 v55, v16, v46, v55 op_sel_hi:[1,0,1]
	v_pk_fma_f16 v49, v16, v46, v49 op_sel:[0,1,0]
	v_pk_fma_f16 v50, v16, v47, v50 op_sel_hi:[1,0,1]
	v_pk_fma_f16 v16, v16, v47, v56 op_sel:[0,1,0]
	ds_load_b128 v[44:47], v43 offset:9552
	s_waitcnt lgkmcnt(0)
	v_pk_fma_f16 v52, v17, v44, v52 op_sel_hi:[1,0,1]
	v_pk_fma_f16 v51, v17, v44, v51 op_sel:[0,1,0]
	v_pk_fma_f16 v53, v17, v45, v53 op_sel_hi:[1,0,1]
	v_pk_fma_f16 v48, v17, v45, v48 op_sel:[0,1,0]
	v_pk_fma_f16 v55, v17, v46, v55 op_sel_hi:[1,0,1]
	v_pk_fma_f16 v49, v17, v46, v49 op_sel:[0,1,0]
	v_pk_fma_f16 v50, v17, v47, v50 op_sel_hi:[1,0,1]
	v_pk_fma_f16 v56, v17, v47, v16 op_sel:[0,1,0]
	ds_load_2addr_b32 v[16:17], v57 offset0:192 offset1:224
	ds_load_b128 v[44:47], v43 offset:9568
	v_add_nc_u32_e32 v57, 0xc00, v42
	s_waitcnt lgkmcnt(0)
	v_pk_fma_f16 v52, v16, v44, v52 op_sel_hi:[1,0,1]
	v_pk_fma_f16 v51, v16, v44, v51 op_sel:[0,1,0]
	v_pk_fma_f16 v53, v16, v45, v53 op_sel_hi:[1,0,1]
	v_pk_fma_f16 v48, v16, v45, v48 op_sel:[0,1,0]
	;; [unrolled: 2-line block ×4, first 2 shown]
	ds_load_b128 v[44:47], v43 offset:9584
	s_waitcnt lgkmcnt(0)
	v_pk_fma_f16 v52, v17, v44, v52 op_sel_hi:[1,0,1]
	v_pk_fma_f16 v51, v17, v44, v51 op_sel:[0,1,0]
	v_pk_fma_f16 v53, v17, v45, v53 op_sel_hi:[1,0,1]
	v_pk_fma_f16 v48, v17, v45, v48 op_sel:[0,1,0]
	;; [unrolled: 2-line block ×4, first 2 shown]
	ds_load_2addr_b32 v[16:17], v57 offset1:32
	ds_load_b128 v[44:47], v43 offset:9600
	s_waitcnt lgkmcnt(0)
	v_pk_fma_f16 v52, v16, v44, v52 op_sel_hi:[1,0,1]
	v_pk_fma_f16 v51, v16, v44, v51 op_sel:[0,1,0]
	v_pk_fma_f16 v53, v16, v45, v53 op_sel_hi:[1,0,1]
	v_pk_fma_f16 v48, v16, v45, v48 op_sel:[0,1,0]
	v_pk_fma_f16 v55, v16, v46, v55 op_sel_hi:[1,0,1]
	v_pk_fma_f16 v49, v16, v46, v49 op_sel:[0,1,0]
	v_pk_fma_f16 v50, v16, v47, v50 op_sel_hi:[1,0,1]
	v_pk_fma_f16 v16, v16, v47, v56 op_sel:[0,1,0]
	ds_load_b128 v[44:47], v43 offset:9616
	s_waitcnt lgkmcnt(0)
	v_pk_fma_f16 v52, v17, v44, v52 op_sel_hi:[1,0,1]
	v_pk_fma_f16 v51, v17, v44, v51 op_sel:[0,1,0]
	v_pk_fma_f16 v53, v17, v45, v53 op_sel_hi:[1,0,1]
	v_pk_fma_f16 v48, v17, v45, v48 op_sel:[0,1,0]
	v_pk_fma_f16 v55, v17, v46, v55 op_sel_hi:[1,0,1]
	v_pk_fma_f16 v49, v17, v46, v49 op_sel:[0,1,0]
	v_pk_fma_f16 v50, v17, v47, v50 op_sel_hi:[1,0,1]
	v_pk_fma_f16 v56, v17, v47, v16 op_sel:[0,1,0]
	ds_load_2addr_b32 v[16:17], v57 offset0:64 offset1:96
	ds_load_b128 v[44:47], v43 offset:9632
	s_waitcnt lgkmcnt(0)
	v_pk_fma_f16 v52, v16, v44, v52 op_sel_hi:[1,0,1]
	v_pk_fma_f16 v51, v16, v44, v51 op_sel:[0,1,0]
	v_pk_fma_f16 v53, v16, v45, v53 op_sel_hi:[1,0,1]
	v_pk_fma_f16 v48, v16, v45, v48 op_sel:[0,1,0]
	v_pk_fma_f16 v55, v16, v46, v55 op_sel_hi:[1,0,1]
	v_pk_fma_f16 v49, v16, v46, v49 op_sel:[0,1,0]
	v_pk_fma_f16 v50, v16, v47, v50 op_sel_hi:[1,0,1]
	v_pk_fma_f16 v16, v16, v47, v56 op_sel:[0,1,0]
	ds_load_b128 v[44:47], v43 offset:9648
	s_waitcnt lgkmcnt(0)
	v_pk_fma_f16 v52, v17, v44, v52 op_sel_hi:[1,0,1]
	v_pk_fma_f16 v51, v17, v44, v51 op_sel:[0,1,0]
	v_pk_fma_f16 v53, v17, v45, v53 op_sel_hi:[1,0,1]
	v_pk_fma_f16 v48, v17, v45, v48 op_sel:[0,1,0]
	v_pk_fma_f16 v55, v17, v46, v55 op_sel_hi:[1,0,1]
	v_pk_fma_f16 v49, v17, v46, v49 op_sel:[0,1,0]
	v_pk_fma_f16 v50, v17, v47, v50 op_sel_hi:[1,0,1]
	v_pk_fma_f16 v56, v17, v47, v16 op_sel:[0,1,0]
	ds_load_2addr_b32 v[16:17], v57 offset0:128 offset1:160
	ds_load_b128 v[44:47], v43 offset:9664
	s_waitcnt lgkmcnt(0)
	v_pk_fma_f16 v52, v16, v44, v52 op_sel_hi:[1,0,1]
	v_pk_fma_f16 v51, v16, v44, v51 op_sel:[0,1,0]
	v_pk_fma_f16 v53, v16, v45, v53 op_sel_hi:[1,0,1]
	v_pk_fma_f16 v48, v16, v45, v48 op_sel:[0,1,0]
	v_pk_fma_f16 v55, v16, v46, v55 op_sel_hi:[1,0,1]
	v_pk_fma_f16 v49, v16, v46, v49 op_sel:[0,1,0]
	v_pk_fma_f16 v50, v16, v47, v50 op_sel_hi:[1,0,1]
	v_pk_fma_f16 v16, v16, v47, v56 op_sel:[0,1,0]
	ds_load_b128 v[44:47], v43 offset:9680
	s_waitcnt lgkmcnt(0)
	v_pk_fma_f16 v52, v17, v44, v52 op_sel_hi:[1,0,1]
	v_pk_fma_f16 v51, v17, v44, v51 op_sel:[0,1,0]
	v_pk_fma_f16 v53, v17, v45, v53 op_sel_hi:[1,0,1]
	v_pk_fma_f16 v48, v17, v45, v48 op_sel:[0,1,0]
	v_pk_fma_f16 v55, v17, v46, v55 op_sel_hi:[1,0,1]
	v_pk_fma_f16 v49, v17, v46, v49 op_sel:[0,1,0]
	v_pk_fma_f16 v50, v17, v47, v50 op_sel_hi:[1,0,1]
	v_pk_fma_f16 v56, v17, v47, v16 op_sel:[0,1,0]
	ds_load_2addr_b32 v[16:17], v57 offset0:192 offset1:224
	ds_load_b128 v[44:47], v43 offset:9696
	v_add_nc_u32_e32 v57, 0x1000, v42
	s_waitcnt lgkmcnt(0)
	v_pk_fma_f16 v52, v16, v44, v52 op_sel_hi:[1,0,1]
	v_pk_fma_f16 v51, v16, v44, v51 op_sel:[0,1,0]
	v_pk_fma_f16 v53, v16, v45, v53 op_sel_hi:[1,0,1]
	v_pk_fma_f16 v48, v16, v45, v48 op_sel:[0,1,0]
	;; [unrolled: 2-line block ×4, first 2 shown]
	ds_load_b128 v[44:47], v43 offset:9712
	s_waitcnt lgkmcnt(0)
	v_pk_fma_f16 v52, v17, v44, v52 op_sel_hi:[1,0,1]
	v_pk_fma_f16 v51, v17, v44, v51 op_sel:[0,1,0]
	v_pk_fma_f16 v53, v17, v45, v53 op_sel_hi:[1,0,1]
	v_pk_fma_f16 v48, v17, v45, v48 op_sel:[0,1,0]
	;; [unrolled: 2-line block ×4, first 2 shown]
	ds_load_2addr_b32 v[16:17], v57 offset1:32
	ds_load_b128 v[44:47], v43 offset:9728
	s_waitcnt lgkmcnt(0)
	v_pk_fma_f16 v52, v16, v44, v52 op_sel_hi:[1,0,1]
	v_pk_fma_f16 v51, v16, v44, v51 op_sel:[0,1,0]
	v_pk_fma_f16 v53, v16, v45, v53 op_sel_hi:[1,0,1]
	v_pk_fma_f16 v48, v16, v45, v48 op_sel:[0,1,0]
	v_pk_fma_f16 v55, v16, v46, v55 op_sel_hi:[1,0,1]
	v_pk_fma_f16 v49, v16, v46, v49 op_sel:[0,1,0]
	v_pk_fma_f16 v50, v16, v47, v50 op_sel_hi:[1,0,1]
	v_pk_fma_f16 v16, v16, v47, v56 op_sel:[0,1,0]
	ds_load_b128 v[44:47], v43 offset:9744
	s_waitcnt lgkmcnt(0)
	v_pk_fma_f16 v52, v17, v44, v52 op_sel_hi:[1,0,1]
	v_pk_fma_f16 v51, v17, v44, v51 op_sel:[0,1,0]
	v_pk_fma_f16 v53, v17, v45, v53 op_sel_hi:[1,0,1]
	v_pk_fma_f16 v48, v17, v45, v48 op_sel:[0,1,0]
	v_pk_fma_f16 v55, v17, v46, v55 op_sel_hi:[1,0,1]
	v_pk_fma_f16 v49, v17, v46, v49 op_sel:[0,1,0]
	v_pk_fma_f16 v50, v17, v47, v50 op_sel_hi:[1,0,1]
	v_pk_fma_f16 v56, v17, v47, v16 op_sel:[0,1,0]
	ds_load_2addr_b32 v[16:17], v57 offset0:64 offset1:96
	ds_load_b128 v[44:47], v43 offset:9760
	s_waitcnt lgkmcnt(0)
	v_pk_fma_f16 v52, v16, v44, v52 op_sel_hi:[1,0,1]
	v_pk_fma_f16 v51, v16, v44, v51 op_sel:[0,1,0]
	v_pk_fma_f16 v53, v16, v45, v53 op_sel_hi:[1,0,1]
	v_pk_fma_f16 v48, v16, v45, v48 op_sel:[0,1,0]
	v_pk_fma_f16 v55, v16, v46, v55 op_sel_hi:[1,0,1]
	v_pk_fma_f16 v49, v16, v46, v49 op_sel:[0,1,0]
	v_pk_fma_f16 v50, v16, v47, v50 op_sel_hi:[1,0,1]
	v_pk_fma_f16 v16, v16, v47, v56 op_sel:[0,1,0]
	ds_load_b128 v[44:47], v43 offset:9776
	s_waitcnt lgkmcnt(0)
	v_pk_fma_f16 v52, v17, v44, v52 op_sel_hi:[1,0,1]
	v_pk_fma_f16 v51, v17, v44, v51 op_sel:[0,1,0]
	v_pk_fma_f16 v53, v17, v45, v53 op_sel_hi:[1,0,1]
	v_pk_fma_f16 v48, v17, v45, v48 op_sel:[0,1,0]
	v_pk_fma_f16 v55, v17, v46, v55 op_sel_hi:[1,0,1]
	v_pk_fma_f16 v49, v17, v46, v49 op_sel:[0,1,0]
	v_pk_fma_f16 v50, v17, v47, v50 op_sel_hi:[1,0,1]
	v_pk_fma_f16 v56, v17, v47, v16 op_sel:[0,1,0]
	ds_load_2addr_b32 v[16:17], v57 offset0:128 offset1:160
	;; [unrolled: 21-line block ×3, first 2 shown]
	ds_load_b128 v[44:47], v43 offset:9824
	v_add_nc_u32_e32 v57, 0x1400, v42
	s_waitcnt lgkmcnt(0)
	v_pk_fma_f16 v52, v16, v44, v52 op_sel_hi:[1,0,1]
	v_pk_fma_f16 v51, v16, v44, v51 op_sel:[0,1,0]
	v_pk_fma_f16 v53, v16, v45, v53 op_sel_hi:[1,0,1]
	v_pk_fma_f16 v48, v16, v45, v48 op_sel:[0,1,0]
	v_pk_fma_f16 v55, v16, v46, v55 op_sel_hi:[1,0,1]
	v_pk_fma_f16 v49, v16, v46, v49 op_sel:[0,1,0]
	v_pk_fma_f16 v50, v16, v47, v50 op_sel_hi:[1,0,1]
	v_pk_fma_f16 v16, v16, v47, v56 op_sel:[0,1,0]
	ds_load_b128 v[44:47], v43 offset:9840
	s_waitcnt lgkmcnt(0)
	v_pk_fma_f16 v52, v17, v44, v52 op_sel_hi:[1,0,1]
	v_pk_fma_f16 v51, v17, v44, v51 op_sel:[0,1,0]
	v_pk_fma_f16 v53, v17, v45, v53 op_sel_hi:[1,0,1]
	v_pk_fma_f16 v48, v17, v45, v48 op_sel:[0,1,0]
	;; [unrolled: 2-line block ×4, first 2 shown]
	ds_load_2addr_b32 v[16:17], v57 offset1:32
	ds_load_b128 v[44:47], v43 offset:9856
	s_waitcnt lgkmcnt(0)
	v_pk_fma_f16 v52, v16, v44, v52 op_sel_hi:[1,0,1]
	v_pk_fma_f16 v51, v16, v44, v51 op_sel:[0,1,0]
	v_pk_fma_f16 v53, v16, v45, v53 op_sel_hi:[1,0,1]
	v_pk_fma_f16 v48, v16, v45, v48 op_sel:[0,1,0]
	v_pk_fma_f16 v55, v16, v46, v55 op_sel_hi:[1,0,1]
	v_pk_fma_f16 v49, v16, v46, v49 op_sel:[0,1,0]
	v_pk_fma_f16 v50, v16, v47, v50 op_sel_hi:[1,0,1]
	v_pk_fma_f16 v16, v16, v47, v56 op_sel:[0,1,0]
	ds_load_b128 v[44:47], v43 offset:9872
	s_waitcnt lgkmcnt(0)
	v_pk_fma_f16 v52, v17, v44, v52 op_sel_hi:[1,0,1]
	v_pk_fma_f16 v51, v17, v44, v51 op_sel:[0,1,0]
	v_pk_fma_f16 v53, v17, v45, v53 op_sel_hi:[1,0,1]
	v_pk_fma_f16 v48, v17, v45, v48 op_sel:[0,1,0]
	v_pk_fma_f16 v55, v17, v46, v55 op_sel_hi:[1,0,1]
	v_pk_fma_f16 v49, v17, v46, v49 op_sel:[0,1,0]
	v_pk_fma_f16 v50, v17, v47, v50 op_sel_hi:[1,0,1]
	v_pk_fma_f16 v56, v17, v47, v16 op_sel:[0,1,0]
	ds_load_2addr_b32 v[16:17], v57 offset0:64 offset1:96
	ds_load_b128 v[44:47], v43 offset:9888
	s_waitcnt lgkmcnt(0)
	v_pk_fma_f16 v52, v16, v44, v52 op_sel_hi:[1,0,1]
	v_pk_fma_f16 v51, v16, v44, v51 op_sel:[0,1,0]
	v_pk_fma_f16 v53, v16, v45, v53 op_sel_hi:[1,0,1]
	v_pk_fma_f16 v48, v16, v45, v48 op_sel:[0,1,0]
	v_pk_fma_f16 v55, v16, v46, v55 op_sel_hi:[1,0,1]
	v_pk_fma_f16 v49, v16, v46, v49 op_sel:[0,1,0]
	v_pk_fma_f16 v50, v16, v47, v50 op_sel_hi:[1,0,1]
	v_pk_fma_f16 v16, v16, v47, v56 op_sel:[0,1,0]
	ds_load_b128 v[44:47], v43 offset:9904
	s_waitcnt lgkmcnt(0)
	v_pk_fma_f16 v52, v17, v44, v52 op_sel_hi:[1,0,1]
	v_pk_fma_f16 v51, v17, v44, v51 op_sel:[0,1,0]
	v_pk_fma_f16 v53, v17, v45, v53 op_sel_hi:[1,0,1]
	v_pk_fma_f16 v48, v17, v45, v48 op_sel:[0,1,0]
	v_pk_fma_f16 v55, v17, v46, v55 op_sel_hi:[1,0,1]
	v_pk_fma_f16 v49, v17, v46, v49 op_sel:[0,1,0]
	v_pk_fma_f16 v50, v17, v47, v50 op_sel_hi:[1,0,1]
	v_pk_fma_f16 v56, v17, v47, v16 op_sel:[0,1,0]
	ds_load_2addr_b32 v[16:17], v57 offset0:128 offset1:160
	;; [unrolled: 21-line block ×3, first 2 shown]
	ds_load_b128 v[44:47], v43 offset:9952
	v_add_nc_u32_e32 v57, 0x1800, v42
	v_add_nc_u32_e32 v42, 0x1c00, v42
	s_waitcnt lgkmcnt(0)
	v_pk_fma_f16 v52, v16, v44, v52 op_sel_hi:[1,0,1]
	v_pk_fma_f16 v51, v16, v44, v51 op_sel:[0,1,0]
	v_pk_fma_f16 v53, v16, v45, v53 op_sel_hi:[1,0,1]
	v_pk_fma_f16 v48, v16, v45, v48 op_sel:[0,1,0]
	;; [unrolled: 2-line block ×4, first 2 shown]
	ds_load_b128 v[44:47], v43 offset:9968
	s_waitcnt lgkmcnt(0)
	v_pk_fma_f16 v52, v17, v44, v52 op_sel_hi:[1,0,1]
	v_pk_fma_f16 v51, v17, v44, v51 op_sel:[0,1,0]
	v_pk_fma_f16 v53, v17, v45, v53 op_sel_hi:[1,0,1]
	v_pk_fma_f16 v48, v17, v45, v48 op_sel:[0,1,0]
	;; [unrolled: 2-line block ×4, first 2 shown]
	ds_load_2addr_b32 v[16:17], v57 offset1:32
	ds_load_b128 v[44:47], v43 offset:9984
	s_waitcnt lgkmcnt(0)
	v_pk_fma_f16 v52, v16, v44, v52 op_sel_hi:[1,0,1]
	v_pk_fma_f16 v51, v16, v44, v51 op_sel:[0,1,0]
	v_pk_fma_f16 v53, v16, v45, v53 op_sel_hi:[1,0,1]
	v_pk_fma_f16 v48, v16, v45, v48 op_sel:[0,1,0]
	v_pk_fma_f16 v55, v16, v46, v55 op_sel_hi:[1,0,1]
	v_pk_fma_f16 v49, v16, v46, v49 op_sel:[0,1,0]
	v_pk_fma_f16 v50, v16, v47, v50 op_sel_hi:[1,0,1]
	v_pk_fma_f16 v16, v16, v47, v56 op_sel:[0,1,0]
	ds_load_b128 v[44:47], v43 offset:10000
	s_waitcnt lgkmcnt(0)
	v_pk_fma_f16 v52, v17, v44, v52 op_sel_hi:[1,0,1]
	v_pk_fma_f16 v51, v17, v44, v51 op_sel:[0,1,0]
	v_pk_fma_f16 v53, v17, v45, v53 op_sel_hi:[1,0,1]
	v_pk_fma_f16 v48, v17, v45, v48 op_sel:[0,1,0]
	v_pk_fma_f16 v55, v17, v46, v55 op_sel_hi:[1,0,1]
	v_pk_fma_f16 v49, v17, v46, v49 op_sel:[0,1,0]
	v_pk_fma_f16 v50, v17, v47, v50 op_sel_hi:[1,0,1]
	v_pk_fma_f16 v56, v17, v47, v16 op_sel:[0,1,0]
	ds_load_2addr_b32 v[16:17], v57 offset0:64 offset1:96
	ds_load_b128 v[44:47], v43 offset:10016
	s_waitcnt lgkmcnt(0)
	v_pk_fma_f16 v52, v16, v44, v52 op_sel_hi:[1,0,1]
	v_pk_fma_f16 v51, v16, v44, v51 op_sel:[0,1,0]
	v_pk_fma_f16 v53, v16, v45, v53 op_sel_hi:[1,0,1]
	v_pk_fma_f16 v48, v16, v45, v48 op_sel:[0,1,0]
	v_pk_fma_f16 v55, v16, v46, v55 op_sel_hi:[1,0,1]
	v_pk_fma_f16 v49, v16, v46, v49 op_sel:[0,1,0]
	v_pk_fma_f16 v50, v16, v47, v50 op_sel_hi:[1,0,1]
	v_pk_fma_f16 v16, v16, v47, v56 op_sel:[0,1,0]
	ds_load_b128 v[44:47], v43 offset:10032
	s_waitcnt lgkmcnt(0)
	v_pk_fma_f16 v52, v17, v44, v52 op_sel_hi:[1,0,1]
	v_pk_fma_f16 v51, v17, v44, v51 op_sel:[0,1,0]
	v_pk_fma_f16 v53, v17, v45, v53 op_sel_hi:[1,0,1]
	v_pk_fma_f16 v48, v17, v45, v48 op_sel:[0,1,0]
	v_pk_fma_f16 v55, v17, v46, v55 op_sel_hi:[1,0,1]
	v_pk_fma_f16 v49, v17, v46, v49 op_sel:[0,1,0]
	v_pk_fma_f16 v50, v17, v47, v50 op_sel_hi:[1,0,1]
	v_pk_fma_f16 v56, v17, v47, v16 op_sel:[0,1,0]
	ds_load_2addr_b32 v[16:17], v57 offset0:128 offset1:160
	;; [unrolled: 21-line block ×3, first 2 shown]
	ds_load_b128 v[44:47], v43 offset:10080
	s_waitcnt lgkmcnt(0)
	v_pk_fma_f16 v52, v16, v44, v52 op_sel_hi:[1,0,1]
	v_pk_fma_f16 v51, v16, v44, v51 op_sel:[0,1,0]
	v_pk_fma_f16 v53, v16, v45, v53 op_sel_hi:[1,0,1]
	v_pk_fma_f16 v48, v16, v45, v48 op_sel:[0,1,0]
	;; [unrolled: 2-line block ×4, first 2 shown]
	ds_load_b128 v[44:47], v43 offset:10096
	s_waitcnt lgkmcnt(0)
	v_pk_fma_f16 v52, v17, v44, v52 op_sel_hi:[1,0,1]
	v_pk_fma_f16 v51, v17, v44, v51 op_sel:[0,1,0]
	v_pk_fma_f16 v53, v17, v45, v53 op_sel_hi:[1,0,1]
	v_pk_fma_f16 v48, v17, v45, v48 op_sel:[0,1,0]
	;; [unrolled: 2-line block ×4, first 2 shown]
	ds_load_2addr_b32 v[16:17], v42 offset1:32
	ds_load_b128 v[44:47], v43 offset:10112
	s_waitcnt lgkmcnt(0)
	v_pk_fma_f16 v52, v16, v44, v52 op_sel_hi:[1,0,1]
	v_pk_fma_f16 v51, v16, v44, v51 op_sel:[0,1,0]
	v_pk_fma_f16 v53, v16, v45, v53 op_sel_hi:[1,0,1]
	v_pk_fma_f16 v48, v16, v45, v48 op_sel:[0,1,0]
	v_pk_fma_f16 v55, v16, v46, v55 op_sel_hi:[1,0,1]
	v_pk_fma_f16 v49, v16, v46, v49 op_sel:[0,1,0]
	v_pk_fma_f16 v50, v16, v47, v50 op_sel_hi:[1,0,1]
	v_pk_fma_f16 v16, v16, v47, v56 op_sel:[0,1,0]
	ds_load_b128 v[44:47], v43 offset:10128
	s_waitcnt lgkmcnt(0)
	v_pk_fma_f16 v52, v17, v44, v52 op_sel_hi:[1,0,1]
	v_pk_fma_f16 v51, v17, v44, v51 op_sel:[0,1,0]
	v_pk_fma_f16 v53, v17, v45, v53 op_sel_hi:[1,0,1]
	v_pk_fma_f16 v48, v17, v45, v48 op_sel:[0,1,0]
	v_pk_fma_f16 v55, v17, v46, v55 op_sel_hi:[1,0,1]
	v_pk_fma_f16 v49, v17, v46, v49 op_sel:[0,1,0]
	v_pk_fma_f16 v50, v17, v47, v50 op_sel_hi:[1,0,1]
	v_pk_fma_f16 v56, v17, v47, v16 op_sel:[0,1,0]
	ds_load_2addr_b32 v[16:17], v42 offset0:64 offset1:96
	ds_load_b128 v[44:47], v43 offset:10144
	s_waitcnt lgkmcnt(0)
	v_pk_fma_f16 v52, v16, v44, v52 op_sel_hi:[1,0,1]
	v_pk_fma_f16 v51, v16, v44, v51 op_sel:[0,1,0]
	v_pk_fma_f16 v53, v16, v45, v53 op_sel_hi:[1,0,1]
	v_pk_fma_f16 v48, v16, v45, v48 op_sel:[0,1,0]
	v_pk_fma_f16 v55, v16, v46, v55 op_sel_hi:[1,0,1]
	v_pk_fma_f16 v49, v16, v46, v49 op_sel:[0,1,0]
	v_pk_fma_f16 v50, v16, v47, v50 op_sel_hi:[1,0,1]
	v_pk_fma_f16 v16, v16, v47, v56 op_sel:[0,1,0]
	ds_load_b128 v[44:47], v43 offset:10160
	s_waitcnt lgkmcnt(0)
	v_pk_fma_f16 v52, v17, v44, v52 op_sel_hi:[1,0,1]
	v_pk_fma_f16 v51, v17, v44, v51 op_sel:[0,1,0]
	v_pk_fma_f16 v53, v17, v45, v53 op_sel_hi:[1,0,1]
	v_pk_fma_f16 v48, v17, v45, v48 op_sel:[0,1,0]
	v_pk_fma_f16 v55, v17, v46, v55 op_sel_hi:[1,0,1]
	v_pk_fma_f16 v49, v17, v46, v49 op_sel:[0,1,0]
	v_pk_fma_f16 v50, v17, v47, v50 op_sel_hi:[1,0,1]
	v_pk_fma_f16 v56, v17, v47, v16 op_sel:[0,1,0]
	ds_load_2addr_b32 v[16:17], v42 offset0:128 offset1:160
	;; [unrolled: 21-line block ×3, first 2 shown]
	ds_load_b128 v[44:47], v43 offset:10208
	s_waitcnt lgkmcnt(0)
	v_pk_fma_f16 v42, v16, v44, v52 op_sel_hi:[1,0,1]
	v_pk_fma_f16 v44, v16, v44, v51 op_sel:[0,1,0]
	v_pk_fma_f16 v53, v16, v45, v53 op_sel_hi:[1,0,1]
	v_pk_fma_f16 v45, v16, v45, v48 op_sel:[0,1,0]
	;; [unrolled: 2-line block ×4, first 2 shown]
	ds_load_b128 v[55:58], v43 offset:10224
	s_waitcnt lgkmcnt(0)
	s_barrier
	buffer_gl0_inv
	v_pk_fma_f16 v52, v17, v55, v42 op_sel_hi:[1,0,1]
	v_pk_fma_f16 v51, v17, v55, v44 op_sel:[0,1,0]
	v_pk_fma_f16 v49, v17, v56, v53 op_sel_hi:[1,0,1]
	v_pk_fma_f16 v48, v17, v56, v45 op_sel:[0,1,0]
	;; [unrolled: 2-line block ×4, first 2 shown]
.LBB56_128:
	v_cmp_lt_i32_e32 vcc_lo, v23, v20
	s_cmp_eq_u64 s[24:25], 0
	s_cselect_b32 s2, -1, 0
	s_cmp_lg_u32 s14, 0
	v_cndmask_b32_e32 v9, v8, v23, vcc_lo
	v_cmp_lt_i32_e32 vcc_lo, v22, v20
	s_cselect_b32 s3, -1, 0
	s_delay_alu instid0(SALU_CYCLE_1) | instskip(NEXT) | instid1(VALU_DEP_2)
	s_or_b32 s2, s3, s2
	v_lshlrev_b32_e32 v9, 2, v9
	ds_bpermute_b32 v12, v9, v68
	s_waitcnt lgkmcnt(0)
	v_add_f32_e32 v12, v68, v12
	ds_bpermute_b32 v11, v9, v69
	ds_bpermute_b32 v14, v9, v66
	;; [unrolled: 1-line block ×7, first 2 shown]
	s_waitcnt lgkmcnt(5)
	v_dual_add_f32 v11, v69, v11 :: v_dual_add_f32 v14, v66, v14
	v_cndmask_b32_e32 v17, v8, v22, vcc_lo
	v_cmp_lt_i32_e32 vcc_lo, v21, v20
	s_waitcnt lgkmcnt(4)
	v_add_f32_e32 v16, v64, v16
	s_waitcnt lgkmcnt(2)
	v_dual_add_f32 v10, v70, v10 :: v_dual_lshlrev_b32 v17, 2, v17
	ds_bpermute_b32 v41, v17, v12
	ds_bpermute_b32 v43, v17, v14
	v_add_f32_e32 v15, v65, v15
	ds_bpermute_b32 v23, v17, v11
	ds_bpermute_b32 v53, v17, v16
	;; [unrolled: 1-line block ×3, first 2 shown]
	s_waitcnt lgkmcnt(6)
	v_add_f32_e32 v13, v67, v13
	s_waitcnt lgkmcnt(4)
	v_add_f32_e32 v12, v12, v41
	ds_bpermute_b32 v50, v17, v15
	s_waitcnt lgkmcnt(4)
	v_dual_add_f32 v14, v14, v43 :: v_dual_cndmask_b32 v21, v8, v21
	v_cmp_lt_i32_e32 vcc_lo, v19, v20
	s_waitcnt lgkmcnt(2)
	v_dual_add_f32 v11, v11, v23 :: v_dual_add_f32 v16, v16, v53
	s_waitcnt lgkmcnt(1)
	v_dual_add_f32 v10, v10, v22 :: v_dual_lshlrev_b32 v21, 2, v21
	v_cndmask_b32_e32 v19, v8, v19, vcc_lo
	v_cmp_lt_i32_e32 vcc_lo, v18, v20
	ds_bpermute_b32 v42, v17, v13
	v_dual_cndmask_b32 v8, v8, v18 :: v_dual_lshlrev_b32 v19, 2, v19
	s_and_b32 vcc_lo, exec_lo, s2
	s_waitcnt lgkmcnt(1)
	s_delay_alu instid0(VALU_DEP_1)
	v_dual_add_f32 v15, v15, v50 :: v_dual_lshlrev_b32 v8, 2, v8
	ds_bpermute_b32 v50, v21, v16
	s_waitcnt lgkmcnt(0)
	v_add_f32_e32 v16, v16, v50
	ds_bpermute_b32 v23, v21, v12
	v_add_f32_e32 v9, v63, v9
	ds_bpermute_b32 v22, v21, v11
	ds_bpermute_b32 v43, v21, v15
	s_waitcnt lgkmcnt(2)
	v_add_f32_e32 v12, v12, v23
	ds_bpermute_b32 v17, v17, v9
	s_waitcnt lgkmcnt(2)
	v_add_f32_e32 v11, v11, v22
	;; [unrolled: 3-line block ×3, first 2 shown]
	ds_bpermute_b32 v17, v21, v10
	v_add_f32_e32 v13, v13, v42
	ds_bpermute_b32 v42, v21, v14
	s_waitcnt lgkmcnt(2)
	v_add_f32_e32 v12, v12, v22
	s_waitcnt lgkmcnt(1)
	v_add_f32_e32 v10, v10, v17
	ds_bpermute_b32 v41, v21, v13
	ds_bpermute_b32 v21, v21, v9
	s_waitcnt lgkmcnt(2)
	v_add_f32_e32 v14, v14, v42
	ds_bpermute_b32 v17, v19, v10
	s_waitcnt lgkmcnt(1)
	v_add_f32_e32 v9, v9, v21
	s_waitcnt lgkmcnt(0)
	v_dual_add_f32 v10, v10, v17 :: v_dual_add_f32 v15, v15, v43
	ds_bpermute_b32 v43, v19, v16
	v_add_f32_e32 v13, v13, v41
	ds_bpermute_b32 v41, v19, v14
	ds_bpermute_b32 v42, v19, v15
	s_waitcnt lgkmcnt(2)
	v_add_f32_e32 v16, v16, v43
	ds_bpermute_b32 v23, v19, v13
	s_waitcnt lgkmcnt(2)
	v_add_f32_e32 v14, v14, v41
	ds_bpermute_b32 v21, v19, v11
	ds_bpermute_b32 v19, v19, v9
	s_waitcnt lgkmcnt(3)
	v_add_f32_e32 v15, v15, v42
	ds_bpermute_b32 v22, v8, v15
	s_waitcnt lgkmcnt(3)
	v_add_f32_e32 v13, v13, v23
	;; [unrolled: 3-line block ×3, first 2 shown]
	s_waitcnt lgkmcnt(2)
	v_add_f32_e32 v17, v9, v19
	ds_bpermute_b32 v9, v8, v10
	ds_bpermute_b32 v19, v8, v12
	;; [unrolled: 1-line block ×6, first 2 shown]
	s_waitcnt lgkmcnt(5)
	v_add_f32_e32 v8, v10, v9
	s_waitcnt lgkmcnt(4)
	v_add_f32_e32 v10, v12, v19
	;; [unrolled: 2-line block ×3, first 2 shown]
	v_dual_add_f32 v14, v16, v23 :: v_dual_add_f32 v9, v11, v18
	v_add_f32_e32 v11, v13, v20
	v_add_f32_e32 v13, v15, v22
	s_waitcnt lgkmcnt(0)
	v_add_f32_e32 v15, v17, v41
	s_cbranch_vccnz .LBB56_131
; %bb.129:
	s_lshl_b64 s[2:3], s[34:35], 2
	v_dual_mov_b32 v16, 0 :: v_dual_max_f32 v17, v0, v0
	s_add_u32 s2, s24, s2
	s_addc_u32 s3, s25, s3
	v_dual_max_f32 v18, v1, v1 :: v_dual_max_f32 v19, v2, v2
	global_load_b32 v16, v16, s[2:3]
	v_max_f32_e32 v20, v3, v3
	v_dual_max_f32 v22, v4, v4 :: v_dual_max_f32 v23, v5, v5
	v_dual_max_f32 v41, v6, v6 :: v_dual_max_f32 v42, v7, v7
	s_waitcnt vmcnt(0)
	v_max_f32_e32 v21, v16, v16
	s_delay_alu instid0(VALU_DEP_1) | instskip(NEXT) | instid1(VALU_DEP_1)
	v_max_f32_e32 v56, v18, v21
	v_dual_max_f32 v55, v17, v21 :: v_dual_sub_f32 v18, v16, v56
	s_delay_alu instid0(VALU_DEP_1) | instskip(SKIP_2) | instid1(VALU_DEP_2)
	v_sub_f32_e32 v17, v16, v55
	v_dual_max_f32 v58, v20, v21 :: v_dual_sub_f32 v1, v1, v56
	v_dual_max_f32 v57, v19, v21 :: v_dual_sub_f32 v0, v0, v55
	;; [unrolled: 1-line block ×3, first 2 shown]
	v_max_f32_e32 v60, v23, v21
	v_max_f32_e32 v61, v41, v21
	v_dual_max_f32 v62, v42, v21 :: v_dual_sub_f32 v3, v3, v58
	v_sub_f32_e32 v19, v16, v57
	v_sub_f32_e32 v4, v4, v59
	v_dual_sub_f32 v21, v16, v59 :: v_dual_sub_f32 v2, v2, v57
	v_sub_f32_e32 v5, v5, v60
	v_dual_sub_f32 v22, v16, v60 :: v_dual_sub_f32 v7, v7, v62
	v_dual_sub_f32 v6, v6, v61 :: v_dual_sub_f32 v41, v16, v62
	v_dual_sub_f32 v23, v16, v61 :: v_dual_mul_f32 v50, 0x3fb8aa3b, v18
	v_mul_f32_e32 v16, 0x3fb8aa3b, v0
	v_dual_mul_f32 v42, 0x3fb8aa3b, v17 :: v_dual_mul_f32 v53, 0x3fb8aa3b, v2
	v_dual_mul_f32 v63, 0x3fb8aa3b, v19 :: v_dual_mul_f32 v66, 0x3fb8aa3b, v4
	;; [unrolled: 1-line block ×4, first 2 shown]
	v_rndne_f32_e32 v75, v16
	v_mul_f32_e32 v73, 0x3fb8aa3b, v41
	v_fma_f32 v74, 0x3fb8aa3b, v0, -v16
	v_fma_f32 v82, 0x3fb8aa3b, v2, -v53
	;; [unrolled: 1-line block ×3, first 2 shown]
	v_sub_f32_e32 v16, v16, v75
	v_fma_f32 v88, 0x3fb8aa3b, v20, -v65
	v_rndne_f32_e32 v89, v65
	v_fma_f32 v92, 0x3fb8aa3b, v21, -v67
	v_rndne_f32_e32 v93, v67
	v_rndne_f32_e32 v105, v73
	v_fma_f32 v94, 0x3fb8aa3b, v5, -v68
	v_fma_f32 v104, 0x3fb8aa3b, v41, -v73
	v_dual_fmac_f32 v82, 0x32a5705f, v2 :: v_dual_sub_f32 v65, v65, v89
	v_dual_fmac_f32 v84, 0x32a5705f, v19 :: v_dual_sub_f32 v67, v67, v93
	;; [unrolled: 1-line block ×3, first 2 shown]
	v_fmac_f32_e32 v92, 0x32a5705f, v21
	v_dual_mul_f32 v43, 0x3fb8aa3b, v1 :: v_dual_mul_f32 v64, 0x3fb8aa3b, v3
	s_delay_alu instid0(VALU_DEP_3) | instskip(NEXT) | instid1(VALU_DEP_3)
	v_dual_add_f32 v65, v65, v88 :: v_dual_fmac_f32 v94, 0x32a5705f, v5
	v_add_f32_e32 v67, v67, v92
	v_fma_f32 v76, 0x3fb8aa3b, v17, -v42
	v_rndne_f32_e32 v77, v42
	v_rndne_f32_e32 v79, v43
	v_fmac_f32_e32 v74, 0x32a5705f, v0
	v_exp_f32_e32 v67, v67
	v_cvt_i32_f32_e32 v93, v93
	v_dual_mul_f32 v71, 0x3fb8aa3b, v23 :: v_dual_sub_f32 v42, v42, v77
	v_fma_f32 v78, 0x3fb8aa3b, v1, -v43
	v_rndne_f32_e32 v83, v53
	v_dual_fmac_f32 v76, 0x32a5705f, v17 :: v_dual_sub_f32 v43, v43, v79
	v_rndne_f32_e32 v81, v50
	v_fma_f32 v80, 0x3fb8aa3b, v18, -v50
	s_delay_alu instid0(VALU_DEP_4) | instskip(NEXT) | instid1(TRANS32_DEP_1)
	v_sub_f32_e32 v53, v53, v83
	v_ldexp_f32 v67, v67, v93
	v_add_f32_e32 v16, v16, v74
	v_fmac_f32_e32 v78, 0x32a5705f, v1
	v_add_f32_e32 v42, v42, v76
	v_cvt_i32_f32_e32 v75, v75
	v_add_f32_e32 v53, v53, v82
	v_exp_f32_e32 v16, v16
	v_dual_sub_f32 v50, v50, v81 :: v_dual_add_f32 v43, v43, v78
	v_exp_f32_e32 v42, v42
	v_cvt_i32_f32_e32 v77, v77
	v_cmp_ngt_f32_e32 vcc_lo, 0xc2ce8ed0, v0
	v_cvt_i32_f32_e32 v79, v79
	v_exp_f32_e32 v43, v43
	v_rndne_f32_e32 v85, v63
	v_fma_f32 v90, 0x3fb8aa3b, v4, -v66
	s_delay_alu instid0(TRANS32_DEP_3) | instskip(SKIP_3) | instid1(VALU_DEP_4)
	v_ldexp_f32 v16, v16, v75
	v_fmac_f32_e32 v80, 0x32a5705f, v18
	v_dual_mul_f32 v69, 0x3fb8aa3b, v22 :: v_dual_mul_f32 v72, 0x3fb8aa3b, v7
	v_ldexp_f32 v42, v42, v77
	v_cndmask_b32_e32 v16, 0, v16, vcc_lo
	v_cmp_ngt_f32_e32 vcc_lo, 0xc2ce8ed0, v17
	s_delay_alu instid0(TRANS32_DEP_1)
	v_ldexp_f32 v43, v43, v79
	v_sub_f32_e32 v63, v63, v85
	v_fma_f32 v86, 0x3fb8aa3b, v3, -v64
	v_rndne_f32_e32 v87, v64
	v_cndmask_b32_e32 v42, 0, v42, vcc_lo
	v_cmp_ngt_f32_e32 vcc_lo, 0xc2ce8ed0, v1
	v_fmac_f32_e32 v90, 0x32a5705f, v4
	v_rndne_f32_e32 v91, v66
	v_rndne_f32_e32 v97, v69
	v_rndne_f32_e32 v101, v71
	v_dual_cndmask_b32 v43, 0, v43 :: v_dual_add_f32 v50, v50, v80
	v_cvt_i32_f32_e32 v81, v81
	v_fmac_f32_e32 v86, 0x32a5705f, v3
	v_sub_f32_e32 v64, v64, v87
	v_dual_sub_f32 v66, v66, v91 :: v_dual_add_f32 v63, v63, v84
	v_exp_f32_e32 v50, v50
	v_exp_f32_e32 v53, v53
	v_fma_f32 v96, 0x3fb8aa3b, v22, -v69
	v_fma_f32 v100, 0x3fb8aa3b, v23, -v71
	v_cvt_i32_f32_e32 v83, v83
	v_sub_f32_e32 v69, v69, v97
	v_dual_sub_f32 v71, v71, v101 :: v_dual_add_f32 v64, v64, v86
	v_exp_f32_e32 v63, v63
	v_cmp_ngt_f32_e32 vcc_lo, 0xc2ce8ed0, v18
	s_delay_alu instid0(TRANS32_DEP_3)
	v_ldexp_f32 v50, v50, v81
	v_rndne_f32_e32 v99, v70
	v_cvt_i32_f32_e32 v85, v85
	v_exp_f32_e32 v64, v64
	v_ldexp_f32 v53, v53, v83
	v_cndmask_b32_e32 v50, 0, v50, vcc_lo
	v_cmp_ngt_f32_e32 vcc_lo, 0xc2ce8ed0, v2
	v_fma_f32 v98, 0x3fb8aa3b, v6, -v70
	v_cvt_i32_f32_e32 v87, v87
	v_sub_f32_e32 v70, v70, v99
	v_exp_f32_e32 v65, v65
	v_cndmask_b32_e32 v53, 0, v53, vcc_lo
	v_ldexp_f32 v63, v63, v85
	v_cmp_ngt_f32_e32 vcc_lo, 0xc2ce8ed0, v19
	v_cvt_i32_f32_e32 v89, v89
	v_fmac_f32_e32 v104, 0x32a5705f, v41
	v_ldexp_f32 v64, v64, v87
	v_rndne_f32_e32 v95, v68
	v_cndmask_b32_e32 v63, 0, v63, vcc_lo
	v_cmp_ngt_f32_e32 vcc_lo, 0xc2ce8ed0, v3
	v_ldexp_f32 v65, v65, v89
	v_cvt_i32_f32_e32 v91, v91
	v_dual_fmac_f32 v98, 0x32a5705f, v6 :: v_dual_add_f32 v73, v73, v104
	v_cndmask_b32_e32 v64, 0, v64, vcc_lo
	v_add_f32_e32 v66, v66, v90
	v_cmp_ngt_f32_e32 vcc_lo, 0xc2ce8ed0, v20
	v_fmac_f32_e32 v100, 0x32a5705f, v23
	v_exp_f32_e32 v73, v73
	v_fma_f32 v102, 0x3fb8aa3b, v7, -v72
	v_exp_f32_e32 v66, v66
	v_dual_cndmask_b32 v65, 0, v65 :: v_dual_fmac_f32 v96, 0x32a5705f, v22
	v_dual_add_f32 v71, v71, v100 :: v_dual_sub_f32 v68, v68, v95
	v_cmp_ngt_f32_e32 vcc_lo, 0xc2ce8ed0, v4
	v_cvt_i32_f32_e32 v95, v95
	s_delay_alu instid0(VALU_DEP_4) | instskip(SKIP_2) | instid1(TRANS32_DEP_1)
	v_add_f32_e32 v69, v69, v96
	v_rndne_f32_e32 v103, v72
	v_add_f32_e32 v68, v68, v94
	v_ldexp_f32 v66, v66, v91
	v_cvt_i32_f32_e32 v97, v97
	v_exp_f32_e32 v69, v69
	v_cvt_i32_f32_e32 v105, v105
	v_exp_f32_e32 v68, v68
	v_cndmask_b32_e32 v66, 0, v66, vcc_lo
	v_cmp_ngt_f32_e32 vcc_lo, 0xc2ce8ed0, v21
	v_cvt_i32_f32_e32 v99, v99
	v_ldexp_f32 v73, v73, v105
	v_sub_f32_e32 v72, v72, v103
	v_exp_f32_e32 v71, v71
	v_cndmask_b32_e32 v67, 0, v67, vcc_lo
	v_cmp_ngt_f32_e32 vcc_lo, 0xc2ce8ed0, v5
	v_ldexp_f32 v69, v69, v97
	v_ldexp_f32 v68, v68, v95
	v_cvt_i32_f32_e32 v101, v101
	v_cvt_i32_f32_e32 v103, v103
	s_delay_alu instid0(VALU_DEP_3) | instskip(SKIP_4) | instid1(VALU_DEP_4)
	v_cndmask_b32_e32 v68, 0, v68, vcc_lo
	v_add_f32_e32 v70, v70, v98
	v_cmp_ngt_f32_e32 vcc_lo, 0xc2ce8ed0, v22
	v_fmac_f32_e32 v102, 0x32a5705f, v7
	v_ldexp_f32 v71, v71, v101
	v_exp_f32_e32 v70, v70
	s_delay_alu instid0(VALU_DEP_2) | instskip(SKIP_1) | instid1(VALU_DEP_2)
	v_dual_cndmask_b32 v69, 0, v69 :: v_dual_add_f32 v72, v72, v102
	v_cmp_ngt_f32_e32 vcc_lo, 0xc2ce8ed0, v6
	v_exp_f32_e32 v72, v72
	s_waitcnt_depctr 0xfff
	v_ldexp_f32 v70, v70, v99
	s_delay_alu instid0(VALU_DEP_1) | instskip(SKIP_4) | instid1(VALU_DEP_3)
	v_cndmask_b32_e32 v70, 0, v70, vcc_lo
	v_cmp_ngt_f32_e32 vcc_lo, 0xc2ce8ed0, v23
	v_ldexp_f32 v72, v72, v103
	v_cndmask_b32_e32 v71, 0, v71, vcc_lo
	v_cmp_ngt_f32_e32 vcc_lo, 0xc2ce8ed0, v7
	v_cndmask_b32_e32 v72, 0, v72, vcc_lo
	v_cmp_ngt_f32_e32 vcc_lo, 0xc2ce8ed0, v41
	v_cndmask_b32_e32 v73, 0, v73, vcc_lo
	v_cmp_nlt_f32_e32 vcc_lo, 0x42b17218, v0
	v_cndmask_b32_e32 v0, 0x7f800000, v16, vcc_lo
	v_cmp_nlt_f32_e32 vcc_lo, 0x42b17218, v17
	;; [unrolled: 2-line block ×3, first 2 shown]
	s_delay_alu instid0(VALU_DEP_2) | instskip(SKIP_4) | instid1(VALU_DEP_3)
	v_dual_fmac_f32 v16, v8, v0 :: v_dual_cndmask_b32 v1, 0x7f800000, v43
	v_cmp_nlt_f32_e32 vcc_lo, 0x42b17218, v18
	v_cvt_f16_f32_e32 v0, v0
	v_cndmask_b32_e32 v17, 0x7f800000, v50, vcc_lo
	v_cmp_nlt_f32_e32 vcc_lo, 0x42b17218, v2
	v_pk_mul_f16 v52, v52, v0 op_sel_hi:[1,0]
	s_delay_alu instid0(VALU_DEP_3)
	v_fmac_f32_e32 v17, v9, v1
	v_cndmask_b32_e32 v2, 0x7f800000, v53, vcc_lo
	v_cmp_nlt_f32_e32 vcc_lo, 0x42b17218, v19
	v_cvt_f16_f32_e32 v1, v1
	v_cndmask_b32_e32 v18, 0x7f800000, v63, vcc_lo
	v_cmp_nlt_f32_e32 vcc_lo, 0x42b17218, v3
	s_delay_alu instid0(VALU_DEP_3) | instskip(NEXT) | instid1(VALU_DEP_3)
	v_pk_mul_f16 v51, v51, v1 op_sel_hi:[1,0]
	v_dual_fmac_f32 v18, v10, v2 :: v_dual_cndmask_b32 v3, 0x7f800000, v64
	v_cmp_nlt_f32_e32 vcc_lo, 0x42b17218, v20
	v_cvt_f16_f32_e32 v2, v2
	v_cndmask_b32_e32 v19, 0x7f800000, v65, vcc_lo
	v_cmp_nlt_f32_e32 vcc_lo, 0x42b17218, v4
	s_delay_alu instid0(VALU_DEP_3) | instskip(NEXT) | instid1(VALU_DEP_3)
	v_pk_mul_f16 v49, v49, v2 op_sel_hi:[1,0]
	v_dual_fmac_f32 v19, v11, v3 :: v_dual_cndmask_b32 v4, 0x7f800000, v66
	v_cmp_nlt_f32_e32 vcc_lo, 0x42b17218, v21
	v_cvt_f16_f32_e32 v3, v3
	v_cndmask_b32_e32 v20, 0x7f800000, v67, vcc_lo
	v_cmp_nlt_f32_e32 vcc_lo, 0x42b17218, v5
	s_delay_alu instid0(VALU_DEP_3) | instskip(NEXT) | instid1(VALU_DEP_3)
	v_pk_mul_f16 v48, v48, v3 op_sel_hi:[1,0]
	v_fmac_f32_e32 v20, v12, v4
	v_cndmask_b32_e32 v5, 0x7f800000, v68, vcc_lo
	v_cmp_nlt_f32_e32 vcc_lo, 0x42b17218, v22
	v_cvt_f16_f32_e32 v4, v4
	v_cndmask_b32_e32 v21, 0x7f800000, v69, vcc_lo
	v_cmp_nlt_f32_e32 vcc_lo, 0x42b17218, v6
	s_delay_alu instid0(VALU_DEP_3) | instskip(NEXT) | instid1(VALU_DEP_3)
	v_pk_mul_f16 v47, v47, v4 op_sel_hi:[1,0]
	v_dual_fmac_f32 v21, v13, v5 :: v_dual_cndmask_b32 v6, 0x7f800000, v70
	v_cmp_nlt_f32_e32 vcc_lo, 0x42b17218, v23
	v_cvt_f16_f32_e32 v5, v5
	v_cndmask_b32_e32 v22, 0x7f800000, v71, vcc_lo
	v_cmp_nlt_f32_e32 vcc_lo, 0x42b17218, v7
	s_delay_alu instid0(VALU_DEP_3) | instskip(NEXT) | instid1(VALU_DEP_3)
	v_pk_mul_f16 v46, v46, v5 op_sel_hi:[1,0]
	v_dual_fmac_f32 v22, v14, v6 :: v_dual_cndmask_b32 v7, 0x7f800000, v72
	v_cmp_nlt_f32_e32 vcc_lo, 0x42b17218, v41
	v_cvt_f16_f32_e32 v6, v6
	v_cndmask_b32_e32 v23, 0x7f800000, v73, vcc_lo
	s_delay_alu instid0(VALU_DEP_2) | instskip(NEXT) | instid1(VALU_DEP_2)
	v_pk_mul_f16 v45, v45, v6 op_sel_hi:[1,0]
	v_fmac_f32_e32 v23, v15, v7
	v_cvt_f16_f32_e32 v7, v7
	v_dual_mov_b32 v8, v16 :: v_dual_mov_b32 v9, v17
	v_dual_mov_b32 v10, v18 :: v_dual_mov_b32 v11, v19
	s_delay_alu instid0(VALU_DEP_3)
	v_pk_mul_f16 v44, v44, v7 op_sel_hi:[1,0]
	v_mov_b32_e32 v0, v55
	v_dual_mov_b32 v12, v20 :: v_dual_mov_b32 v13, v21
	v_dual_mov_b32 v14, v22 :: v_dual_mov_b32 v15, v23
	;; [unrolled: 1-line block ×5, first 2 shown]
	v_mov_b32_e32 v7, v62
	s_mov_b32 s2, exec_lo
	v_cmpx_gt_i32_e64 s38, v25
	s_cbranch_execnz .LBB56_132
.LBB56_130:
	s_nop 0
	s_sendmsg sendmsg(MSG_DEALLOC_VGPRS)
	s_endpgm
.LBB56_131:
	v_dual_mov_b32 v16, v8 :: v_dual_mov_b32 v17, v9
	v_dual_mov_b32 v18, v10 :: v_dual_mov_b32 v19, v11
	;; [unrolled: 1-line block ×4, first 2 shown]
	s_mov_b32 s2, exec_lo
	v_cmpx_gt_i32_e64 s38, v25
	s_cbranch_execz .LBB56_130
.LBB56_132:
	s_load_b32 s1, s[0:1], 0xd4
	v_mov_b32_e32 v41, 1.0
	s_waitcnt lgkmcnt(0)
	s_cmp_lg_u32 s1, 1
	s_cselect_b32 s4, -1, 0
	s_cmp_eq_u32 s1, 1
	s_cselect_b32 s3, -1, 0
	s_and_b32 vcc_lo, exec_lo, s4
	s_cbranch_vccnz .LBB56_134
; %bb.133:
	v_div_scale_f32 v25, null, v16, v16, 1.0
	s_delay_alu instid0(VALU_DEP_1) | instskip(SKIP_2) | instid1(VALU_DEP_1)
	v_rcp_f32_e32 v41, v25
	s_waitcnt_depctr 0xfff
	v_fma_f32 v42, -v25, v41, 1.0
	v_fmac_f32_e32 v41, v42, v41
	v_div_scale_f32 v42, vcc_lo, 1.0, v16, 1.0
	s_delay_alu instid0(VALU_DEP_1) | instskip(NEXT) | instid1(VALU_DEP_1)
	v_mul_f32_e32 v43, v42, v41
	v_fma_f32 v50, -v25, v43, v42
	s_delay_alu instid0(VALU_DEP_1) | instskip(NEXT) | instid1(VALU_DEP_1)
	v_fmac_f32_e32 v43, v50, v41
	v_fma_f32 v25, -v25, v43, v42
	s_delay_alu instid0(VALU_DEP_1) | instskip(NEXT) | instid1(VALU_DEP_1)
	v_div_fmas_f32 v25, v25, v41, v43
	v_div_fixup_f32 v41, v25, v16, 1.0
.LBB56_134:
	s_mul_i32 s2, s33, s38
	v_cmp_eq_u32_e32 vcc_lo, 0, v39
	s_add_i32 s2, s2, s15
	s_delay_alu instid0(SALU_CYCLE_1) | instskip(NEXT) | instid1(VALU_DEP_1)
	v_add_nc_u32_e32 v16, s2, v24
	v_mad_u64_u32 v[42:43], null, v16, s39, s[34:35]
	v_mov_b32_e32 v43, 0
	v_lshrrev_b32_e32 v16, 16, v52
	s_delay_alu instid0(VALU_DEP_1) | instskip(NEXT) | instid1(VALU_DEP_4)
	v_cvt_f32_f16_e32 v16, v16
	v_mad_u64_u32 v[24:25], null, s1, v42, s[14:15]
	v_cvt_f32_f16_e32 v25, v52
	s_delay_alu instid0(VALU_DEP_3) | instskip(NEXT) | instid1(VALU_DEP_2)
	v_mul_f32_e32 v53, v41, v16
	v_mul_f32_e32 v52, v41, v25
	s_delay_alu instid0(VALU_DEP_4) | instskip(NEXT) | instid1(VALU_DEP_1)
	v_lshl_add_u32 v42, v24, 6, v54
	v_lshlrev_b64 v[42:43], 2, v[42:43]
	s_delay_alu instid0(VALU_DEP_1) | instskip(NEXT) | instid1(VALU_DEP_1)
	v_add_co_u32 v41, s0, s28, v42
	v_add_co_ci_u32_e64 v42, s0, s29, v43, s0
	s_and_b32 s0, vcc_lo, s4
	global_store_b64 v[41:42], v[52:53], off
	s_and_saveexec_b32 s4, s0
	s_cbranch_execz .LBB56_136
; %bb.135:
	v_ashrrev_i32_e32 v25, 31, v24
	v_mov_b32_e32 v41, v0
	v_mov_b32_e32 v42, v8
	s_delay_alu instid0(VALU_DEP_3) | instskip(NEXT) | instid1(VALU_DEP_1)
	v_lshlrev_b64 v[24:25], 3, v[24:25]
	v_add_co_u32 v24, vcc_lo, s30, v24
	s_delay_alu instid0(VALU_DEP_2)
	v_add_co_ci_u32_e32 v25, vcc_lo, s31, v25, vcc_lo
	global_store_b64 v[24:25], v[41:42], off
.LBB56_136:
	s_or_b32 exec_lo, exec_lo, s4
	v_cmp_gt_i32_e32 vcc_lo, s38, v38
	s_and_b32 exec_lo, exec_lo, vcc_lo
	s_cbranch_execz .LBB56_130
; %bb.137:
	v_cndmask_b32_e64 v24, 0, 1, s3
	v_mov_b32_e32 v0, 1.0
	s_and_not1_b32 vcc_lo, exec_lo, s3
	s_cbranch_vccnz .LBB56_139
; %bb.138:
	v_div_scale_f32 v0, null, v17, v17, 1.0
	s_delay_alu instid0(VALU_DEP_1) | instskip(SKIP_2) | instid1(VALU_DEP_1)
	v_rcp_f32_e32 v8, v0
	s_waitcnt_depctr 0xfff
	v_fma_f32 v16, -v0, v8, 1.0
	v_fmac_f32_e32 v8, v16, v8
	v_div_scale_f32 v16, vcc_lo, 1.0, v17, 1.0
	s_delay_alu instid0(VALU_DEP_1) | instskip(NEXT) | instid1(VALU_DEP_1)
	v_mul_f32_e32 v25, v16, v8
	v_fma_f32 v38, -v0, v25, v16
	s_delay_alu instid0(VALU_DEP_1) | instskip(NEXT) | instid1(VALU_DEP_1)
	v_fmac_f32_e32 v25, v38, v8
	v_fma_f32 v0, -v0, v25, v16
	s_delay_alu instid0(VALU_DEP_1) | instskip(NEXT) | instid1(VALU_DEP_1)
	v_div_fmas_f32 v0, v0, v8, v25
	v_div_fixup_f32 v0, v0, v17, 1.0
.LBB56_139:
	v_add_nc_u32_e32 v8, s2, v36
	s_delay_alu instid0(VALU_DEP_1) | instskip(SKIP_2) | instid1(VALU_DEP_1)
	v_mad_u64_u32 v[38:39], null, v8, s39, s[34:35]
	v_mov_b32_e32 v39, 0
	v_lshrrev_b32_e32 v8, 16, v51
	v_cvt_f32_f16_e32 v8, v8
	s_delay_alu instid0(VALU_DEP_4) | instskip(SKIP_1) | instid1(VALU_DEP_3)
	v_mad_u64_u32 v[16:17], null, s1, v38, s[14:15]
	v_cvt_f32_f16_e32 v17, v51
	v_mul_f32_e32 v42, v0, v8
	s_delay_alu instid0(VALU_DEP_2) | instskip(NEXT) | instid1(VALU_DEP_4)
	v_mul_f32_e32 v41, v0, v17
	v_lshl_add_u32 v38, v16, 6, v54
	s_delay_alu instid0(VALU_DEP_1) | instskip(NEXT) | instid1(VALU_DEP_1)
	v_lshlrev_b64 v[38:39], 2, v[38:39]
	v_add_co_u32 v38, vcc_lo, s28, v38
	s_delay_alu instid0(VALU_DEP_2)
	v_add_co_ci_u32_e32 v39, vcc_lo, s29, v39, vcc_lo
	global_store_b64 v[38:39], v[41:42], off
	s_and_saveexec_b32 s3, s0
	s_cbranch_execz .LBB56_141
; %bb.140:
	v_ashrrev_i32_e32 v17, 31, v16
	v_mov_b32_e32 v8, v1
	s_delay_alu instid0(VALU_DEP_2) | instskip(NEXT) | instid1(VALU_DEP_1)
	v_lshlrev_b64 v[16:17], 3, v[16:17]
	v_add_co_u32 v16, vcc_lo, s30, v16
	s_delay_alu instid0(VALU_DEP_2)
	v_add_co_ci_u32_e32 v17, vcc_lo, s31, v17, vcc_lo
	global_store_b64 v[16:17], v[8:9], off
.LBB56_141:
	s_or_b32 exec_lo, exec_lo, s3
	v_cmp_gt_i32_e32 vcc_lo, s38, v40
	s_and_b32 exec_lo, exec_lo, vcc_lo
	s_cbranch_execz .LBB56_130
; %bb.142:
	v_cmp_ne_u32_e32 vcc_lo, 1, v24
	v_mov_b32_e32 v8, 1.0
	s_cbranch_vccnz .LBB56_144
; %bb.143:
	v_div_scale_f32 v0, null, v18, v18, 1.0
	s_delay_alu instid0(VALU_DEP_1) | instskip(SKIP_2) | instid1(VALU_DEP_1)
	v_rcp_f32_e32 v1, v0
	s_waitcnt_depctr 0xfff
	v_fma_f32 v8, -v0, v1, 1.0
	v_fmac_f32_e32 v1, v8, v1
	v_div_scale_f32 v8, vcc_lo, 1.0, v18, 1.0
	s_delay_alu instid0(VALU_DEP_1) | instskip(NEXT) | instid1(VALU_DEP_1)
	v_mul_f32_e32 v9, v8, v1
	v_fma_f32 v16, -v0, v9, v8
	s_delay_alu instid0(VALU_DEP_1) | instskip(NEXT) | instid1(VALU_DEP_1)
	v_fmac_f32_e32 v9, v16, v1
	v_fma_f32 v0, -v0, v9, v8
	s_delay_alu instid0(VALU_DEP_1) | instskip(NEXT) | instid1(VALU_DEP_1)
	v_div_fmas_f32 v0, v0, v1, v9
	v_div_fixup_f32 v8, v0, v18, 1.0
.LBB56_144:
	v_add_nc_u32_e32 v0, s2, v34
	v_cvt_f32_f16_e32 v9, v49
	s_delay_alu instid0(VALU_DEP_2) | instskip(NEXT) | instid1(VALU_DEP_2)
	v_mad_u64_u32 v[16:17], null, v0, s39, s[34:35]
	v_dual_mov_b32 v17, 0 :: v_dual_mul_f32 v38, v8, v9
	s_delay_alu instid0(VALU_DEP_2) | instskip(SKIP_1) | instid1(VALU_DEP_1)
	v_mad_u64_u32 v[0:1], null, s1, v16, s[14:15]
	v_lshrrev_b32_e32 v1, 16, v49
	v_cvt_f32_f16_e32 v1, v1
	s_delay_alu instid0(VALU_DEP_3) | instskip(NEXT) | instid1(VALU_DEP_2)
	v_lshl_add_u32 v16, v0, 6, v54
	v_mul_f32_e32 v39, v8, v1
	s_delay_alu instid0(VALU_DEP_2) | instskip(NEXT) | instid1(VALU_DEP_1)
	v_lshlrev_b64 v[16:17], 2, v[16:17]
	v_add_co_u32 v8, vcc_lo, s28, v16
	s_delay_alu instid0(VALU_DEP_2)
	v_add_co_ci_u32_e32 v9, vcc_lo, s29, v17, vcc_lo
	global_store_b64 v[8:9], v[38:39], off
	s_and_saveexec_b32 s3, s0
	s_cbranch_execz .LBB56_146
; %bb.145:
	v_ashrrev_i32_e32 v1, 31, v0
	v_mov_b32_e32 v9, v2
	s_delay_alu instid0(VALU_DEP_2) | instskip(NEXT) | instid1(VALU_DEP_1)
	v_lshlrev_b64 v[0:1], 3, v[0:1]
	v_add_co_u32 v0, vcc_lo, s30, v0
	s_delay_alu instid0(VALU_DEP_2)
	v_add_co_ci_u32_e32 v1, vcc_lo, s31, v1, vcc_lo
	global_store_b64 v[0:1], v[9:10], off
.LBB56_146:
	s_or_b32 exec_lo, exec_lo, s3
	v_cmp_gt_i32_e32 vcc_lo, s38, v37
	s_and_b32 exec_lo, exec_lo, vcc_lo
	s_cbranch_execz .LBB56_130
; %bb.147:
	v_cmp_ne_u32_e32 vcc_lo, 1, v24
	v_mov_b32_e32 v2, 1.0
	s_cbranch_vccnz .LBB56_149
; %bb.148:
	v_div_scale_f32 v0, null, v19, v19, 1.0
	s_delay_alu instid0(VALU_DEP_1) | instskip(SKIP_2) | instid1(VALU_DEP_1)
	v_rcp_f32_e32 v1, v0
	s_waitcnt_depctr 0xfff
	v_fma_f32 v2, -v0, v1, 1.0
	v_fmac_f32_e32 v1, v2, v1
	v_div_scale_f32 v2, vcc_lo, 1.0, v19, 1.0
	s_delay_alu instid0(VALU_DEP_1) | instskip(NEXT) | instid1(VALU_DEP_1)
	v_mul_f32_e32 v8, v2, v1
	v_fma_f32 v9, -v0, v8, v2
	s_delay_alu instid0(VALU_DEP_1) | instskip(NEXT) | instid1(VALU_DEP_1)
	v_fmac_f32_e32 v8, v9, v1
	v_fma_f32 v0, -v0, v8, v2
	s_delay_alu instid0(VALU_DEP_1) | instskip(NEXT) | instid1(VALU_DEP_1)
	v_div_fmas_f32 v0, v0, v1, v8
	v_div_fixup_f32 v2, v0, v19, 1.0
.LBB56_149:
	v_add_nc_u32_e32 v0, s2, v33
	v_cvt_f32_f16_e32 v10, v48
	s_delay_alu instid0(VALU_DEP_2) | instskip(SKIP_1) | instid1(VALU_DEP_2)
	v_mad_u64_u32 v[8:9], null, v0, s39, s[34:35]
	v_mov_b32_e32 v9, 0
	v_mad_u64_u32 v[0:1], null, s1, v8, s[14:15]
	v_lshrrev_b32_e32 v1, 16, v48
	s_delay_alu instid0(VALU_DEP_1) | instskip(NEXT) | instid1(VALU_DEP_3)
	v_cvt_f32_f16_e32 v16, v1
	v_lshl_add_u32 v8, v0, 6, v54
	v_mul_f32_e32 v1, v2, v10
	s_delay_alu instid0(VALU_DEP_3) | instskip(NEXT) | instid1(VALU_DEP_3)
	v_mul_f32_e32 v2, v2, v16
	v_lshlrev_b64 v[8:9], 2, v[8:9]
	s_delay_alu instid0(VALU_DEP_1) | instskip(NEXT) | instid1(VALU_DEP_2)
	v_add_co_u32 v8, vcc_lo, s28, v8
	v_add_co_ci_u32_e32 v9, vcc_lo, s29, v9, vcc_lo
	global_store_b64 v[8:9], v[1:2], off
	s_and_saveexec_b32 s3, s0
	s_cbranch_execz .LBB56_151
; %bb.150:
	v_ashrrev_i32_e32 v1, 31, v0
	v_mov_b32_e32 v10, v3
	s_delay_alu instid0(VALU_DEP_2) | instskip(NEXT) | instid1(VALU_DEP_1)
	v_lshlrev_b64 v[0:1], 3, v[0:1]
	v_add_co_u32 v0, vcc_lo, s30, v0
	s_delay_alu instid0(VALU_DEP_2)
	v_add_co_ci_u32_e32 v1, vcc_lo, s31, v1, vcc_lo
	global_store_b64 v[0:1], v[10:11], off
.LBB56_151:
	s_or_b32 exec_lo, exec_lo, s3
	v_cmp_gt_i32_e32 vcc_lo, s38, v35
	s_and_b32 exec_lo, exec_lo, vcc_lo
	s_cbranch_execz .LBB56_130
; %bb.152:
	v_cmp_ne_u32_e32 vcc_lo, 1, v24
	v_mov_b32_e32 v2, 1.0
	s_cbranch_vccnz .LBB56_154
; %bb.153:
	v_div_scale_f32 v0, null, v20, v20, 1.0
	s_delay_alu instid0(VALU_DEP_1) | instskip(SKIP_2) | instid1(VALU_DEP_1)
	v_rcp_f32_e32 v1, v0
	s_waitcnt_depctr 0xfff
	v_fma_f32 v2, -v0, v1, 1.0
	v_fmac_f32_e32 v1, v2, v1
	v_div_scale_f32 v2, vcc_lo, 1.0, v20, 1.0
	s_delay_alu instid0(VALU_DEP_1) | instskip(NEXT) | instid1(VALU_DEP_1)
	v_mul_f32_e32 v3, v2, v1
	v_fma_f32 v8, -v0, v3, v2
	s_delay_alu instid0(VALU_DEP_1) | instskip(NEXT) | instid1(VALU_DEP_1)
	v_fmac_f32_e32 v3, v8, v1
	v_fma_f32 v0, -v0, v3, v2
	s_delay_alu instid0(VALU_DEP_1) | instskip(NEXT) | instid1(VALU_DEP_1)
	v_div_fmas_f32 v0, v0, v1, v3
	v_div_fixup_f32 v2, v0, v20, 1.0
.LBB56_154:
	v_add_nc_u32_e32 v0, s2, v31
	v_cvt_f32_f16_e32 v3, v47
	s_delay_alu instid0(VALU_DEP_2) | instskip(SKIP_1) | instid1(VALU_DEP_2)
	v_mad_u64_u32 v[8:9], null, v0, s39, s[34:35]
	v_mov_b32_e32 v9, 0
	v_mad_u64_u32 v[0:1], null, s1, v8, s[14:15]
	v_lshrrev_b32_e32 v1, 16, v47
	s_delay_alu instid0(VALU_DEP_1) | instskip(NEXT) | instid1(VALU_DEP_3)
	v_cvt_f32_f16_e32 v10, v1
	v_lshl_add_u32 v8, v0, 6, v54
	v_mul_f32_e32 v1, v2, v3
	s_delay_alu instid0(VALU_DEP_3) | instskip(NEXT) | instid1(VALU_DEP_3)
	v_mul_f32_e32 v2, v2, v10
	v_lshlrev_b64 v[8:9], 2, v[8:9]
	s_delay_alu instid0(VALU_DEP_1) | instskip(NEXT) | instid1(VALU_DEP_2)
	v_add_co_u32 v8, vcc_lo, s28, v8
	v_add_co_ci_u32_e32 v9, vcc_lo, s29, v9, vcc_lo
	global_store_b64 v[8:9], v[1:2], off
	s_and_saveexec_b32 s3, s0
	s_cbranch_execz .LBB56_156
; %bb.155:
	v_ashrrev_i32_e32 v1, 31, v0
	v_mov_b32_e32 v11, v4
	s_delay_alu instid0(VALU_DEP_2) | instskip(NEXT) | instid1(VALU_DEP_1)
	v_lshlrev_b64 v[0:1], 3, v[0:1]
	v_add_co_u32 v0, vcc_lo, s30, v0
	s_delay_alu instid0(VALU_DEP_2)
	v_add_co_ci_u32_e32 v1, vcc_lo, s31, v1, vcc_lo
	global_store_b64 v[0:1], v[11:12], off
.LBB56_156:
	s_or_b32 exec_lo, exec_lo, s3
	v_cmp_gt_i32_e32 vcc_lo, s38, v32
	s_and_b32 exec_lo, exec_lo, vcc_lo
	s_cbranch_execz .LBB56_130
; %bb.157:
	v_cmp_ne_u32_e32 vcc_lo, 1, v24
	v_mov_b32_e32 v2, 1.0
	s_cbranch_vccnz .LBB56_159
; %bb.158:
	v_div_scale_f32 v0, null, v21, v21, 1.0
	s_delay_alu instid0(VALU_DEP_1) | instskip(SKIP_2) | instid1(VALU_DEP_1)
	v_rcp_f32_e32 v1, v0
	s_waitcnt_depctr 0xfff
	v_fma_f32 v2, -v0, v1, 1.0
	v_fmac_f32_e32 v1, v2, v1
	v_div_scale_f32 v2, vcc_lo, 1.0, v21, 1.0
	s_delay_alu instid0(VALU_DEP_1) | instskip(NEXT) | instid1(VALU_DEP_1)
	v_mul_f32_e32 v3, v2, v1
	v_fma_f32 v4, -v0, v3, v2
	s_delay_alu instid0(VALU_DEP_1) | instskip(NEXT) | instid1(VALU_DEP_1)
	v_fmac_f32_e32 v3, v4, v1
	v_fma_f32 v0, -v0, v3, v2
	s_delay_alu instid0(VALU_DEP_1) | instskip(NEXT) | instid1(VALU_DEP_1)
	v_div_fmas_f32 v0, v0, v1, v3
	v_div_fixup_f32 v2, v0, v21, 1.0
.LBB56_159:
	v_cvt_f32_f16_e32 v8, v46
	v_add_nc_u32_e32 v0, s2, v29
	s_delay_alu instid0(VALU_DEP_1) | instskip(SKIP_1) | instid1(VALU_DEP_2)
	v_mad_u64_u32 v[3:4], null, v0, s39, s[34:35]
	v_mov_b32_e32 v4, 0
	v_mad_u64_u32 v[0:1], null, s1, v3, s[14:15]
	v_lshrrev_b32_e32 v1, 16, v46
	s_delay_alu instid0(VALU_DEP_1) | instskip(SKIP_1) | instid1(VALU_DEP_4)
	v_cvt_f32_f16_e32 v9, v1
	v_mul_f32_e32 v1, v2, v8
	v_lshl_add_u32 v3, v0, 6, v54
	s_delay_alu instid0(VALU_DEP_3) | instskip(NEXT) | instid1(VALU_DEP_2)
	v_mul_f32_e32 v2, v2, v9
	v_lshlrev_b64 v[3:4], 2, v[3:4]
	s_delay_alu instid0(VALU_DEP_1) | instskip(NEXT) | instid1(VALU_DEP_2)
	v_add_co_u32 v3, vcc_lo, s28, v3
	v_add_co_ci_u32_e32 v4, vcc_lo, s29, v4, vcc_lo
	global_store_b64 v[3:4], v[1:2], off
	s_and_saveexec_b32 s3, s0
	s_cbranch_execz .LBB56_161
; %bb.160:
	v_ashrrev_i32_e32 v1, 31, v0
	v_mov_b32_e32 v12, v5
	s_delay_alu instid0(VALU_DEP_2) | instskip(NEXT) | instid1(VALU_DEP_1)
	v_lshlrev_b64 v[0:1], 3, v[0:1]
	v_add_co_u32 v0, vcc_lo, s30, v0
	s_delay_alu instid0(VALU_DEP_2)
	v_add_co_ci_u32_e32 v1, vcc_lo, s31, v1, vcc_lo
	global_store_b64 v[0:1], v[12:13], off
.LBB56_161:
	s_or_b32 exec_lo, exec_lo, s3
	v_cmp_gt_i32_e32 vcc_lo, s38, v30
	s_and_b32 exec_lo, exec_lo, vcc_lo
	s_cbranch_execz .LBB56_130
; %bb.162:
	v_cmp_ne_u32_e32 vcc_lo, 1, v24
	v_mov_b32_e32 v2, 1.0
	s_cbranch_vccnz .LBB56_164
; %bb.163:
	v_div_scale_f32 v0, null, v22, v22, 1.0
	s_delay_alu instid0(VALU_DEP_1) | instskip(SKIP_2) | instid1(VALU_DEP_1)
	v_rcp_f32_e32 v1, v0
	s_waitcnt_depctr 0xfff
	v_fma_f32 v2, -v0, v1, 1.0
	v_fmac_f32_e32 v1, v2, v1
	v_div_scale_f32 v2, vcc_lo, 1.0, v22, 1.0
	s_delay_alu instid0(VALU_DEP_1) | instskip(NEXT) | instid1(VALU_DEP_1)
	v_mul_f32_e32 v3, v2, v1
	v_fma_f32 v4, -v0, v3, v2
	s_delay_alu instid0(VALU_DEP_1) | instskip(NEXT) | instid1(VALU_DEP_1)
	v_fmac_f32_e32 v3, v4, v1
	v_fma_f32 v0, -v0, v3, v2
	s_delay_alu instid0(VALU_DEP_1) | instskip(NEXT) | instid1(VALU_DEP_1)
	v_div_fmas_f32 v0, v0, v1, v3
	v_div_fixup_f32 v2, v0, v22, 1.0
.LBB56_164:
	v_cvt_f32_f16_e32 v5, v45
	v_add_nc_u32_e32 v0, s2, v27
	s_delay_alu instid0(VALU_DEP_1) | instskip(SKIP_1) | instid1(VALU_DEP_2)
	v_mad_u64_u32 v[3:4], null, v0, s39, s[34:35]
	v_mov_b32_e32 v4, 0
	v_mad_u64_u32 v[0:1], null, s1, v3, s[14:15]
	v_lshrrev_b32_e32 v1, 16, v45
	s_delay_alu instid0(VALU_DEP_1) | instskip(SKIP_1) | instid1(VALU_DEP_4)
	v_cvt_f32_f16_e32 v8, v1
	v_mul_f32_e32 v1, v2, v5
	v_lshl_add_u32 v3, v0, 6, v54
	s_delay_alu instid0(VALU_DEP_3) | instskip(NEXT) | instid1(VALU_DEP_2)
	v_mul_f32_e32 v2, v2, v8
	v_lshlrev_b64 v[3:4], 2, v[3:4]
	s_delay_alu instid0(VALU_DEP_1) | instskip(NEXT) | instid1(VALU_DEP_2)
	v_add_co_u32 v3, vcc_lo, s28, v3
	v_add_co_ci_u32_e32 v4, vcc_lo, s29, v4, vcc_lo
	global_store_b64 v[3:4], v[1:2], off
	s_and_saveexec_b32 s3, s0
	s_cbranch_execz .LBB56_166
; %bb.165:
	v_ashrrev_i32_e32 v1, 31, v0
	v_mov_b32_e32 v13, v6
	s_delay_alu instid0(VALU_DEP_2) | instskip(NEXT) | instid1(VALU_DEP_1)
	v_lshlrev_b64 v[0:1], 3, v[0:1]
	v_add_co_u32 v0, vcc_lo, s30, v0
	s_delay_alu instid0(VALU_DEP_2)
	v_add_co_ci_u32_e32 v1, vcc_lo, s31, v1, vcc_lo
	global_store_b64 v[0:1], v[13:14], off
.LBB56_166:
	s_or_b32 exec_lo, exec_lo, s3
	v_cmp_gt_i32_e32 vcc_lo, s38, v28
	s_and_b32 exec_lo, exec_lo, vcc_lo
	s_cbranch_execz .LBB56_130
; %bb.167:
	v_cmp_ne_u32_e32 vcc_lo, 1, v24
	v_mov_b32_e32 v2, 1.0
	s_cbranch_vccnz .LBB56_169
; %bb.168:
	v_div_scale_f32 v0, null, v23, v23, 1.0
	s_delay_alu instid0(VALU_DEP_1) | instskip(SKIP_2) | instid1(VALU_DEP_1)
	v_rcp_f32_e32 v1, v0
	s_waitcnt_depctr 0xfff
	v_fma_f32 v2, -v0, v1, 1.0
	v_fmac_f32_e32 v1, v2, v1
	v_div_scale_f32 v2, vcc_lo, 1.0, v23, 1.0
	s_delay_alu instid0(VALU_DEP_1) | instskip(NEXT) | instid1(VALU_DEP_1)
	v_mul_f32_e32 v3, v2, v1
	v_fma_f32 v4, -v0, v3, v2
	s_delay_alu instid0(VALU_DEP_1) | instskip(NEXT) | instid1(VALU_DEP_1)
	v_fmac_f32_e32 v3, v4, v1
	v_fma_f32 v0, -v0, v3, v2
	s_delay_alu instid0(VALU_DEP_1) | instskip(NEXT) | instid1(VALU_DEP_1)
	v_div_fmas_f32 v0, v0, v1, v3
	v_div_fixup_f32 v2, v0, v23, 1.0
.LBB56_169:
	v_cvt_f32_f16_e32 v5, v44
	v_add_nc_u32_e32 v0, s2, v26
	s_delay_alu instid0(VALU_DEP_1) | instskip(SKIP_1) | instid1(VALU_DEP_2)
	v_mad_u64_u32 v[3:4], null, v0, s39, s[34:35]
	v_mov_b32_e32 v4, 0
	v_mad_u64_u32 v[0:1], null, s1, v3, s[14:15]
	v_lshrrev_b32_e32 v1, 16, v44
	s_delay_alu instid0(VALU_DEP_1) | instskip(SKIP_1) | instid1(VALU_DEP_4)
	v_cvt_f32_f16_e32 v6, v1
	v_mul_f32_e32 v1, v2, v5
	v_lshl_add_u32 v3, v0, 6, v54
	s_delay_alu instid0(VALU_DEP_3) | instskip(NEXT) | instid1(VALU_DEP_2)
	v_mul_f32_e32 v2, v2, v6
	v_lshlrev_b64 v[3:4], 2, v[3:4]
	s_delay_alu instid0(VALU_DEP_1) | instskip(NEXT) | instid1(VALU_DEP_2)
	v_add_co_u32 v3, vcc_lo, s28, v3
	v_add_co_ci_u32_e32 v4, vcc_lo, s29, v4, vcc_lo
	global_store_b64 v[3:4], v[1:2], off
	s_and_b32 exec_lo, exec_lo, s0
	s_cbranch_execz .LBB56_130
; %bb.170:
	v_ashrrev_i32_e32 v1, 31, v0
	v_mov_b32_e32 v14, v7
	s_delay_alu instid0(VALU_DEP_2) | instskip(NEXT) | instid1(VALU_DEP_1)
	v_lshlrev_b64 v[0:1], 3, v[0:1]
	v_add_co_u32 v0, vcc_lo, s30, v0
	s_delay_alu instid0(VALU_DEP_2)
	v_add_co_ci_u32_e32 v1, vcc_lo, s31, v1, vcc_lo
	global_store_b64 v[0:1], v[14:15], off
	s_nop 0
	s_sendmsg sendmsg(MSG_DEALLOC_VGPRS)
	s_endpgm
	.section	.rodata,"a",@progbits
	.p2align	6, 0x0
	.amdhsa_kernel _ZL15flash_attn_tileILi64ELi64ELi32ELi1ELb0EEvPKcS1_S1_S1_S1_PKiPfP15HIP_vector_typeIfLj2EEffffjfiS5_IjLj3EEiiiiiiiiiiiliiliiiiil
		.amdhsa_group_segment_fixed_size 17408
		.amdhsa_private_segment_fixed_size 32
		.amdhsa_kernarg_size 464
		.amdhsa_user_sgpr_count 13
		.amdhsa_user_sgpr_dispatch_ptr 0
		.amdhsa_user_sgpr_queue_ptr 0
		.amdhsa_user_sgpr_kernarg_segment_ptr 1
		.amdhsa_user_sgpr_dispatch_id 0
		.amdhsa_user_sgpr_private_segment_size 0
		.amdhsa_wavefront_size32 1
		.amdhsa_uses_dynamic_stack 0
		.amdhsa_enable_private_segment 1
		.amdhsa_system_sgpr_workgroup_id_x 1
		.amdhsa_system_sgpr_workgroup_id_y 1
		.amdhsa_system_sgpr_workgroup_id_z 1
		.amdhsa_system_sgpr_workgroup_info 0
		.amdhsa_system_vgpr_workitem_id 1
		.amdhsa_next_free_vgpr 153
		.amdhsa_next_free_sgpr 50
		.amdhsa_reserve_vcc 1
		.amdhsa_float_round_mode_32 0
		.amdhsa_float_round_mode_16_64 0
		.amdhsa_float_denorm_mode_32 3
		.amdhsa_float_denorm_mode_16_64 3
		.amdhsa_dx10_clamp 1
		.amdhsa_ieee_mode 1
		.amdhsa_fp16_overflow 0
		.amdhsa_workgroup_processor_mode 1
		.amdhsa_memory_ordered 1
		.amdhsa_forward_progress 0
		.amdhsa_shared_vgpr_count 0
		.amdhsa_exception_fp_ieee_invalid_op 0
		.amdhsa_exception_fp_denorm_src 0
		.amdhsa_exception_fp_ieee_div_zero 0
		.amdhsa_exception_fp_ieee_overflow 0
		.amdhsa_exception_fp_ieee_underflow 0
		.amdhsa_exception_fp_ieee_inexact 0
		.amdhsa_exception_int_div_zero 0
	.end_amdhsa_kernel
	.section	.text._ZL15flash_attn_tileILi64ELi64ELi32ELi1ELb0EEvPKcS1_S1_S1_S1_PKiPfP15HIP_vector_typeIfLj2EEffffjfiS5_IjLj3EEiiiiiiiiiiiliiliiiiil,"axG",@progbits,_ZL15flash_attn_tileILi64ELi64ELi32ELi1ELb0EEvPKcS1_S1_S1_S1_PKiPfP15HIP_vector_typeIfLj2EEffffjfiS5_IjLj3EEiiiiiiiiiiiliiliiiiil,comdat
.Lfunc_end56:
	.size	_ZL15flash_attn_tileILi64ELi64ELi32ELi1ELb0EEvPKcS1_S1_S1_S1_PKiPfP15HIP_vector_typeIfLj2EEffffjfiS5_IjLj3EEiiiiiiiiiiiliiliiiiil, .Lfunc_end56-_ZL15flash_attn_tileILi64ELi64ELi32ELi1ELb0EEvPKcS1_S1_S1_S1_PKiPfP15HIP_vector_typeIfLj2EEffffjfiS5_IjLj3EEiiiiiiiiiiiliiliiiiil
                                        ; -- End function
	.section	.AMDGPU.csdata,"",@progbits
; Kernel info:
; codeLenInByte = 55240
; NumSgprs: 52
; NumVgprs: 153
; ScratchSize: 32
; MemoryBound: 0
; FloatMode: 240
; IeeeMode: 1
; LDSByteSize: 17408 bytes/workgroup (compile time only)
; SGPRBlocks: 6
; VGPRBlocks: 19
; NumSGPRsForWavesPerEU: 52
; NumVGPRsForWavesPerEU: 153
; Occupancy: 7
; WaveLimiterHint : 0
; COMPUTE_PGM_RSRC2:SCRATCH_EN: 1
; COMPUTE_PGM_RSRC2:USER_SGPR: 13
; COMPUTE_PGM_RSRC2:TRAP_HANDLER: 0
; COMPUTE_PGM_RSRC2:TGID_X_EN: 1
; COMPUTE_PGM_RSRC2:TGID_Y_EN: 1
; COMPUTE_PGM_RSRC2:TGID_Z_EN: 1
; COMPUTE_PGM_RSRC2:TIDIG_COMP_CNT: 1
	.section	.text._ZL33flash_attn_stream_k_fixup_uniformILi64ELi32ELi1EEvPfPK15HIP_vector_typeIfLj2EEiiiiiiS1_IjLj3EES5_S5_,"axG",@progbits,_ZL33flash_attn_stream_k_fixup_uniformILi64ELi32ELi1EEvPfPK15HIP_vector_typeIfLj2EEiiiiiiS1_IjLj3EES5_S5_,comdat
	.globl	_ZL33flash_attn_stream_k_fixup_uniformILi64ELi32ELi1EEvPfPK15HIP_vector_typeIfLj2EEiiiiiiS1_IjLj3EES5_S5_ ; -- Begin function _ZL33flash_attn_stream_k_fixup_uniformILi64ELi32ELi1EEvPfPK15HIP_vector_typeIfLj2EEiiiiiiS1_IjLj3EES5_S5_
	.p2align	8
	.type	_ZL33flash_attn_stream_k_fixup_uniformILi64ELi32ELi1EEvPfPK15HIP_vector_typeIfLj2EEiiiiiiS1_IjLj3EES5_S5_,@function
_ZL33flash_attn_stream_k_fixup_uniformILi64ELi32ELi1EEvPfPK15HIP_vector_typeIfLj2EEiiiiiiS1_IjLj3EES5_S5_: ; @_ZL33flash_attn_stream_k_fixup_uniformILi64ELi32ELi1EEvPfPK15HIP_vector_typeIfLj2EEiiiiiiS1_IjLj3EES5_S5_
; %bb.0:
	s_clause 0x1
	s_load_b256 s[4:11], s[0:1], 0x1c
	s_load_b128 s[16:19], s[0:1], 0x3c
	s_waitcnt lgkmcnt(0)
	s_mul_hi_u32 s2, s7, s13
	s_delay_alu instid0(SALU_CYCLE_1) | instskip(NEXT) | instid1(SALU_CYCLE_1)
	s_add_i32 s2, s13, s2
	s_lshr_b32 s2, s2, s8
	s_delay_alu instid0(SALU_CYCLE_1) | instskip(SKIP_2) | instid1(SALU_CYCLE_1)
	s_mul_i32 s3, s2, s9
	s_load_b64 s[8:9], s[0:1], 0x10
	s_sub_i32 s7, s13, s3
	s_mul_hi_u32 s3, s7, s10
	s_delay_alu instid0(SALU_CYCLE_1) | instskip(NEXT) | instid1(SALU_CYCLE_1)
	s_add_i32 s3, s7, s3
	s_lshr_b32 s3, s3, s11
	s_delay_alu instid0(SALU_CYCLE_1) | instskip(NEXT) | instid1(SALU_CYCLE_1)
	s_mul_i32 s10, s3, s16
	s_sub_i32 s10, s7, s10
	s_delay_alu instid0(SALU_CYCLE_1) | instskip(NEXT) | instid1(SALU_CYCLE_1)
	s_mul_hi_u32 s7, s10, s17
	s_add_i32 s7, s10, s7
	s_delay_alu instid0(SALU_CYCLE_1) | instskip(NEXT) | instid1(SALU_CYCLE_1)
	s_lshr_b32 s7, s7, s18
	s_mul_i32 s11, s7, s19
	s_delay_alu instid0(SALU_CYCLE_1) | instskip(NEXT) | instid1(SALU_CYCLE_1)
	s_sub_i32 s10, s10, s11
	s_lshl_b32 s11, s10, 5
	s_delay_alu instid0(SALU_CYCLE_1) | instskip(SKIP_4) | instid1(SALU_CYCLE_1)
	s_add_i32 s11, s11, s14
	s_waitcnt lgkmcnt(0)
	s_cmp_lt_i32 s11, s8
	s_cselect_b32 s11, -1, 0
	s_add_i32 s12, s7, s15
	s_cmp_lt_i32 s12, s5
	s_cselect_b32 s12, -1, 0
	s_delay_alu instid0(SALU_CYCLE_1) | instskip(NEXT) | instid1(SALU_CYCLE_1)
	s_and_b32 s11, s11, s12
	s_and_not1_b32 vcc_lo, exec_lo, s11
	s_cbranch_vccnz .LBB57_6
; %bb.1:
	s_mul_i32 s2, s2, s8
	s_mul_i32 s5, s3, s5
	s_add_i32 s2, s2, s14
	s_delay_alu instid0(SALU_CYCLE_1) | instskip(NEXT) | instid1(SALU_CYCLE_1)
	s_mul_i32 s2, s2, s9
	s_add_i32 s8, s2, s15
	s_load_b128 s[0:3], s[0:1], 0x0
	s_add_i32 s5, s8, s5
	s_mul_i32 s8, s9, s10
	s_add_i32 s5, s5, s7
	s_lshl_b32 s7, s8, 11
	s_lshl_b32 s5, s5, 6
	s_add_i32 s10, s14, s15
	s_add_i32 s7, s7, s5
	s_mul_i32 s5, s13, s6
	v_or_b32_e32 v1, s7, v0
	s_add_i32 s9, s5, s6
	s_delay_alu instid0(VALU_DEP_1) | instskip(NEXT) | instid1(VALU_DEP_1)
	v_ashrrev_i32_e32 v2, 31, v1
	v_lshlrev_b64 v[1:2], 2, v[1:2]
	s_waitcnt lgkmcnt(0)
	s_delay_alu instid0(VALU_DEP_1) | instskip(NEXT) | instid1(VALU_DEP_2)
	v_add_co_u32 v1, vcc_lo, s0, v1
	v_add_co_ci_u32_e32 v2, vcc_lo, s1, v2, vcc_lo
	s_lshl_b32 s0, s9, 5
	s_delay_alu instid0(SALU_CYCLE_1) | instskip(SKIP_2) | instid1(SALU_CYCLE_1)
	s_add_i32 s0, s10, s0
	global_load_b32 v5, v[1:2], off
	s_sub_i32 s0, s0, 32
	s_ashr_i32 s1, s0, 31
	s_delay_alu instid0(SALU_CYCLE_1) | instskip(NEXT) | instid1(SALU_CYCLE_1)
	s_lshl_b64 s[0:1], s[0:1], 3
	s_add_u32 s0, s2, s0
	s_addc_u32 s1, s3, s1
	s_add_i32 s7, s9, -2
	s_load_b32 s11, s[0:1], 0x4
	s_cmp_lt_i32 s7, s5
	s_cbranch_scc1 .LBB57_4
; %bb.2:
	s_lshl_b32 s14, s4, 7
	s_load_b32 s12, s[0:1], 0x0
	s_ashr_i32 s15, s14, 31
	s_delay_alu instid0(SALU_CYCLE_1) | instskip(NEXT) | instid1(SALU_CYCLE_1)
	s_lshl_b64 s[0:1], s[14:15], 2
	s_add_u32 s7, s2, s0
	s_addc_u32 s8, s3, s1
	s_add_i32 s13, s13, 1
	s_lshl_b32 s1, s10, 6
	s_mul_i32 s0, s6, s13
	s_delay_alu instid0(SALU_CYCLE_1)
	s_lshl_b32 s6, s0, 11
	s_lshl_b32 s0, s0, 5
	s_add_i32 s1, s1, s6
	s_add_i32 s0, s10, s0
	v_or_b32_e32 v0, s1, v0
	s_lshl_b32 s1, s4, 5
	s_waitcnt lgkmcnt(0)
	v_mov_b32_e32 v6, s11
	s_add_i32 s0, s0, s1
	s_add_i32 s4, s9, -1
	v_dual_mov_b32 v0, s12 :: v_dual_add_nc_u32 v3, 0xfffff000, v0
	s_sub_i32 s0, s0, 64
.LBB57_3:                               ; =>This Inner Loop Header: Depth=1
	s_delay_alu instid0(VALU_DEP_1) | instskip(SKIP_1) | instid1(SALU_CYCLE_1)
	v_ashrrev_i32_e32 v4, 31, v3
	s_ashr_i32 s1, s0, 31
	s_lshl_b64 s[10:11], s[0:1], 3
	s_delay_alu instid0(SALU_CYCLE_1) | instskip(NEXT) | instid1(VALU_DEP_1)
	s_add_u32 s10, s2, s10
	v_lshlrev_b64 v[7:8], 2, v[3:4]
	s_addc_u32 s11, s3, s11
	s_add_i32 s4, s4, -1
	s_sub_i32 s0, s0, 32
	s_cmp_le_i32 s4, s5
	s_load_b64 s[10:11], s[10:11], 0x0
	v_add_co_u32 v7, vcc_lo, s7, v7
	v_add_co_ci_u32_e32 v8, vcc_lo, s8, v8, vcc_lo
	global_load_b32 v4, v[7:8], off
	v_max_f32_e32 v7, v0, v0
	s_waitcnt lgkmcnt(0)
	v_max_f32_e64 v8, s10, s10
	s_delay_alu instid0(VALU_DEP_1) | instskip(NEXT) | instid1(VALU_DEP_1)
	v_max_f32_e32 v7, v7, v8
	v_sub_f32_e32 v8, s10, v7
	s_delay_alu instid0(VALU_DEP_1) | instskip(NEXT) | instid1(VALU_DEP_1)
	v_dual_sub_f32 v0, v0, v7 :: v_dual_mul_f32 v9, 0x3fb8aa3b, v8
	v_fma_f32 v10, 0x3fb8aa3b, v8, -v9
	v_rndne_f32_e32 v11, v9
	s_delay_alu instid0(VALU_DEP_3) | instskip(NEXT) | instid1(VALU_DEP_2)
	v_mul_f32_e32 v12, 0x3fb8aa3b, v0
	v_dual_fmac_f32 v10, 0x32a5705f, v8 :: v_dual_sub_f32 v9, v9, v11
	v_cvt_i32_f32_e32 v11, v11
	s_delay_alu instid0(VALU_DEP_3) | instskip(SKIP_1) | instid1(VALU_DEP_4)
	v_fma_f32 v13, 0x3fb8aa3b, v0, -v12
	v_rndne_f32_e32 v14, v12
	v_add_f32_e32 v9, v9, v10
	v_cmp_ngt_f32_e32 vcc_lo, 0xc2ce8ed0, v8
	s_delay_alu instid0(VALU_DEP_3) | instskip(NEXT) | instid1(VALU_DEP_3)
	v_sub_f32_e32 v10, v12, v14
	v_exp_f32_e32 v9, v9
	s_waitcnt_depctr 0xfff
	v_ldexp_f32 v9, v9, v11
	v_cvt_i32_f32_e32 v11, v14
	s_delay_alu instid0(VALU_DEP_2) | instskip(SKIP_1) | instid1(VALU_DEP_2)
	v_cndmask_b32_e32 v9, 0, v9, vcc_lo
	v_cmp_nlt_f32_e32 vcc_lo, 0x42b17218, v8
	v_cndmask_b32_e32 v9, 0x7f800000, v9, vcc_lo
	v_cmp_ngt_f32_e32 vcc_lo, 0xc2ce8ed0, v0
	v_fmac_f32_e32 v13, 0x32a5705f, v0
	s_delay_alu instid0(VALU_DEP_1) | instskip(NEXT) | instid1(VALU_DEP_1)
	v_add_f32_e32 v10, v10, v13
	v_exp_f32_e32 v10, v10
	s_waitcnt_depctr 0xfff
	v_ldexp_f32 v10, v10, v11
	s_delay_alu instid0(VALU_DEP_1)
	v_dual_mov_b32 v11, v6 :: v_dual_cndmask_b32 v10, 0, v10
	v_cmp_le_f32_e32 vcc_lo, 0xc1a00000, v8
	s_waitcnt vmcnt(1)
	v_dual_cndmask_b32 v8, 0, v9 :: v_dual_mov_b32 v9, v5
	v_cmp_nlt_f32_e32 vcc_lo, 0x42b17218, v0
	v_cndmask_b32_e32 v5, 0x7f800000, v10, vcc_lo
	s_delay_alu instid0(VALU_DEP_3) | instskip(SKIP_2) | instid1(VALU_DEP_3)
	v_mul_f32_e32 v10, s11, v8
	v_cmp_le_f32_e32 vcc_lo, 0xc1a00000, v0
	v_mov_b32_e32 v0, v7
	v_mov_b32_e32 v6, v10
	s_waitcnt vmcnt(0)
	v_dual_cndmask_b32 v12, 0, v5 :: v_dual_mul_f32 v5, v4, v8
	s_delay_alu instid0(VALU_DEP_1) | instskip(NEXT) | instid1(VALU_DEP_2)
	v_dual_fmac_f32 v6, v11, v12 :: v_dual_add_nc_u32 v3, 0xfffff800, v3
	v_fmac_f32_e32 v5, v9, v12
	s_cbranch_scc0 .LBB57_3
	s_branch .LBB57_5
.LBB57_4:
	s_waitcnt lgkmcnt(0)
	v_mov_b32_e32 v6, s11
.LBB57_5:
	s_waitcnt vmcnt(0)
	s_delay_alu instid0(VALU_DEP_1) | instskip(NEXT) | instid1(VALU_DEP_1)
	v_div_scale_f32 v0, null, v6, v6, v5
	v_rcp_f32_e32 v3, v0
	s_waitcnt_depctr 0xfff
	v_fma_f32 v4, -v0, v3, 1.0
	s_delay_alu instid0(VALU_DEP_1) | instskip(SKIP_1) | instid1(VALU_DEP_1)
	v_fmac_f32_e32 v3, v4, v3
	v_div_scale_f32 v4, vcc_lo, v5, v6, v5
	v_mul_f32_e32 v7, v4, v3
	s_delay_alu instid0(VALU_DEP_1) | instskip(NEXT) | instid1(VALU_DEP_1)
	v_fma_f32 v8, -v0, v7, v4
	v_fmac_f32_e32 v7, v8, v3
	s_delay_alu instid0(VALU_DEP_1) | instskip(NEXT) | instid1(VALU_DEP_1)
	v_fma_f32 v0, -v0, v7, v4
	v_div_fmas_f32 v0, v0, v3, v7
	s_delay_alu instid0(VALU_DEP_1)
	v_div_fixup_f32 v0, v0, v6, v5
	global_store_b32 v[1:2], v0, off
.LBB57_6:
	s_nop 0
	s_sendmsg sendmsg(MSG_DEALLOC_VGPRS)
	s_endpgm
	.section	.rodata,"a",@progbits
	.p2align	6, 0x0
	.amdhsa_kernel _ZL33flash_attn_stream_k_fixup_uniformILi64ELi32ELi1EEvPfPK15HIP_vector_typeIfLj2EEiiiiiiS1_IjLj3EES5_S5_
		.amdhsa_group_segment_fixed_size 0
		.amdhsa_private_segment_fixed_size 0
		.amdhsa_kernarg_size 76
		.amdhsa_user_sgpr_count 13
		.amdhsa_user_sgpr_dispatch_ptr 0
		.amdhsa_user_sgpr_queue_ptr 0
		.amdhsa_user_sgpr_kernarg_segment_ptr 1
		.amdhsa_user_sgpr_dispatch_id 0
		.amdhsa_user_sgpr_private_segment_size 0
		.amdhsa_wavefront_size32 1
		.amdhsa_uses_dynamic_stack 0
		.amdhsa_enable_private_segment 0
		.amdhsa_system_sgpr_workgroup_id_x 1
		.amdhsa_system_sgpr_workgroup_id_y 1
		.amdhsa_system_sgpr_workgroup_id_z 1
		.amdhsa_system_sgpr_workgroup_info 0
		.amdhsa_system_vgpr_workitem_id 0
		.amdhsa_next_free_vgpr 15
		.amdhsa_next_free_sgpr 20
		.amdhsa_reserve_vcc 1
		.amdhsa_float_round_mode_32 0
		.amdhsa_float_round_mode_16_64 0
		.amdhsa_float_denorm_mode_32 3
		.amdhsa_float_denorm_mode_16_64 3
		.amdhsa_dx10_clamp 1
		.amdhsa_ieee_mode 1
		.amdhsa_fp16_overflow 0
		.amdhsa_workgroup_processor_mode 1
		.amdhsa_memory_ordered 1
		.amdhsa_forward_progress 0
		.amdhsa_shared_vgpr_count 0
		.amdhsa_exception_fp_ieee_invalid_op 0
		.amdhsa_exception_fp_denorm_src 0
		.amdhsa_exception_fp_ieee_div_zero 0
		.amdhsa_exception_fp_ieee_overflow 0
		.amdhsa_exception_fp_ieee_underflow 0
		.amdhsa_exception_fp_ieee_inexact 0
		.amdhsa_exception_int_div_zero 0
	.end_amdhsa_kernel
	.section	.text._ZL33flash_attn_stream_k_fixup_uniformILi64ELi32ELi1EEvPfPK15HIP_vector_typeIfLj2EEiiiiiiS1_IjLj3EES5_S5_,"axG",@progbits,_ZL33flash_attn_stream_k_fixup_uniformILi64ELi32ELi1EEvPfPK15HIP_vector_typeIfLj2EEiiiiiiS1_IjLj3EES5_S5_,comdat
.Lfunc_end57:
	.size	_ZL33flash_attn_stream_k_fixup_uniformILi64ELi32ELi1EEvPfPK15HIP_vector_typeIfLj2EEiiiiiiS1_IjLj3EES5_S5_, .Lfunc_end57-_ZL33flash_attn_stream_k_fixup_uniformILi64ELi32ELi1EEvPfPK15HIP_vector_typeIfLj2EEiiiiiiS1_IjLj3EES5_S5_
                                        ; -- End function
	.section	.AMDGPU.csdata,"",@progbits
; Kernel info:
; codeLenInByte = 976
; NumSgprs: 22
; NumVgprs: 15
; ScratchSize: 0
; MemoryBound: 0
; FloatMode: 240
; IeeeMode: 1
; LDSByteSize: 0 bytes/workgroup (compile time only)
; SGPRBlocks: 2
; VGPRBlocks: 1
; NumSGPRsForWavesPerEU: 22
; NumVGPRsForWavesPerEU: 15
; Occupancy: 16
; WaveLimiterHint : 0
; COMPUTE_PGM_RSRC2:SCRATCH_EN: 0
; COMPUTE_PGM_RSRC2:USER_SGPR: 13
; COMPUTE_PGM_RSRC2:TRAP_HANDLER: 0
; COMPUTE_PGM_RSRC2:TGID_X_EN: 1
; COMPUTE_PGM_RSRC2:TGID_Y_EN: 1
; COMPUTE_PGM_RSRC2:TGID_Z_EN: 1
; COMPUTE_PGM_RSRC2:TIDIG_COMP_CNT: 0
	.section	.text._ZL33flash_attn_stream_k_fixup_generalILi64ELi32ELi1EEvPfPK15HIP_vector_typeIfLj2EEiiiiS1_IjLj3EES5_S5_S5_,"axG",@progbits,_ZL33flash_attn_stream_k_fixup_generalILi64ELi32ELi1EEvPfPK15HIP_vector_typeIfLj2EEiiiiS1_IjLj3EES5_S5_S5_,comdat
	.globl	_ZL33flash_attn_stream_k_fixup_generalILi64ELi32ELi1EEvPfPK15HIP_vector_typeIfLj2EEiiiiS1_IjLj3EES5_S5_S5_ ; -- Begin function _ZL33flash_attn_stream_k_fixup_generalILi64ELi32ELi1EEvPfPK15HIP_vector_typeIfLj2EEiiiiS1_IjLj3EES5_S5_S5_
	.p2align	8
	.type	_ZL33flash_attn_stream_k_fixup_generalILi64ELi32ELi1EEvPfPK15HIP_vector_typeIfLj2EEiiiiS1_IjLj3EES5_S5_S5_,@function
_ZL33flash_attn_stream_k_fixup_generalILi64ELi32ELi1EEvPfPK15HIP_vector_typeIfLj2EEiiiiS1_IjLj3EES5_S5_S5_: ; @_ZL33flash_attn_stream_k_fixup_generalILi64ELi32ELi1EEvPfPK15HIP_vector_typeIfLj2EEiiiiS1_IjLj3EES5_S5_S5_
; %bb.0:
	s_clause 0x1
	s_load_b128 s[4:7], s[0:1], 0x10
	s_load_b32 s20, s[0:1], 0x50
	s_mov_b32 s2, 0
	s_waitcnt lgkmcnt(0)
	s_mul_hi_i32 s3, s7, s13
	s_mul_i32 s12, s7, s13
	s_cmp_lg_u64 s[2:3], 0
	s_cbranch_scc0 .LBB58_21
; %bb.1:
	v_cvt_f32_ubyte0_e32 v1, 0
	v_cvt_f32_u32_e32 v2, s20
	s_sub_u32 s10, 0, s20
	s_subb_u32 s11, 0, 0
	s_delay_alu instid0(VALU_DEP_1) | instskip(NEXT) | instid1(VALU_DEP_1)
	v_fmamk_f32 v1, v1, 0x4f800000, v2
	v_rcp_f32_e32 v1, v1
	s_waitcnt_depctr 0xfff
	v_mul_f32_e32 v1, 0x5f7ffffc, v1
	s_delay_alu instid0(VALU_DEP_1) | instskip(NEXT) | instid1(VALU_DEP_1)
	v_mul_f32_e32 v2, 0x2f800000, v1
	v_trunc_f32_e32 v2, v2
	s_delay_alu instid0(VALU_DEP_1) | instskip(SKIP_1) | instid1(VALU_DEP_2)
	v_fmamk_f32 v1, v2, 0xcf800000, v1
	v_cvt_u32_f32_e32 v2, v2
	v_cvt_u32_f32_e32 v1, v1
	s_delay_alu instid0(VALU_DEP_2) | instskip(NEXT) | instid1(VALU_DEP_2)
	v_readfirstlane_b32 s8, v2
	v_readfirstlane_b32 s9, v1
	s_delay_alu instid0(VALU_DEP_2) | instskip(NEXT) | instid1(VALU_DEP_1)
	s_mul_i32 s16, s10, s8
	s_mul_hi_u32 s18, s10, s9
	s_mul_i32 s17, s11, s9
	s_add_i32 s16, s18, s16
	s_mul_i32 s19, s10, s9
	s_add_i32 s16, s16, s17
	s_mul_hi_u32 s18, s9, s19
	s_mul_hi_u32 s21, s8, s19
	s_mul_i32 s17, s8, s19
	s_mul_hi_u32 s19, s9, s16
	s_mul_i32 s9, s9, s16
	s_mul_hi_u32 s22, s8, s16
	s_add_u32 s9, s18, s9
	s_addc_u32 s18, 0, s19
	s_add_u32 s9, s9, s17
	s_mul_i32 s16, s8, s16
	s_addc_u32 s9, s18, s21
	s_addc_u32 s17, s22, 0
	s_add_u32 s9, s9, s16
	s_addc_u32 s16, 0, s17
	v_add_co_u32 v1, s9, v1, s9
	s_delay_alu instid0(VALU_DEP_1) | instskip(SKIP_1) | instid1(VALU_DEP_1)
	s_cmp_lg_u32 s9, 0
	s_addc_u32 s8, s8, s16
	v_readfirstlane_b32 s9, v1
	s_mul_i32 s16, s10, s8
	s_delay_alu instid0(VALU_DEP_1)
	s_mul_hi_u32 s17, s10, s9
	s_mul_i32 s11, s11, s9
	s_add_i32 s16, s17, s16
	s_mul_i32 s10, s10, s9
	s_add_i32 s16, s16, s11
	s_mul_hi_u32 s17, s8, s10
	s_mul_i32 s18, s8, s10
	s_mul_hi_u32 s10, s9, s10
	s_mul_hi_u32 s19, s9, s16
	s_mul_i32 s9, s9, s16
	s_mul_hi_u32 s11, s8, s16
	s_add_u32 s9, s10, s9
	s_addc_u32 s10, 0, s19
	s_add_u32 s9, s9, s18
	s_mul_i32 s16, s8, s16
	s_addc_u32 s9, s10, s17
	s_addc_u32 s10, s11, 0
	s_add_u32 s9, s9, s16
	s_addc_u32 s10, 0, s10
	v_add_co_u32 v1, s9, v1, s9
	s_delay_alu instid0(VALU_DEP_1) | instskip(SKIP_2) | instid1(SALU_CYCLE_1)
	s_cmp_lg_u32 s9, 0
	s_addc_u32 s16, s8, s10
	s_ashr_i32 s8, s3, 31
	s_add_u32 s10, s12, s8
	s_addc_u32 s11, s3, s8
	v_readfirstlane_b32 s3, v1
	s_mov_b32 s9, s8
	s_delay_alu instid0(SALU_CYCLE_1) | instskip(NEXT) | instid1(SALU_CYCLE_1)
	s_xor_b64 s[10:11], s[10:11], s[8:9]
	s_mul_i32 s18, s10, s16
	s_delay_alu instid0(VALU_DEP_1)
	s_mul_hi_u32 s19, s10, s3
	s_mul_hi_u32 s17, s10, s16
	;; [unrolled: 1-line block ×3, first 2 shown]
	s_mul_i32 s3, s11, s3
	s_add_u32 s18, s19, s18
	s_addc_u32 s17, 0, s17
	s_mul_hi_u32 s21, s11, s16
	s_add_u32 s3, s18, s3
	s_mul_i32 s16, s11, s16
	s_addc_u32 s3, s17, s22
	s_addc_u32 s17, s21, 0
	s_add_u32 s3, s3, s16
	s_addc_u32 s16, 0, s17
	s_mul_i32 s18, s20, s3
	s_add_u32 s17, s3, 1
	v_sub_co_u32 v1, s10, s10, s18
	s_mul_hi_u32 s18, s20, s3
	s_addc_u32 s19, s16, 0
	s_mul_i32 s21, s20, s16
	s_delay_alu instid0(VALU_DEP_1)
	v_sub_co_u32 v2, s22, v1, s20
	s_add_u32 s23, s3, 2
	s_addc_u32 s24, s16, 0
	s_add_i32 s18, s18, s21
	s_cmp_lg_u32 s10, 0
	v_readfirstlane_b32 s10, v2
	s_subb_u32 s11, s11, s18
	s_cmp_lg_u32 s22, 0
	s_subb_u32 s18, s11, 0
	s_delay_alu instid0(VALU_DEP_1) | instskip(SKIP_4) | instid1(SALU_CYCLE_1)
	s_cmp_ge_u32 s10, s20
	s_cselect_b32 s10, -1, 0
	s_cmp_eq_u32 s18, 0
	v_readfirstlane_b32 s18, v1
	s_cselect_b32 s10, s10, -1
	s_cmp_lg_u32 s10, 0
	s_cselect_b32 s10, s23, s17
	s_cselect_b32 s17, s24, s19
	s_cmp_ge_u32 s18, s20
	s_cselect_b32 s18, -1, 0
	s_cmp_eq_u32 s11, 0
	s_cselect_b32 s11, s18, -1
	s_delay_alu instid0(SALU_CYCLE_1) | instskip(SKIP_2) | instid1(SALU_CYCLE_1)
	s_cmp_lg_u32 s11, 0
	s_cselect_b32 s11, s17, s16
	s_cselect_b32 s10, s10, s3
	s_xor_b64 s[10:11], s[10:11], s[8:9]
	s_delay_alu instid0(SALU_CYCLE_1)
	s_sub_u32 s16, s10, s8
	s_load_b128 s[8:11], s[0:1], 0x44
	s_and_not1_b32 vcc_lo, exec_lo, s2
	s_cbranch_vccnz .LBB58_3
.LBB58_2:
	v_cvt_f32_u32_e32 v1, s20
	s_sub_i32 s3, 0, s20
	s_delay_alu instid0(VALU_DEP_1) | instskip(SKIP_2) | instid1(VALU_DEP_1)
	v_rcp_iflag_f32_e32 v1, v1
	s_waitcnt_depctr 0xfff
	v_mul_f32_e32 v1, 0x4f7ffffe, v1
	v_cvt_u32_f32_e32 v1, v1
	s_delay_alu instid0(VALU_DEP_1) | instskip(NEXT) | instid1(VALU_DEP_1)
	v_readfirstlane_b32 s2, v1
	s_mul_i32 s3, s3, s2
	s_delay_alu instid0(SALU_CYCLE_1) | instskip(NEXT) | instid1(SALU_CYCLE_1)
	s_mul_hi_u32 s3, s2, s3
	s_add_i32 s2, s2, s3
	s_delay_alu instid0(SALU_CYCLE_1) | instskip(NEXT) | instid1(SALU_CYCLE_1)
	s_mul_hi_u32 s2, s12, s2
	s_mul_i32 s3, s2, s20
	s_waitcnt lgkmcnt(0)
	s_add_i32 s11, s2, 1
	s_sub_i32 s3, s12, s3
	s_delay_alu instid0(SALU_CYCLE_1)
	s_sub_i32 s12, s3, s20
	s_cmp_ge_u32 s3, s20
	s_cselect_b32 s2, s11, s2
	s_cselect_b32 s3, s12, s3
	s_add_i32 s11, s2, 1
	s_cmp_ge_u32 s3, s20
	s_cselect_b32 s16, s11, s2
.LBB58_3:
	s_waitcnt lgkmcnt(0)
	s_add_i32 s11, s13, 1
	s_mov_b32 s2, 0
	s_mul_hi_i32 s3, s7, s11
	s_mul_i32 s11, s7, s11
	s_cmp_lg_u64 s[2:3], 0
	s_cbranch_scc0 .LBB58_22
; %bb.4:
	v_cvt_f32_ubyte0_e32 v1, 0
	v_cvt_f32_u32_e32 v2, s20
	s_sub_u32 s18, 0, s20
	s_subb_u32 s19, 0, 0
	s_delay_alu instid0(VALU_DEP_1) | instskip(NEXT) | instid1(VALU_DEP_1)
	v_fmamk_f32 v1, v1, 0x4f800000, v2
	v_rcp_f32_e32 v1, v1
	s_waitcnt_depctr 0xfff
	v_mul_f32_e32 v1, 0x5f7ffffc, v1
	s_delay_alu instid0(VALU_DEP_1) | instskip(NEXT) | instid1(VALU_DEP_1)
	v_mul_f32_e32 v2, 0x2f800000, v1
	v_trunc_f32_e32 v2, v2
	s_delay_alu instid0(VALU_DEP_1) | instskip(SKIP_1) | instid1(VALU_DEP_2)
	v_fmamk_f32 v1, v2, 0xcf800000, v1
	v_cvt_u32_f32_e32 v2, v2
	v_cvt_u32_f32_e32 v1, v1
	s_delay_alu instid0(VALU_DEP_2) | instskip(NEXT) | instid1(VALU_DEP_2)
	v_readfirstlane_b32 s12, v2
	v_readfirstlane_b32 s17, v1
	s_delay_alu instid0(VALU_DEP_2) | instskip(NEXT) | instid1(VALU_DEP_1)
	s_mul_i32 s21, s18, s12
	s_mul_hi_u32 s23, s18, s17
	s_mul_i32 s22, s19, s17
	s_add_i32 s21, s23, s21
	s_mul_i32 s24, s18, s17
	s_add_i32 s21, s21, s22
	s_mul_hi_u32 s23, s17, s24
	s_mul_hi_u32 s25, s12, s24
	s_mul_i32 s22, s12, s24
	s_mul_hi_u32 s24, s17, s21
	s_mul_i32 s17, s17, s21
	s_mul_hi_u32 s26, s12, s21
	s_add_u32 s17, s23, s17
	s_addc_u32 s23, 0, s24
	s_add_u32 s17, s17, s22
	s_mul_i32 s21, s12, s21
	s_addc_u32 s17, s23, s25
	s_addc_u32 s22, s26, 0
	s_add_u32 s17, s17, s21
	s_addc_u32 s21, 0, s22
	v_add_co_u32 v1, s17, v1, s17
	s_delay_alu instid0(VALU_DEP_1) | instskip(SKIP_1) | instid1(VALU_DEP_1)
	s_cmp_lg_u32 s17, 0
	s_addc_u32 s12, s12, s21
	v_readfirstlane_b32 s17, v1
	s_mul_i32 s21, s18, s12
	s_delay_alu instid0(VALU_DEP_1)
	s_mul_hi_u32 s22, s18, s17
	s_mul_i32 s19, s19, s17
	s_add_i32 s21, s22, s21
	s_mul_i32 s18, s18, s17
	s_add_i32 s21, s21, s19
	s_mul_hi_u32 s22, s12, s18
	s_mul_i32 s23, s12, s18
	s_mul_hi_u32 s18, s17, s18
	s_mul_hi_u32 s24, s17, s21
	s_mul_i32 s17, s17, s21
	s_mul_hi_u32 s19, s12, s21
	s_add_u32 s17, s18, s17
	s_addc_u32 s18, 0, s24
	s_add_u32 s17, s17, s23
	s_mul_i32 s21, s12, s21
	s_addc_u32 s17, s18, s22
	s_addc_u32 s18, s19, 0
	s_add_u32 s17, s17, s21
	s_addc_u32 s18, 0, s18
	v_add_co_u32 v1, s17, v1, s17
	s_delay_alu instid0(VALU_DEP_1) | instskip(SKIP_2) | instid1(SALU_CYCLE_1)
	s_cmp_lg_u32 s17, 0
	s_addc_u32 s12, s12, s18
	s_ashr_i32 s18, s3, 31
	s_add_u32 s22, s11, s18
	s_addc_u32 s23, s3, s18
	v_readfirstlane_b32 s3, v1
	s_mov_b32 s19, s18
	s_delay_alu instid0(SALU_CYCLE_1) | instskip(NEXT) | instid1(SALU_CYCLE_1)
	s_xor_b64 s[22:23], s[22:23], s[18:19]
	s_mul_i32 s21, s22, s12
	s_delay_alu instid0(VALU_DEP_1)
	s_mul_hi_u32 s24, s22, s3
	s_mul_hi_u32 s17, s22, s12
	;; [unrolled: 1-line block ×3, first 2 shown]
	s_mul_i32 s3, s23, s3
	s_add_u32 s21, s24, s21
	s_addc_u32 s17, 0, s17
	s_mul_hi_u32 s25, s23, s12
	s_add_u32 s3, s21, s3
	s_mul_i32 s12, s23, s12
	s_addc_u32 s3, s17, s26
	s_addc_u32 s17, s25, 0
	s_add_u32 s3, s3, s12
	s_addc_u32 s12, 0, s17
	s_mul_i32 s21, s20, s3
	s_add_u32 s17, s3, 1
	v_sub_co_u32 v1, s21, s22, s21
	s_mul_hi_u32 s22, s20, s3
	s_addc_u32 s24, s12, 0
	s_mul_i32 s25, s20, s12
	s_delay_alu instid0(VALU_DEP_1)
	v_sub_co_u32 v2, s26, v1, s20
	s_add_u32 s27, s3, 2
	s_addc_u32 s28, s12, 0
	s_add_i32 s22, s22, s25
	s_cmp_lg_u32 s21, 0
	v_readfirstlane_b32 s21, v2
	s_subb_u32 s22, s23, s22
	s_cmp_lg_u32 s26, 0
	s_subb_u32 s23, s22, 0
	s_delay_alu instid0(VALU_DEP_1) | instskip(SKIP_4) | instid1(SALU_CYCLE_1)
	s_cmp_ge_u32 s21, s20
	s_cselect_b32 s21, -1, 0
	s_cmp_eq_u32 s23, 0
	v_readfirstlane_b32 s23, v1
	s_cselect_b32 s21, s21, -1
	s_cmp_lg_u32 s21, 0
	s_cselect_b32 s17, s27, s17
	s_cselect_b32 s21, s28, s24
	s_cmp_ge_u32 s23, s20
	s_cselect_b32 s23, -1, 0
	s_cmp_eq_u32 s22, 0
	s_cselect_b32 s22, s23, -1
	s_delay_alu instid0(SALU_CYCLE_1) | instskip(SKIP_2) | instid1(SALU_CYCLE_1)
	s_cmp_lg_u32 s22, 0
	s_cselect_b32 s23, s21, s12
	s_cselect_b32 s22, s17, s3
	s_xor_b64 s[22:23], s[22:23], s[18:19]
	s_delay_alu instid0(SALU_CYCLE_1)
	s_sub_u32 s18, s22, s18
	s_and_not1_b32 vcc_lo, exec_lo, s2
	s_cbranch_vccnz .LBB58_6
.LBB58_5:
	v_cvt_f32_u32_e32 v1, s20
	s_sub_i32 s3, 0, s20
	s_delay_alu instid0(VALU_DEP_1) | instskip(SKIP_2) | instid1(VALU_DEP_1)
	v_rcp_iflag_f32_e32 v1, v1
	s_waitcnt_depctr 0xfff
	v_mul_f32_e32 v1, 0x4f7ffffe, v1
	v_cvt_u32_f32_e32 v1, v1
	s_delay_alu instid0(VALU_DEP_1) | instskip(NEXT) | instid1(VALU_DEP_1)
	v_readfirstlane_b32 s2, v1
	s_mul_i32 s3, s3, s2
	s_delay_alu instid0(SALU_CYCLE_1) | instskip(NEXT) | instid1(SALU_CYCLE_1)
	s_mul_hi_u32 s3, s2, s3
	s_add_i32 s2, s2, s3
	s_delay_alu instid0(SALU_CYCLE_1) | instskip(NEXT) | instid1(SALU_CYCLE_1)
	s_mul_hi_u32 s2, s11, s2
	s_mul_i32 s3, s2, s20
	s_delay_alu instid0(SALU_CYCLE_1)
	s_sub_i32 s3, s11, s3
	s_add_i32 s11, s2, 1
	s_sub_i32 s12, s3, s20
	s_cmp_ge_u32 s3, s20
	s_cselect_b32 s2, s11, s2
	s_cselect_b32 s3, s12, s3
	s_add_i32 s11, s2, 1
	s_cmp_ge_u32 s3, s20
	s_cselect_b32 s18, s11, s2
.LBB58_6:
	s_delay_alu instid0(SALU_CYCLE_1) | instskip(SKIP_3) | instid1(SALU_CYCLE_1)
	s_cmp_eq_u32 s16, s18
	s_mul_hi_u32 s2, s16, s8
	s_cselect_b32 s3, -1, 0
	s_add_i32 s2, s2, s16
	s_lshr_b32 s11, s2, s9
	s_delay_alu instid0(SALU_CYCLE_1) | instskip(NEXT) | instid1(SALU_CYCLE_1)
	s_mul_i32 s2, s11, s10
	s_cmp_eq_u32 s2, s16
	s_mul_hi_u32 s2, s18, s8
	s_cselect_b32 s12, -1, 0
	s_add_i32 s2, s2, s18
	s_delay_alu instid0(SALU_CYCLE_1) | instskip(NEXT) | instid1(SALU_CYCLE_1)
	s_lshr_b32 s2, s2, s9
	s_cmp_eq_u32 s11, s2
	s_mul_i32 s2, s2, s10
	s_cselect_b32 s17, -1, 0
	s_cmp_lg_u32 s2, s18
	s_cselect_b32 s2, -1, 0
	s_or_b32 s3, s3, s12
	s_and_b32 s2, s17, s2
	s_delay_alu instid0(SALU_CYCLE_1) | instskip(NEXT) | instid1(SALU_CYCLE_1)
	s_or_b32 s2, s3, s2
	s_and_b32 vcc_lo, exec_lo, s2
	s_cbranch_vccnz .LBB58_24
; %bb.7:
	s_load_b256 s[24:31], s[0:1], 0x20
	s_waitcnt lgkmcnt(0)
	s_mul_hi_u32 s2, s16, s24
	s_delay_alu instid0(SALU_CYCLE_1) | instskip(NEXT) | instid1(SALU_CYCLE_1)
	s_add_i32 s2, s2, s16
	s_lshr_b32 s18, s2, s25
	s_load_b32 s2, s[0:1], 0x40
	s_mul_i32 s3, s18, s26
	s_delay_alu instid0(SALU_CYCLE_1) | instskip(NEXT) | instid1(SALU_CYCLE_1)
	s_sub_i32 s3, s16, s3
	s_mul_hi_u32 s12, s3, s27
	s_delay_alu instid0(SALU_CYCLE_1) | instskip(NEXT) | instid1(SALU_CYCLE_1)
	s_add_i32 s12, s3, s12
	s_lshr_b32 s21, s12, s28
	s_delay_alu instid0(SALU_CYCLE_1) | instskip(NEXT) | instid1(SALU_CYCLE_1)
	s_mul_i32 s12, s21, s29
	s_sub_i32 s3, s3, s12
	s_delay_alu instid0(SALU_CYCLE_1) | instskip(NEXT) | instid1(SALU_CYCLE_1)
	s_mul_hi_u32 s12, s3, s30
	s_add_i32 s12, s3, s12
	s_delay_alu instid0(SALU_CYCLE_1) | instskip(SKIP_3) | instid1(SALU_CYCLE_1)
	s_lshr_b32 s22, s12, s31
	s_mov_b32 s12, 0
	s_waitcnt lgkmcnt(0)
	s_mul_i32 s2, s22, s2
	s_sub_i32 s2, s3, s2
	s_delay_alu instid0(SALU_CYCLE_1) | instskip(NEXT) | instid1(SALU_CYCLE_1)
	s_mul_hi_u32 s3, s2, s8
	s_add_i32 s2, s2, s3
	s_delay_alu instid0(SALU_CYCLE_1) | instskip(NEXT) | instid1(SALU_CYCLE_1)
	s_lshr_b32 s23, s2, s9
	s_lshl_b32 s2, s23, 5
	s_delay_alu instid0(SALU_CYCLE_1) | instskip(NEXT) | instid1(SALU_CYCLE_1)
	s_add_i32 s2, s2, s14
	s_cmp_lt_i32 s2, s4
	s_cselect_b32 s2, -1, 0
	s_add_i32 s3, s22, s15
	s_delay_alu instid0(SALU_CYCLE_1) | instskip(SKIP_1) | instid1(SALU_CYCLE_1)
	s_cmp_lt_i32 s3, s6
	s_cselect_b32 s3, -1, 0
	s_and_b32 s2, s2, s3
	s_delay_alu instid0(SALU_CYCLE_1)
	s_and_not1_b32 vcc_lo, exec_lo, s2
	s_cbranch_vccnz .LBB58_24
; %bb.8:
	s_load_b128 s[0:3], s[0:1], 0x0
	s_lshl_b32 s24, s20, 7
	s_mov_b32 s25, s12
	s_add_i32 s17, s14, s15
	s_lshl_b64 s[24:25], s[24:25], 2
	s_mul_i32 s4, s18, s4
	s_mul_i32 s21, s21, s6
	v_cvt_f32_ubyte0_e32 v4, 0
	v_cvt_f32_u32_e32 v5, s20
	s_waitcnt lgkmcnt(0)
	s_add_u32 s18, s2, s24
	s_addc_u32 s19, s3, s25
	s_add_i32 s4, s4, s14
	s_delay_alu instid0(SALU_CYCLE_1) | instskip(SKIP_4) | instid1(SALU_CYCLE_1)
	s_mul_i32 s4, s4, s5
	s_mul_i32 s5, s5, s23
	s_add_i32 s4, s4, s15
	s_lshl_b32 s5, s5, 11
	s_add_i32 s4, s4, s21
	s_add_i32 s4, s4, s22
	s_delay_alu instid0(SALU_CYCLE_1) | instskip(NEXT) | instid1(SALU_CYCLE_1)
	s_lshl_b32 s4, s4, 6
	s_add_i32 s5, s5, s4
	s_delay_alu instid0(SALU_CYCLE_1) | instskip(SKIP_1) | instid1(VALU_DEP_2)
	v_or_b32_e32 v1, s5, v0
	v_lshl_or_b32 v0, s17, 6, v0
	v_ashrrev_i32_e32 v2, 31, v1
	s_delay_alu instid0(VALU_DEP_1) | instskip(NEXT) | instid1(VALU_DEP_1)
	v_lshlrev_b64 v[1:2], 2, v[1:2]
	v_add_co_u32 v1, vcc_lo, s0, v1
	s_delay_alu instid0(VALU_DEP_2) | instskip(SKIP_1) | instid1(SALU_CYCLE_1)
	v_add_co_ci_u32_e32 v2, vcc_lo, s1, v2, vcc_lo
	s_lshl_b32 s0, s13, 5
	s_add_i32 s0, s0, s17
	global_load_b32 v3, v[1:2], off
	s_ashr_i32 s1, s0, 31
	s_delay_alu instid0(SALU_CYCLE_1) | instskip(NEXT) | instid1(SALU_CYCLE_1)
	s_lshl_b64 s[0:1], s[0:1], 3
	s_add_u32 s0, s2, s0
	s_addc_u32 s1, s3, s1
	s_add_i32 s14, s13, -1
	s_load_b64 s[0:1], s[0:1], 0x0
	v_fmac_f32_e32 v5, 0x4f800000, v4
	s_sub_i32 s6, 0, s20
	s_waitcnt lgkmcnt(0)
	v_mov_b32_e32 v8, s0
	s_delay_alu instid0(VALU_DEP_2) | instskip(SKIP_2) | instid1(VALU_DEP_2)
	v_rcp_f32_e32 v4, v5
	v_cvt_f32_u32_e32 v5, s20
	v_mov_b32_e32 v7, s1
	v_rcp_iflag_f32_e32 v5, v5
	s_waitcnt_depctr 0xfff
	v_mul_f32_e32 v4, 0x5f7ffffc, v4
	s_delay_alu instid0(VALU_DEP_1) | instskip(SKIP_1) | instid1(VALU_DEP_2)
	v_mul_f32_e32 v6, 0x2f800000, v4
	v_mul_f32_e32 v9, 0x4f7ffffe, v5
	v_trunc_f32_e32 v6, v6
	s_delay_alu instid0(VALU_DEP_1) | instskip(SKIP_1) | instid1(VALU_DEP_4)
	v_fmac_f32_e32 v4, 0xcf800000, v6
	v_cvt_u32_f32_e32 v5, v6
	v_cvt_u32_f32_e32 v6, v9
	s_delay_alu instid0(VALU_DEP_3)
	v_cvt_u32_f32_e32 v4, v4
.LBB58_9:                               ; =>This Inner Loop Header: Depth=1
	s_mul_hi_i32 s13, s14, s7
	s_mul_i32 s4, s14, s7
	s_cmp_lg_u64 s[12:13], 0
	s_mov_b32 s5, -1
                                        ; implicit-def: $sgpr0_sgpr1
	s_cbranch_scc0 .LBB58_11
; %bb.10:                               ;   in Loop: Header=BB58_9 Depth=1
	v_readfirstlane_b32 s0, v4
	v_readfirstlane_b32 s1, v5
	s_sub_u32 s5, 0, s20
	s_subb_u32 s15, 0, 0
	s_delay_alu instid0(VALU_DEP_2) | instskip(NEXT) | instid1(VALU_DEP_1)
	s_mul_hi_u32 s21, s5, s0
	s_mul_i32 s22, s5, s1
	s_mul_i32 s23, s15, s0
	s_add_i32 s21, s21, s22
	s_mul_i32 s22, s5, s0
	s_add_i32 s21, s21, s23
	s_mul_hi_u32 s23, s0, s22
	s_mul_i32 s24, s0, s21
	s_mul_hi_u32 s0, s0, s21
	s_add_u32 s23, s23, s24
	s_mul_i32 s25, s1, s22
	s_addc_u32 s0, 0, s0
	s_mul_hi_u32 s22, s1, s22
	s_mul_hi_u32 s24, s1, s21
	s_add_u32 s23, s23, s25
	s_addc_u32 s0, s0, s22
	s_mul_i32 s21, s1, s21
	s_addc_u32 s22, s24, 0
	s_add_u32 s0, s0, s21
	s_addc_u32 s21, 0, s22
	v_add_co_u32 v9, s0, v4, s0
	s_delay_alu instid0(VALU_DEP_1) | instskip(SKIP_1) | instid1(VALU_DEP_1)
	s_cmp_lg_u32 s0, 0
	s_addc_u32 s1, s1, s21
	v_readfirstlane_b32 s0, v9
	s_mul_i32 s21, s5, s1
	s_delay_alu instid0(VALU_DEP_1)
	s_mul_hi_u32 s22, s5, s0
	s_mul_i32 s15, s15, s0
	s_add_i32 s21, s22, s21
	s_mul_i32 s5, s5, s0
	s_add_i32 s21, s21, s15
	s_mul_hi_u32 s15, s1, s5
	s_mul_i32 s23, s1, s5
	s_mul_i32 s24, s0, s21
	s_mul_hi_u32 s5, s0, s5
	s_mul_hi_u32 s0, s0, s21
	s_add_u32 s5, s5, s24
	s_addc_u32 s0, 0, s0
	s_mul_hi_u32 s22, s1, s21
	s_add_u32 s5, s5, s23
	s_addc_u32 s0, s0, s15
	s_mul_i32 s5, s1, s21
	s_addc_u32 s15, s22, 0
	s_add_u32 s0, s0, s5
	s_addc_u32 s5, 0, s15
	v_add_co_u32 v9, s0, v9, s0
	s_delay_alu instid0(VALU_DEP_1) | instskip(SKIP_2) | instid1(SALU_CYCLE_1)
	s_cmp_lg_u32 s0, 0
	s_addc_u32 s5, s1, s5
	s_ashr_i32 s0, s13, 31
	s_add_u32 s22, s4, s0
	s_addc_u32 s23, s13, s0
	v_readfirstlane_b32 s13, v9
	s_mov_b32 s1, s0
	s_delay_alu instid0(SALU_CYCLE_1) | instskip(NEXT) | instid1(SALU_CYCLE_1)
	s_xor_b64 s[22:23], s[22:23], s[0:1]
	s_mul_i32 s15, s22, s5
	s_delay_alu instid0(VALU_DEP_1)
	s_mul_hi_u32 s21, s22, s13
	s_mul_hi_u32 s24, s22, s5
	s_add_u32 s15, s21, s15
	s_mul_i32 s25, s23, s13
	s_addc_u32 s21, 0, s24
	s_mul_hi_u32 s13, s23, s13
	s_mul_hi_u32 s24, s23, s5
	s_add_u32 s15, s15, s25
	s_addc_u32 s13, s21, s13
	s_mul_i32 s5, s23, s5
	s_addc_u32 s15, s24, 0
	s_add_u32 s5, s13, s5
	s_addc_u32 s13, 0, s15
	s_mul_i32 s21, s20, s5
	s_add_u32 s15, s5, 1
	v_sub_co_u32 v9, s21, s22, s21
	s_addc_u32 s22, s13, 0
	s_mul_i32 s25, s20, s13
	s_mul_hi_u32 s27, s20, s5
	s_delay_alu instid0(VALU_DEP_1)
	v_sub_co_u32 v10, s26, v9, s20
	s_add_u32 s24, s5, 2
	s_addc_u32 s28, s13, 0
	s_add_i32 s27, s27, s25
	s_cmp_lg_u32 s21, 0
	v_readfirstlane_b32 s21, v10
	s_subb_u32 s23, s23, s27
	s_cmp_lg_u32 s26, 0
	s_subb_u32 s25, s23, 0
	s_delay_alu instid0(VALU_DEP_1) | instskip(SKIP_4) | instid1(SALU_CYCLE_1)
	s_cmp_ge_u32 s21, s20
	s_cselect_b32 s21, -1, 0
	s_cmp_eq_u32 s25, 0
	v_readfirstlane_b32 s25, v9
	s_cselect_b32 s21, s21, -1
	s_cmp_lg_u32 s21, 0
	s_cselect_b32 s15, s24, s15
	s_cselect_b32 s21, s28, s22
	s_cmp_ge_u32 s25, s20
	s_cselect_b32 s22, -1, 0
	s_cmp_eq_u32 s23, 0
	s_cselect_b32 s22, s22, -1
	s_delay_alu instid0(SALU_CYCLE_1) | instskip(SKIP_4) | instid1(SALU_CYCLE_1)
	s_cmp_lg_u32 s22, 0
	s_cselect_b32 s23, s21, s13
	s_cselect_b32 s22, s15, s5
	s_mov_b32 s5, 0
	s_xor_b64 s[22:23], s[22:23], s[0:1]
	s_sub_u32 s0, s22, s0
.LBB58_11:                              ;   in Loop: Header=BB58_9 Depth=1
	s_and_not1_b32 vcc_lo, exec_lo, s5
	s_cbranch_vccnz .LBB58_13
; %bb.12:                               ;   in Loop: Header=BB58_9 Depth=1
	v_readfirstlane_b32 s0, v6
	s_delay_alu instid0(VALU_DEP_1) | instskip(NEXT) | instid1(SALU_CYCLE_1)
	s_mul_i32 s1, s6, s0
	s_mul_hi_u32 s1, s0, s1
	s_delay_alu instid0(SALU_CYCLE_1) | instskip(NEXT) | instid1(SALU_CYCLE_1)
	s_add_i32 s0, s0, s1
	s_mul_hi_u32 s0, s4, s0
	s_delay_alu instid0(SALU_CYCLE_1) | instskip(NEXT) | instid1(SALU_CYCLE_1)
	s_mul_i32 s1, s0, s20
	s_sub_i32 s1, s4, s1
	s_add_i32 s4, s0, 1
	s_sub_i32 s5, s1, s20
	s_cmp_ge_u32 s1, s20
	s_cselect_b32 s0, s4, s0
	s_cselect_b32 s1, s5, s1
	s_add_i32 s4, s0, 1
	s_cmp_ge_u32 s1, s20
	s_cselect_b32 s0, s4, s0
.LBB58_13:                              ;   in Loop: Header=BB58_9 Depth=1
	s_delay_alu instid0(SALU_CYCLE_1)
	s_cmp_lg_u32 s16, s0
	s_cbranch_scc0 .LBB58_17
; %bb.14:                               ;   in Loop: Header=BB58_9 Depth=1
	s_add_i32 s1, s14, s20
	s_mov_b32 s5, s12
	s_lshl_b32 s1, s1, 5
	s_mov_b32 s15, s16
	s_add_i32 s4, s1, s17
	s_mul_hi_u32 s1, s0, s8
	s_lshl_b64 s[4:5], s[4:5], 3
	s_delay_alu instid0(SALU_CYCLE_1) | instskip(SKIP_2) | instid1(SALU_CYCLE_1)
	s_add_u32 s4, s2, s4
	s_addc_u32 s5, s3, s5
	s_add_i32 s1, s1, s0
	s_lshr_b32 s1, s1, s9
	s_delay_alu instid0(SALU_CYCLE_1) | instskip(NEXT) | instid1(SALU_CYCLE_1)
	s_mul_i32 s13, s1, s10
	s_cmp_eq_u32 s13, s0
	s_cselect_b32 s13, -1, 0
	s_cmp_lt_u32 s1, s11
	s_cselect_b32 s1, -1, 0
	s_delay_alu instid0(SALU_CYCLE_1)
	s_or_b32 s1, s1, s13
	s_mov_b32 s13, -1
	s_and_b32 vcc_lo, exec_lo, s1
	s_mov_b32 s1, s14
	s_cbranch_vccnz .LBB58_16
; %bb.15:                               ;   in Loop: Header=BB58_9 Depth=1
	s_add_i32 s1, s14, -1
	s_mov_b32 s13, 0
	s_mov_b32 s15, s0
.LBB58_16:                              ;   in Loop: Header=BB58_9 Depth=1
	v_lshl_add_u32 v9, s14, 11, v0
	s_load_b64 s[4:5], s[4:5], 0x0
	s_delay_alu instid0(VALU_DEP_1) | instskip(NEXT) | instid1(VALU_DEP_1)
	v_ashrrev_i32_e32 v10, 31, v9
	v_lshlrev_b64 v[9:10], 2, v[9:10]
	s_delay_alu instid0(VALU_DEP_1) | instskip(NEXT) | instid1(VALU_DEP_2)
	v_add_co_u32 v9, vcc_lo, s18, v9
	v_add_co_ci_u32_e32 v10, vcc_lo, s19, v10, vcc_lo
	s_waitcnt lgkmcnt(0)
	v_max_f32_e64 v11, s4, s4
	global_load_b32 v10, v[9:10], off
	v_max_f32_e32 v9, v8, v8
	s_delay_alu instid0(VALU_DEP_1) | instskip(NEXT) | instid1(VALU_DEP_1)
	v_max_f32_e32 v9, v9, v11
	v_sub_f32_e32 v12, v8, v9
	s_delay_alu instid0(VALU_DEP_1) | instskip(NEXT) | instid1(VALU_DEP_1)
	v_dual_mul_f32 v14, 0x3fb8aa3b, v12 :: v_dual_sub_f32 v11, s4, v9
	v_rndne_f32_e32 v18, v14
	s_delay_alu instid0(VALU_DEP_2) | instskip(SKIP_2) | instid1(VALU_DEP_4)
	v_mul_f32_e32 v13, 0x3fb8aa3b, v11
	v_fma_f32 v17, 0x3fb8aa3b, v12, -v14
	v_cmp_ngt_f32_e32 vcc_lo, 0xc2ce8ed0, v11
	v_sub_f32_e32 v14, v14, v18
	s_delay_alu instid0(VALU_DEP_4) | instskip(SKIP_2) | instid1(VALU_DEP_3)
	v_fma_f32 v15, 0x3fb8aa3b, v11, -v13
	v_rndne_f32_e32 v16, v13
	v_fmac_f32_e32 v17, 0x32a5705f, v12
	v_fmac_f32_e32 v15, 0x32a5705f, v11
	s_delay_alu instid0(VALU_DEP_2) | instskip(NEXT) | instid1(VALU_DEP_1)
	v_dual_sub_f32 v13, v13, v16 :: v_dual_add_f32 v14, v14, v17
	v_add_f32_e32 v13, v13, v15
	s_delay_alu instid0(VALU_DEP_2) | instskip(SKIP_2) | instid1(VALU_DEP_3)
	v_exp_f32_e32 v14, v14
	v_cvt_i32_f32_e32 v15, v16
	v_cvt_i32_f32_e32 v16, v18
	v_exp_f32_e32 v13, v13
	s_waitcnt_depctr 0xfff
	v_ldexp_f32 v14, v14, v16
	v_ldexp_f32 v13, v13, v15
	s_delay_alu instid0(VALU_DEP_1) | instskip(SKIP_1) | instid1(VALU_DEP_4)
	v_cndmask_b32_e32 v13, 0, v13, vcc_lo
	v_cmp_ngt_f32_e32 vcc_lo, 0xc2ce8ed0, v12
	v_cndmask_b32_e32 v14, 0, v14, vcc_lo
	v_cmp_nlt_f32_e32 vcc_lo, 0x42b17218, v11
	s_delay_alu instid0(VALU_DEP_4) | instskip(SKIP_1) | instid1(VALU_DEP_4)
	v_cndmask_b32_e32 v13, 0x7f800000, v13, vcc_lo
	v_cmp_nlt_f32_e32 vcc_lo, 0x42b17218, v12
	v_cndmask_b32_e32 v14, 0x7f800000, v14, vcc_lo
	v_cmp_le_f32_e32 vcc_lo, 0xc1a00000, v11
	s_delay_alu instid0(VALU_DEP_4) | instskip(SKIP_1) | instid1(VALU_DEP_4)
	v_cndmask_b32_e32 v11, 0, v13, vcc_lo
	v_cmp_le_f32_e32 vcc_lo, 0xc1a00000, v12
	v_cndmask_b32_e32 v12, 0, v14, vcc_lo
	s_waitcnt vmcnt(0)
	s_delay_alu instid0(VALU_DEP_3) | instskip(NEXT) | instid1(VALU_DEP_1)
	v_mul_f32_e32 v10, v10, v11
	v_dual_mul_f32 v11, s5, v11 :: v_dual_fmac_f32 v10, v3, v12
	s_delay_alu instid0(VALU_DEP_1)
	v_fmac_f32_e32 v11, v7, v12
	s_cbranch_execz .LBB58_18
	s_branch .LBB58_19
.LBB58_17:                              ;   in Loop: Header=BB58_9 Depth=1
                                        ; implicit-def: $sgpr13
                                        ; implicit-def: $vgpr10
                                        ; implicit-def: $vgpr9
                                        ; implicit-def: $vgpr11
                                        ; implicit-def: $sgpr1
                                        ; implicit-def: $sgpr15
.LBB58_18:                              ;   in Loop: Header=BB58_9 Depth=1
	v_mov_b32_e32 v11, v7
	s_waitcnt vmcnt(0)
	v_dual_mov_b32 v9, v8 :: v_dual_mov_b32 v10, v3
	s_add_i32 s1, s14, -1
	s_mov_b32 s13, 0
	s_mov_b32 s15, s16
.LBB58_19:                              ;   in Loop: Header=BB58_9 Depth=1
	s_and_not1_b32 vcc_lo, exec_lo, s13
	s_cbranch_vccz .LBB58_23
; %bb.20:                               ;   in Loop: Header=BB58_9 Depth=1
	v_dual_mov_b32 v7, v11 :: v_dual_mov_b32 v8, v9
	s_waitcnt vmcnt(0)
	v_mov_b32_e32 v3, v10
	s_mov_b32 s16, s15
	s_mov_b32 s14, s1
	s_branch .LBB58_9
.LBB58_21:
                                        ; implicit-def: $sgpr16_sgpr17
	s_load_b128 s[8:11], s[0:1], 0x44
	s_branch .LBB58_2
.LBB58_22:
                                        ; implicit-def: $sgpr18_sgpr19
	s_branch .LBB58_5
.LBB58_23:
	v_div_scale_f32 v0, null, v11, v11, v10
	s_waitcnt vmcnt(0)
	s_delay_alu instid0(VALU_DEP_1) | instskip(SKIP_2) | instid1(VALU_DEP_1)
	v_rcp_f32_e32 v3, v0
	s_waitcnt_depctr 0xfff
	v_fma_f32 v4, -v0, v3, 1.0
	v_fmac_f32_e32 v3, v4, v3
	v_div_scale_f32 v4, vcc_lo, v10, v11, v10
	s_delay_alu instid0(VALU_DEP_1) | instskip(NEXT) | instid1(VALU_DEP_1)
	v_mul_f32_e32 v5, v4, v3
	v_fma_f32 v6, -v0, v5, v4
	s_delay_alu instid0(VALU_DEP_1) | instskip(NEXT) | instid1(VALU_DEP_1)
	v_fmac_f32_e32 v5, v6, v3
	v_fma_f32 v0, -v0, v5, v4
	s_delay_alu instid0(VALU_DEP_1) | instskip(NEXT) | instid1(VALU_DEP_1)
	v_div_fmas_f32 v0, v0, v3, v5
	v_div_fixup_f32 v0, v0, v11, v10
	global_store_b32 v[1:2], v0, off
.LBB58_24:
	s_nop 0
	s_sendmsg sendmsg(MSG_DEALLOC_VGPRS)
	s_endpgm
	.section	.rodata,"a",@progbits
	.p2align	6, 0x0
	.amdhsa_kernel _ZL33flash_attn_stream_k_fixup_generalILi64ELi32ELi1EEvPfPK15HIP_vector_typeIfLj2EEiiiiS1_IjLj3EES5_S5_S5_
		.amdhsa_group_segment_fixed_size 0
		.amdhsa_private_segment_fixed_size 0
		.amdhsa_kernarg_size 336
		.amdhsa_user_sgpr_count 13
		.amdhsa_user_sgpr_dispatch_ptr 0
		.amdhsa_user_sgpr_queue_ptr 0
		.amdhsa_user_sgpr_kernarg_segment_ptr 1
		.amdhsa_user_sgpr_dispatch_id 0
		.amdhsa_user_sgpr_private_segment_size 0
		.amdhsa_wavefront_size32 1
		.amdhsa_uses_dynamic_stack 0
		.amdhsa_enable_private_segment 0
		.amdhsa_system_sgpr_workgroup_id_x 1
		.amdhsa_system_sgpr_workgroup_id_y 1
		.amdhsa_system_sgpr_workgroup_id_z 1
		.amdhsa_system_sgpr_workgroup_info 0
		.amdhsa_system_vgpr_workitem_id 0
		.amdhsa_next_free_vgpr 19
		.amdhsa_next_free_sgpr 32
		.amdhsa_reserve_vcc 1
		.amdhsa_float_round_mode_32 0
		.amdhsa_float_round_mode_16_64 0
		.amdhsa_float_denorm_mode_32 3
		.amdhsa_float_denorm_mode_16_64 3
		.amdhsa_dx10_clamp 1
		.amdhsa_ieee_mode 1
		.amdhsa_fp16_overflow 0
		.amdhsa_workgroup_processor_mode 1
		.amdhsa_memory_ordered 1
		.amdhsa_forward_progress 0
		.amdhsa_shared_vgpr_count 0
		.amdhsa_exception_fp_ieee_invalid_op 0
		.amdhsa_exception_fp_denorm_src 0
		.amdhsa_exception_fp_ieee_div_zero 0
		.amdhsa_exception_fp_ieee_overflow 0
		.amdhsa_exception_fp_ieee_underflow 0
		.amdhsa_exception_fp_ieee_inexact 0
		.amdhsa_exception_int_div_zero 0
	.end_amdhsa_kernel
	.section	.text._ZL33flash_attn_stream_k_fixup_generalILi64ELi32ELi1EEvPfPK15HIP_vector_typeIfLj2EEiiiiS1_IjLj3EES5_S5_S5_,"axG",@progbits,_ZL33flash_attn_stream_k_fixup_generalILi64ELi32ELi1EEvPfPK15HIP_vector_typeIfLj2EEiiiiS1_IjLj3EES5_S5_S5_,comdat
.Lfunc_end58:
	.size	_ZL33flash_attn_stream_k_fixup_generalILi64ELi32ELi1EEvPfPK15HIP_vector_typeIfLj2EEiiiiS1_IjLj3EES5_S5_S5_, .Lfunc_end58-_ZL33flash_attn_stream_k_fixup_generalILi64ELi32ELi1EEvPfPK15HIP_vector_typeIfLj2EEiiiiS1_IjLj3EES5_S5_S5_
                                        ; -- End function
	.section	.AMDGPU.csdata,"",@progbits
; Kernel info:
; codeLenInByte = 3220
; NumSgprs: 34
; NumVgprs: 19
; ScratchSize: 0
; MemoryBound: 0
; FloatMode: 240
; IeeeMode: 1
; LDSByteSize: 0 bytes/workgroup (compile time only)
; SGPRBlocks: 4
; VGPRBlocks: 2
; NumSGPRsForWavesPerEU: 34
; NumVGPRsForWavesPerEU: 19
; Occupancy: 16
; WaveLimiterHint : 0
; COMPUTE_PGM_RSRC2:SCRATCH_EN: 0
; COMPUTE_PGM_RSRC2:USER_SGPR: 13
; COMPUTE_PGM_RSRC2:TRAP_HANDLER: 0
; COMPUTE_PGM_RSRC2:TGID_X_EN: 1
; COMPUTE_PGM_RSRC2:TGID_Y_EN: 1
; COMPUTE_PGM_RSRC2:TGID_Z_EN: 1
; COMPUTE_PGM_RSRC2:TIDIG_COMP_CNT: 0
	.section	.text._ZL15flash_attn_tileILi64ELi64ELi16ELi1ELb0EEvPKcS1_S1_S1_S1_PKiPfP15HIP_vector_typeIfLj2EEffffjfiS5_IjLj3EEiiiiiiiiiiiliiliiiiil,"axG",@progbits,_ZL15flash_attn_tileILi64ELi64ELi16ELi1ELb0EEvPKcS1_S1_S1_S1_PKiPfP15HIP_vector_typeIfLj2EEffffjfiS5_IjLj3EEiiiiiiiiiiiliiliiiiil,comdat
	.globl	_ZL15flash_attn_tileILi64ELi64ELi16ELi1ELb0EEvPKcS1_S1_S1_S1_PKiPfP15HIP_vector_typeIfLj2EEffffjfiS5_IjLj3EEiiiiiiiiiiiliiliiiiil ; -- Begin function _ZL15flash_attn_tileILi64ELi64ELi16ELi1ELb0EEvPKcS1_S1_S1_S1_PKiPfP15HIP_vector_typeIfLj2EEffffjfiS5_IjLj3EEiiiiiiiiiiiliiliiiiil
	.p2align	8
	.type	_ZL15flash_attn_tileILi64ELi64ELi16ELi1ELb0EEvPKcS1_S1_S1_S1_PKiPfP15HIP_vector_typeIfLj2EEffffjfiS5_IjLj3EEiiiiiiiiiiiliiliiiiil,@function
_ZL15flash_attn_tileILi64ELi64ELi16ELi1ELb0EEvPKcS1_S1_S1_S1_PKiPfP15HIP_vector_typeIfLj2EEffffjfiS5_IjLj3EEiiiiiiiiiiiliiliiiiil: ; @_ZL15flash_attn_tileILi64ELi64ELi16ELi1ELb0EEvPKcS1_S1_S1_S1_PKiPfP15HIP_vector_typeIfLj2EEffffjfiS5_IjLj3EEiiiiiiiiiiiliiliiiiil
; %bb.0:
	s_clause 0x3
	s_load_b128 s[36:39], s[0:1], 0x5c
	s_load_b64 s[42:43], s[0:1], 0x80
	s_load_b512 s[16:31], s[0:1], 0x0
	s_load_b64 s[44:45], s[0:1], 0xb8
	s_mov_b64 s[40:41], 0
	s_waitcnt lgkmcnt(0)
	v_cvt_f32_u32_e32 v1, s39
	s_sub_i32 s3, 0, s39
	s_delay_alu instid0(VALU_DEP_1) | instskip(SKIP_2) | instid1(VALU_DEP_1)
	v_rcp_iflag_f32_e32 v1, v1
	s_waitcnt_depctr 0xfff
	v_mul_f32_e32 v1, 0x4f7ffffe, v1
	v_cvt_u32_f32_e32 v1, v1
	s_delay_alu instid0(VALU_DEP_1) | instskip(NEXT) | instid1(VALU_DEP_1)
	v_readfirstlane_b32 s2, v1
	s_mul_i32 s3, s3, s2
	s_delay_alu instid0(SALU_CYCLE_1) | instskip(NEXT) | instid1(SALU_CYCLE_1)
	s_mul_hi_u32 s3, s2, s3
	s_add_i32 s2, s2, s3
	s_delay_alu instid0(SALU_CYCLE_1) | instskip(NEXT) | instid1(SALU_CYCLE_1)
	s_mul_hi_u32 s2, s15, s2
	s_mul_i32 s3, s2, s39
	s_add_i32 s4, s2, 1
	s_sub_i32 s3, s15, s3
	s_delay_alu instid0(SALU_CYCLE_1)
	s_sub_i32 s5, s3, s39
	s_cmp_ge_u32 s3, s39
	s_cselect_b32 s2, s4, s2
	s_cselect_b32 s3, s5, s3
	s_add_i32 s4, s2, 1
	s_cmp_ge_u32 s3, s39
	s_cselect_b32 s33, s4, s2
	s_abs_i32 s2, s43
	s_abs_i32 s6, s39
	v_cvt_f32_u32_e32 v1, s2
	s_sub_i32 s4, 0, s2
	s_mul_i32 s5, s33, s39
	s_delay_alu instid0(SALU_CYCLE_1) | instskip(NEXT) | instid1(VALU_DEP_1)
	s_sub_i32 s34, s15, s5
	v_rcp_iflag_f32_e32 v1, v1
	s_waitcnt_depctr 0xfff
	v_mul_f32_e32 v1, 0x4f7ffffe, v1
	s_delay_alu instid0(VALU_DEP_1) | instskip(NEXT) | instid1(VALU_DEP_1)
	v_cvt_u32_f32_e32 v1, v1
	v_readfirstlane_b32 s3, v1
	s_delay_alu instid0(VALU_DEP_1) | instskip(NEXT) | instid1(SALU_CYCLE_1)
	s_mul_i32 s4, s4, s3
	s_mul_hi_u32 s4, s3, s4
	s_delay_alu instid0(SALU_CYCLE_1) | instskip(SKIP_4) | instid1(SALU_CYCLE_1)
	s_add_i32 s3, s3, s4
	s_xor_b32 s4, s39, s43
	s_mul_hi_u32 s3, s6, s3
	s_ashr_i32 s4, s4, 31
	s_mul_i32 s5, s3, s2
	s_sub_i32 s5, s6, s5
	s_add_i32 s6, s3, 1
	s_sub_i32 s7, s5, s2
	s_cmp_ge_u32 s5, s2
	s_cselect_b32 s3, s6, s3
	s_cselect_b32 s5, s7, s5
	s_add_i32 s6, s3, 1
	s_cmp_ge_u32 s5, s2
	s_cselect_b32 s2, s6, s3
	s_abs_i32 s43, s34
	s_xor_b32 s2, s2, s4
	s_delay_alu instid0(SALU_CYCLE_1) | instskip(NEXT) | instid1(SALU_CYCLE_1)
	s_sub_i32 s46, s2, s4
	s_abs_i32 s12, s46
	s_delay_alu instid0(SALU_CYCLE_1) | instskip(SKIP_1) | instid1(VALU_DEP_1)
	v_cvt_f32_u32_e32 v1, s12
	s_sub_i32 s3, 0, s12
	v_rcp_iflag_f32_e32 v1, v1
	s_waitcnt_depctr 0xfff
	v_mul_f32_e32 v1, 0x4f7ffffe, v1
	s_delay_alu instid0(VALU_DEP_1) | instskip(NEXT) | instid1(VALU_DEP_1)
	v_cvt_u32_f32_e32 v1, v1
	v_readfirstlane_b32 s2, v1
	s_delay_alu instid0(VALU_DEP_1) | instskip(NEXT) | instid1(SALU_CYCLE_1)
	s_mul_i32 s3, s3, s2
	s_mul_hi_u32 s3, s2, s3
	s_delay_alu instid0(SALU_CYCLE_1)
	s_add_i32 s2, s2, s3
	s_cmp_eq_u64 s[22:23], 0
	s_cbranch_scc1 .LBB59_2
; %bb.1:
	s_abs_i32 s3, s44
	s_abs_i32 s6, s33
	v_cvt_f32_u32_e32 v1, s3
	s_sub_i32 s5, 0, s3
	s_delay_alu instid0(VALU_DEP_1) | instskip(SKIP_2) | instid1(VALU_DEP_1)
	v_rcp_iflag_f32_e32 v1, v1
	s_waitcnt_depctr 0xfff
	v_mul_f32_e32 v1, 0x4f7ffffe, v1
	v_cvt_u32_f32_e32 v1, v1
	s_delay_alu instid0(VALU_DEP_1) | instskip(NEXT) | instid1(VALU_DEP_1)
	v_readfirstlane_b32 s4, v1
	s_mul_i32 s5, s5, s4
	s_delay_alu instid0(SALU_CYCLE_1) | instskip(NEXT) | instid1(SALU_CYCLE_1)
	s_mul_hi_u32 s5, s4, s5
	s_add_i32 s7, s4, s5
	s_load_b64 s[4:5], s[0:1], 0xc8
	s_mul_hi_u32 s7, s6, s7
	s_delay_alu instid0(SALU_CYCLE_1) | instskip(NEXT) | instid1(SALU_CYCLE_1)
	s_mul_i32 s7, s7, s3
	s_sub_i32 s6, s6, s7
	s_ashr_i32 s7, s33, 31
	s_sub_i32 s8, s6, s3
	s_cmp_ge_u32 s6, s3
	s_cselect_b32 s6, s8, s6
	s_delay_alu instid0(SALU_CYCLE_1) | instskip(SKIP_2) | instid1(SALU_CYCLE_1)
	s_sub_i32 s8, s6, s3
	s_cmp_ge_u32 s6, s3
	s_cselect_b32 s3, s8, s6
	s_xor_b32 s3, s3, s7
	s_delay_alu instid0(SALU_CYCLE_1)
	s_sub_i32 s3, s3, s7
	s_waitcnt lgkmcnt(0)
	s_mul_i32 s5, s3, s5
	s_mul_hi_u32 s6, s3, s4
	s_ashr_i32 s7, s3, 31
	s_add_i32 s5, s6, s5
	s_mul_i32 s7, s7, s4
	s_mul_i32 s3, s3, s4
	s_add_i32 s5, s5, s7
	s_add_u32 s40, s22, s3
	s_addc_u32 s41, s23, s5
.LBB59_2:
	s_clause 0x1
	s_load_b128 s[8:11], s[0:1], 0x40
	s_load_b32 s3, s[0:1], 0x50
	v_mov_b32_e32 v50, 1.0
	s_waitcnt lgkmcnt(0)
	v_cmp_le_f32_e64 s4, s9, 0
	s_mul_hi_u32 s9, s43, s2
	s_delay_alu instid0(VALU_DEP_1)
	s_and_b32 vcc_lo, exec_lo, s4
	s_cbranch_vccnz .LBB59_4
; %bb.3:
	s_sub_i32 s2, s34, s3
	s_add_i32 s4, s34, 1
	s_lshl_b32 s2, s2, 1
	v_mov_b32_e32 v1, s10
	s_or_b32 s2, s2, 1
	s_cmp_lt_u32 s34, s3
	s_cselect_b32 vcc_lo, -1, 0
	s_delay_alu instid0(VALU_DEP_1)
	v_cndmask_b32_e32 v3, s11, v1, vcc_lo
	s_and_b32 s3, vcc_lo, exec_lo
	s_cselect_b32 s2, s4, s2
	s_mov_b32 s3, 0x3e76c4e1
	v_cvt_f32_i32_e32 v1, s2
	v_cmp_neq_f32_e32 vcc_lo, 1.0, v3
	s_delay_alu instid0(VALU_DEP_2) | instskip(NEXT) | instid1(VALU_DEP_1)
	v_cndmask_b32_e32 v4, 1.0, v1, vcc_lo
	v_cmp_eq_f32_e32 vcc_lo, 0, v4
	v_cndmask_b32_e64 v5, |v3|, 1.0, vcc_lo
	s_delay_alu instid0(VALU_DEP_1) | instskip(NEXT) | instid1(VALU_DEP_1)
	v_frexp_mant_f32_e32 v1, v5
	v_cmp_gt_f32_e64 s2, 0x3f2aaaab, v1
	s_delay_alu instid0(VALU_DEP_1) | instskip(NEXT) | instid1(VALU_DEP_1)
	v_cndmask_b32_e64 v2, 1.0, 2.0, s2
	v_mul_f32_e32 v1, v1, v2
	s_delay_alu instid0(VALU_DEP_1) | instskip(SKIP_1) | instid1(VALU_DEP_2)
	v_add_f32_e32 v2, 1.0, v1
	v_add_f32_e32 v7, -1.0, v1
	v_rcp_f32_e32 v6, v2
	s_waitcnt_depctr 0xfff
	v_mul_f32_e32 v8, v7, v6
	s_delay_alu instid0(VALU_DEP_1) | instskip(NEXT) | instid1(VALU_DEP_1)
	v_dual_add_f32 v9, -1.0, v2 :: v_dual_mul_f32 v10, v2, v8
	v_sub_f32_e32 v1, v1, v9
	v_cndmask_b32_e64 v3, v3, 1.0, vcc_lo
	s_delay_alu instid0(VALU_DEP_3) | instskip(NEXT) | instid1(VALU_DEP_2)
	v_fma_f32 v2, v8, v2, -v10
	v_cmp_eq_f32_e64 s4, 0, v3
	s_delay_alu instid0(VALU_DEP_2) | instskip(NEXT) | instid1(VALU_DEP_1)
	v_fmac_f32_e32 v2, v8, v1
	v_add_f32_e32 v1, v10, v2
	s_delay_alu instid0(VALU_DEP_1) | instskip(NEXT) | instid1(VALU_DEP_1)
	v_dual_sub_f32 v10, v1, v10 :: v_dual_sub_f32 v9, v7, v1
	v_dual_sub_f32 v2, v10, v2 :: v_dual_sub_f32 v7, v7, v9
	s_delay_alu instid0(VALU_DEP_1) | instskip(NEXT) | instid1(VALU_DEP_1)
	v_sub_f32_e32 v1, v7, v1
	v_add_f32_e32 v1, v2, v1
	s_delay_alu instid0(VALU_DEP_1) | instskip(NEXT) | instid1(VALU_DEP_1)
	v_add_f32_e32 v1, v9, v1
	v_mul_f32_e32 v1, v6, v1
	s_delay_alu instid0(VALU_DEP_1) | instskip(NEXT) | instid1(VALU_DEP_1)
	v_add_f32_e32 v6, v8, v1
	v_sub_f32_e32 v2, v6, v8
	v_mul_f32_e32 v7, v6, v6
	s_delay_alu instid0(VALU_DEP_2) | instskip(NEXT) | instid1(VALU_DEP_2)
	v_sub_f32_e32 v8, v1, v2
	v_fma_f32 v9, v6, v6, -v7
	s_delay_alu instid0(VALU_DEP_2) | instskip(NEXT) | instid1(VALU_DEP_1)
	v_add_f32_e32 v1, v8, v8
	v_fmac_f32_e32 v9, v6, v1
	v_cvt_f64_f32_e32 v[1:2], v5
	s_delay_alu instid0(VALU_DEP_2) | instskip(NEXT) | instid1(VALU_DEP_1)
	v_add_f32_e32 v10, v7, v9
	v_fmaak_f32 v11, s3, v10, 0x3e91f4c4
	v_sub_f32_e32 v7, v10, v7
	v_mul_f32_e32 v14, v6, v10
	s_delay_alu instid0(VALU_DEP_3) | instskip(NEXT) | instid1(VALU_DEP_3)
	v_fmaak_f32 v11, v10, v11, 0x3ecccdef
	v_sub_f32_e32 v7, v9, v7
	s_delay_alu instid0(VALU_DEP_2) | instskip(NEXT) | instid1(VALU_DEP_1)
	v_mul_f32_e32 v12, v10, v11
	v_fma_f32 v9, v10, v11, -v12
	s_delay_alu instid0(VALU_DEP_1) | instskip(NEXT) | instid1(VALU_DEP_1)
	v_fmac_f32_e32 v9, v7, v11
	v_add_f32_e32 v11, v12, v9
	v_frexp_exp_i32_f64_e32 v1, v[1:2]
	s_delay_alu instid0(VALU_DEP_2) | instskip(NEXT) | instid1(VALU_DEP_1)
	v_sub_f32_e32 v12, v11, v12
	v_sub_f32_e32 v2, v9, v12
	v_fma_f32 v12, v10, v6, -v14
	s_delay_alu instid0(VALU_DEP_2) | instskip(NEXT) | instid1(VALU_DEP_2)
	v_add_f32_e32 v2, 0x31739010, v2
	v_dual_add_f32 v13, 0x3f2aaaaa, v11 :: v_dual_fmac_f32 v12, v10, v8
	v_ldexp_f32 v8, v8, 1
	s_delay_alu instid0(VALU_DEP_2) | instskip(NEXT) | instid1(VALU_DEP_1)
	v_dual_add_f32 v9, 0xbf2aaaaa, v13 :: v_dual_fmac_f32 v12, v7, v6
	v_sub_f32_e32 v9, v11, v9
	s_delay_alu instid0(VALU_DEP_1) | instskip(NEXT) | instid1(VALU_DEP_3)
	v_add_f32_e32 v2, v2, v9
	v_add_f32_e32 v9, v14, v12
	s_delay_alu instid0(VALU_DEP_2) | instskip(NEXT) | instid1(VALU_DEP_1)
	v_add_f32_e32 v7, v13, v2
	v_sub_f32_e32 v10, v13, v7
	s_delay_alu instid0(VALU_DEP_3) | instskip(SKIP_2) | instid1(VALU_DEP_4)
	v_mul_f32_e32 v11, v9, v7
	v_sub_f32_e32 v13, v9, v14
	v_subrev_co_ci_u32_e64 v1, s2, 0, v1, s2
	v_add_f32_e32 v2, v2, v10
	s_delay_alu instid0(VALU_DEP_4) | instskip(NEXT) | instid1(VALU_DEP_4)
	v_fma_f32 v10, v9, v7, -v11
	v_sub_f32_e32 v12, v12, v13
	s_delay_alu instid0(VALU_DEP_4) | instskip(NEXT) | instid1(VALU_DEP_3)
	v_cvt_f32_i32_e32 v1, v1
	v_fmac_f32_e32 v10, v9, v2
	v_ldexp_f32 v2, v6, 1
	s_delay_alu instid0(VALU_DEP_2) | instskip(NEXT) | instid1(VALU_DEP_1)
	v_fmac_f32_e32 v10, v12, v7
	v_add_f32_e32 v6, v11, v10
	s_delay_alu instid0(VALU_DEP_1) | instskip(NEXT) | instid1(VALU_DEP_1)
	v_add_f32_e32 v7, v2, v6
	v_dual_sub_f32 v2, v7, v2 :: v_dual_sub_f32 v9, v6, v11
	s_delay_alu instid0(VALU_DEP_1) | instskip(NEXT) | instid1(VALU_DEP_2)
	v_sub_f32_e32 v2, v6, v2
	v_sub_f32_e32 v9, v10, v9
	s_delay_alu instid0(VALU_DEP_1) | instskip(NEXT) | instid1(VALU_DEP_1)
	v_add_f32_e32 v6, v8, v9
	v_dual_mul_f32 v11, 0x3f317218, v1 :: v_dual_add_f32 v2, v6, v2
	s_delay_alu instid0(VALU_DEP_1) | instskip(NEXT) | instid1(VALU_DEP_2)
	v_fma_f32 v10, 0x3f317218, v1, -v11
	v_add_f32_e32 v8, v7, v2
	s_delay_alu instid0(VALU_DEP_1) | instskip(NEXT) | instid1(VALU_DEP_1)
	v_sub_f32_e32 v7, v8, v7
	v_dual_fmamk_f32 v1, v1, 0xb102e308, v10 :: v_dual_sub_f32 v2, v2, v7
	s_delay_alu instid0(VALU_DEP_1) | instskip(NEXT) | instid1(VALU_DEP_1)
	v_add_f32_e32 v6, v11, v1
	v_add_f32_e32 v9, v6, v8
	s_delay_alu instid0(VALU_DEP_1) | instskip(NEXT) | instid1(VALU_DEP_1)
	v_dual_sub_f32 v11, v6, v11 :: v_dual_sub_f32 v10, v9, v6
	v_sub_f32_e32 v12, v9, v10
	s_delay_alu instid0(VALU_DEP_2) | instskip(NEXT) | instid1(VALU_DEP_2)
	v_sub_f32_e32 v1, v1, v11
	v_dual_sub_f32 v7, v8, v10 :: v_dual_sub_f32 v6, v6, v12
	s_delay_alu instid0(VALU_DEP_2) | instskip(NEXT) | instid1(VALU_DEP_2)
	v_add_f32_e32 v8, v1, v2
	v_add_f32_e32 v6, v7, v6
	s_delay_alu instid0(VALU_DEP_1) | instskip(NEXT) | instid1(VALU_DEP_1)
	v_add_f32_e32 v6, v8, v6
	v_dual_sub_f32 v7, v8, v1 :: v_dual_add_f32 v10, v9, v6
	s_delay_alu instid0(VALU_DEP_1) | instskip(SKIP_1) | instid1(VALU_DEP_3)
	v_sub_f32_e32 v8, v8, v7
	v_sub_f32_e32 v2, v2, v7
	;; [unrolled: 1-line block ×3, first 2 shown]
	s_delay_alu instid0(VALU_DEP_3) | instskip(NEXT) | instid1(VALU_DEP_1)
	v_sub_f32_e32 v1, v1, v8
	v_add_f32_e32 v1, v2, v1
	s_delay_alu instid0(VALU_DEP_3) | instskip(NEXT) | instid1(VALU_DEP_1)
	v_sub_f32_e32 v2, v6, v7
	v_add_f32_e32 v1, v1, v2
	s_delay_alu instid0(VALU_DEP_1) | instskip(NEXT) | instid1(VALU_DEP_1)
	v_add_f32_e32 v2, v10, v1
	v_mul_f32_e32 v7, v4, v2
	v_sub_f32_e32 v6, v2, v10
	s_delay_alu instid0(VALU_DEP_2) | instskip(NEXT) | instid1(VALU_DEP_2)
	v_fma_f32 v2, v4, v2, -v7
	v_sub_f32_e32 v1, v1, v6
	v_cmp_class_f32_e64 s2, v7, 0x204
	s_delay_alu instid0(VALU_DEP_2) | instskip(NEXT) | instid1(VALU_DEP_1)
	v_fmac_f32_e32 v2, v4, v1
	v_add_f32_e32 v1, v7, v2
	s_delay_alu instid0(VALU_DEP_1) | instskip(NEXT) | instid1(VALU_DEP_1)
	v_cndmask_b32_e64 v6, v1, v7, s2
	v_cmp_eq_f32_e64 s2, 0x42b17218, v6
	s_delay_alu instid0(VALU_DEP_1) | instskip(SKIP_1) | instid1(VALU_DEP_2)
	v_cndmask_b32_e64 v8, 0, 0x37000000, s2
	v_cmp_neq_f32_e64 s2, 0x7f800000, |v6|
	v_sub_f32_e32 v9, v6, v8
	v_trunc_f32_e32 v6, v4
	s_delay_alu instid0(VALU_DEP_2) | instskip(NEXT) | instid1(VALU_DEP_1)
	v_mul_f32_e32 v10, 0x3fb8aa3b, v9
	v_fma_f32 v11, 0x3fb8aa3b, v9, -v10
	v_rndne_f32_e32 v12, v10
	s_delay_alu instid0(VALU_DEP_1) | instskip(NEXT) | instid1(VALU_DEP_1)
	v_dual_fmamk_f32 v11, v9, 0x32a5705f, v11 :: v_dual_sub_f32 v10, v10, v12
	v_add_f32_e32 v10, v10, v11
	v_sub_f32_e32 v1, v1, v7
	v_cvt_i32_f32_e32 v7, v12
	s_delay_alu instid0(VALU_DEP_3) | instskip(NEXT) | instid1(VALU_DEP_2)
	v_exp_f32_e32 v10, v10
	v_sub_f32_e32 v1, v2, v1
	s_delay_alu instid0(VALU_DEP_1)
	v_cndmask_b32_e64 v1, 0, v1, s2
	v_cmp_ngt_f32_e64 s2, 0xc2ce8ed0, v9
	s_waitcnt_depctr 0xfff
	v_ldexp_f32 v2, v10, v7
	v_mul_f32_e32 v7, 0.5, v4
	v_add_f32_e32 v1, v8, v1
	s_delay_alu instid0(VALU_DEP_3) | instskip(NEXT) | instid1(VALU_DEP_3)
	v_cndmask_b32_e64 v2, 0, v2, s2
	v_trunc_f32_e32 v10, v7
	v_cmp_nlt_f32_e64 s2, 0x42b17218, v9
	s_delay_alu instid0(VALU_DEP_2) | instskip(NEXT) | instid1(VALU_DEP_2)
	v_cmp_neq_f32_e64 s3, v10, v7
	v_cndmask_b32_e64 v2, 0x7f800000, v2, s2
	v_cmp_eq_f32_e64 s2, v6, v4
	s_delay_alu instid0(VALU_DEP_2) | instskip(NEXT) | instid1(VALU_DEP_2)
	v_fma_f32 v1, v2, v1, v2
	s_and_b32 vcc_lo, s2, s3
	v_cmp_class_f32_e64 s3, v2, 0x204
	v_cndmask_b32_e32 v6, 1.0, v3, vcc_lo
	s_delay_alu instid0(VALU_DEP_2) | instskip(SKIP_1) | instid1(VALU_DEP_2)
	v_cndmask_b32_e64 v1, v1, v2, s3
	v_cmp_gt_f32_e64 s3, 0, v4
	v_bfi_b32 v1, 0x7fffffff, v1, v6
	s_delay_alu instid0(VALU_DEP_2)
	s_xor_b32 s3, s3, s4
	v_cndmask_b32_e32 v6, 0, v3, vcc_lo
	v_cndmask_b32_e64 v2, 0x7f800000, 0, s3
	v_cmp_eq_f32_e32 vcc_lo, 0x7f800000, v5
	v_cndmask_b32_e64 v4, 0x7fc00000, v1, s2
	v_cmp_gt_f32_e64 s2, 0, v3
	s_delay_alu instid0(VALU_DEP_4) | instskip(SKIP_1) | instid1(VALU_DEP_2)
	v_bfi_b32 v2, 0x7fffffff, v2, v6
	s_or_b32 vcc_lo, vcc_lo, s4
	v_cndmask_b32_e64 v1, v1, v4, s2
	s_delay_alu instid0(VALU_DEP_1) | instskip(SKIP_1) | instid1(VALU_DEP_2)
	v_cndmask_b32_e32 v1, v1, v2, vcc_lo
	v_cmp_o_f32_e32 vcc_lo, v3, v3
	v_cndmask_b32_e32 v50, 0x7fc00000, v1, vcc_lo
.LBB59_4:
	v_bfe_u32 v47, v0, 10, 10
	s_lshl_b32 s15, s13, 4
	s_load_b128 s[4:7], s[0:1], 0x70
	s_ashr_i32 s35, s34, 31
	s_ashr_i32 s10, s46, 31
	v_lshlrev_b32_e32 v41, 2, v47
	v_and_b32_e32 v44, 0x3ff, v0
	s_delay_alu instid0(VALU_DEP_2) | instskip(SKIP_2) | instid1(VALU_DEP_4)
	v_or_b32_e32 v38, 2, v41
	v_or_b32_e32 v39, 1, v41
	;; [unrolled: 1-line block ×3, first 2 shown]
	v_lshlrev_b32_e32 v20, 3, v44
	v_lshlrev_b32_e32 v46, 2, v44
	v_add_nc_u32_e32 v40, s15, v38
	v_add_nc_u32_e32 v42, s15, v39
	;; [unrolled: 1-line block ×3, first 2 shown]
	s_delay_alu instid0(VALU_DEP_3) | instskip(NEXT) | instid1(VALU_DEP_3)
	v_mul_hi_u32 v3, v40, s36
	v_mul_hi_u32 v2, v42, s36
	s_waitcnt lgkmcnt(0)
	s_mul_i32 s2, s33, s6
	s_mul_i32 s3, s34, s5
	s_ashr_i32 s5, s2, 31
	s_add_u32 s2, s16, s2
	s_addc_u32 s5, s17, s5
	s_ashr_i32 s6, s3, 31
	v_add_nc_u32_e32 v3, v40, v3
	v_add_nc_u32_e32 v2, v42, v2
	s_add_u32 s2, s2, s3
	s_addc_u32 s3, s5, s6
	s_ashr_i32 s5, s4, 31
	v_lshrrev_b32_e32 v3, s37, v3
	v_lshrrev_b32_e32 v2, s37, v2
	v_alignbit_b32 v9, s5, s4, 2
	v_mul_hi_u32 v4, v37, s36
	s_lshr_b32 s4, s5, 2
	v_mul_lo_u32 v3, v3, s38
	v_mul_lo_u32 v5, v2, s38
	s_cmp_eq_u64 s[26:27], 0
	s_delay_alu instid0(VALU_DEP_3) | instskip(NEXT) | instid1(VALU_DEP_3)
	v_add_nc_u32_e32 v4, v37, v4
	v_sub_nc_u32_e32 v13, v40, v3
	s_delay_alu instid0(VALU_DEP_3) | instskip(NEXT) | instid1(VALU_DEP_3)
	v_sub_nc_u32_e32 v12, v42, v5
	v_lshrrev_b32_e32 v4, s37, v4
	s_delay_alu instid0(VALU_DEP_3) | instskip(SKIP_1) | instid1(VALU_DEP_3)
	v_mad_u64_u32 v[5:6], null, v9, v13, 0
	v_add_nc_u32_e32 v43, s15, v41
	v_mul_lo_u32 v4, v4, s38
	s_delay_alu instid0(VALU_DEP_3) | instskip(NEXT) | instid1(VALU_DEP_3)
	v_mov_b32_e32 v0, v6
	v_mul_hi_u32 v1, v43, s36
	s_delay_alu instid0(VALU_DEP_3) | instskip(SKIP_1) | instid1(VALU_DEP_2)
	v_sub_nc_u32_e32 v14, v37, v4
	v_mad_u64_u32 v[3:4], null, v9, v12, 0
	v_mad_u64_u32 v[7:8], null, v9, v14, 0
	s_delay_alu instid0(VALU_DEP_4) | instskip(NEXT) | instid1(VALU_DEP_1)
	v_add_nc_u32_e32 v1, v43, v1
	v_lshrrev_b32_e32 v1, s37, v1
	s_delay_alu instid0(VALU_DEP_1) | instskip(NEXT) | instid1(VALU_DEP_1)
	v_mul_lo_u32 v1, v1, s38
	v_sub_nc_u32_e32 v56, v43, v1
	s_delay_alu instid0(VALU_DEP_1) | instskip(NEXT) | instid1(VALU_DEP_1)
	v_mad_u64_u32 v[1:2], null, v9, v56, 0
	v_mad_u64_u32 v[9:10], null, s4, v56, v[2:3]
	v_mov_b32_e32 v2, v4
	v_mov_b32_e32 v4, v8
	s_delay_alu instid0(VALU_DEP_2) | instskip(NEXT) | instid1(VALU_DEP_4)
	v_mad_u64_u32 v[10:11], null, s4, v12, v[2:3]
	v_mov_b32_e32 v2, v9
	v_mad_u64_u32 v[11:12], null, s4, v13, v[0:1]
	s_delay_alu instid0(VALU_DEP_4) | instskip(NEXT) | instid1(VALU_DEP_3)
	v_mad_u64_u32 v[8:9], null, s4, v14, v[4:5]
	v_lshlrev_b64 v[0:1], 2, v[1:2]
	v_mov_b32_e32 v4, v10
	v_add_co_u32 v9, s2, s2, v20
	v_mov_b32_e32 v6, v11
	v_add_co_ci_u32_e64 v10, null, s3, 0, s2
	s_delay_alu instid0(VALU_DEP_4) | instskip(NEXT) | instid1(VALU_DEP_4)
	v_lshlrev_b64 v[2:3], 2, v[3:4]
	v_add_co_u32 v0, vcc_lo, v9, v0
	s_delay_alu instid0(VALU_DEP_4) | instskip(NEXT) | instid1(VALU_DEP_4)
	v_lshlrev_b64 v[4:5], 2, v[5:6]
	v_add_co_ci_u32_e32 v1, vcc_lo, v10, v1, vcc_lo
	s_delay_alu instid0(VALU_DEP_4) | instskip(SKIP_4) | instid1(VALU_DEP_4)
	v_add_co_u32 v2, vcc_lo, v9, v2
	v_lshlrev_b64 v[6:7], 2, v[7:8]
	v_add_co_ci_u32_e32 v3, vcc_lo, v10, v3, vcc_lo
	v_add_co_u32 v4, vcc_lo, v9, v4
	v_add_co_ci_u32_e32 v5, vcc_lo, v10, v5, vcc_lo
	v_add_co_u32 v6, vcc_lo, v9, v6
	v_lshlrev_b32_e32 v9, 5, v38
	v_add_co_ci_u32_e32 v7, vcc_lo, v10, v7, vcc_lo
	s_clause 0x3
	global_load_b64 v[0:1], v[0:1], off
	global_load_b64 v[2:3], v[2:3], off
	;; [unrolled: 1-line block ×4, first 2 shown]
	v_lshlrev_b32_e32 v8, 5, v39
	v_lshlrev_b32_e32 v11, 5, v36
	v_lshl_or_b32 v10, v47, 9, v46
	v_add_lshl_u32 v9, v9, v44, 2
	s_mov_b32 s3, 0
	v_add_lshl_u32 v8, v8, v44, 2
	v_add_lshl_u32 v11, v11, v44, 2
	s_waitcnt vmcnt(3)
	v_fma_mixlo_f16 v0, v0, s8, 0
	s_waitcnt vmcnt(2)
	v_fma_mixlo_f16 v2, v2, s8, 0
	;; [unrolled: 2-line block ×4, first 2 shown]
	v_fma_mixhi_f16 v0, v1, s8, 0
	v_fma_mixhi_f16 v2, v3, s8, 0
	;; [unrolled: 1-line block ×3, first 2 shown]
	s_delay_alu instid0(VALU_DEP_4)
	v_fma_mixhi_f16 v6, v7, s8, 0
	ds_store_b32 v10, v0 offset:22528
	ds_store_b32 v8, v2 offset:22528
	;; [unrolled: 1-line block ×4, first 2 shown]
	s_waitcnt lgkmcnt(0)
	s_barrier
	buffer_gl0_inv
	s_cbranch_scc1 .LBB59_6
; %bb.5:
	s_load_b32 s2, s[0:1], 0xd0
	s_waitcnt lgkmcnt(0)
	s_mul_i32 s2, s2, s33
	s_delay_alu instid0(SALU_CYCLE_1) | instskip(NEXT) | instid1(SALU_CYCLE_1)
	s_add_i32 s2, s2, s13
	s_lshl_b64 s[2:3], s[2:3], 2
	s_delay_alu instid0(SALU_CYCLE_1)
	s_add_u32 s2, s26, s2
	s_addc_u32 s3, s27, s3
	s_load_b32 s42, s[2:3], 0x0
.LBB59_6:
	s_clause 0x2
	s_load_b64 s[2:3], s[0:1], 0x8c
	s_load_b128 s[4:7], s[0:1], 0x98
	s_load_b64 s[26:27], s[0:1], 0xa8
	s_ashr_i32 s11, s33, 31
	s_ashr_i32 s22, s45, 1
	s_mul_i32 s13, s9, s12
	v_mov_b32_e32 v58, 0
	v_mov_b32_e32 v52, 0
	v_lshrrev_b32_e32 v62, 3, v44
	v_mul_u32_u24_e32 v57, 0x90, v44
	v_or_b32_e32 v55, 1, v43
	v_or_b32_e32 v54, 2, v43
	;; [unrolled: 1-line block ×3, first 2 shown]
	v_mbcnt_lo_u32_b32 v45, -1, 0
	s_mov_b32 s44, 0xfeffffff
	s_waitcnt lgkmcnt(0)
	s_ashr_i32 s8, s2, 2
	s_mul_i32 s2, s33, s5
	s_mul_hi_u32 s5, s33, s4
	s_ashr_i32 s17, s6, 2
	s_mul_i32 s6, s11, s4
	s_add_i32 s2, s5, s2
	s_mul_i32 s4, s33, s4
	s_add_i32 s2, s2, s6
	s_add_u32 s4, s18, s4
	s_addc_u32 s2, s19, s2
	s_sub_i32 s6, s43, s13
	s_xor_b32 s5, s35, s10
	s_add_i32 s10, s9, 1
	s_sub_i32 s13, s6, s12
	s_cmp_ge_u32 s6, s12
	s_mul_i32 s11, s11, s26
	s_cselect_b32 s9, s10, s9
	s_cselect_b32 s6, s13, s6
	s_add_i32 s10, s9, 1
	s_cmp_ge_u32 s6, s12
	s_mul_i32 s12, s33, s26
	s_cselect_b32 s6, s10, s9
	s_mul_i32 s9, s33, s27
	s_xor_b32 s6, s6, s5
	s_mul_hi_u32 s10, s33, s26
	s_sub_i32 s6, s6, s5
	s_delay_alu instid0(SALU_CYCLE_1)
	s_mul_i32 s3, s6, s3
	s_mul_i32 s6, s6, s7
	s_ashr_i32 s5, s3, 31
	s_add_u32 s4, s4, s3
	s_addc_u32 s5, s2, s5
	s_add_i32 s2, s10, s9
	s_delay_alu instid0(SALU_CYCLE_1)
	s_add_i32 s2, s2, s11
	s_add_u32 s3, s20, s12
	s_addc_u32 s2, s21, s2
	s_ashr_i32 s7, s6, 31
	s_add_u32 s18, s3, s6
	s_addc_u32 s19, s2, s7
	s_lshl_b32 s16, s14, 7
	s_add_i32 s6, s42, 0xffffff80
	s_delay_alu instid0(SALU_CYCLE_1)
	s_cmp_ge_i32 s16, s6
	s_cbranch_scc1 .LBB59_43
; %bb.7:
	v_dual_mov_b32 v95, 0xfeffffff :: v_dual_add_nc_u32 v4, v62, v41
	s_lshl_b32 s2, s8, 4
	s_cmp_lg_u64 s[40:41], 0
	v_mul_hi_u32 v1, s36, v55
	s_delay_alu instid0(VALU_DEP_2)
	v_mul_lo_u32 v21, s17, v4
	s_cselect_b32 s7, -1, 0
	s_lshl_b32 s3, s17, 4
	v_mul_hi_u32 v3, s36, v54
	v_mov_b32_e32 v94, 0xfeffffff
	v_mul_lo_u32 v0, s8, v4
	v_lshl_add_u32 v77, v47, 10, 0x4800
	v_add_nc_u32_e32 v9, v55, v1
	v_dual_mov_b32 v90, 0 :: v_dual_add_nc_u32 v23, s3, v21
	v_mul_hi_u32 v5, s36, v53
	v_add_nc_u32_e32 v3, v54, v3
	s_delay_alu instid0(VALU_DEP_4) | instskip(NEXT) | instid1(VALU_DEP_4)
	v_lshrrev_b32_e32 v9, s37, v9
	v_add_nc_u32_e32 v25, s3, v23
	v_add_nc_u32_e32 v2, s2, v0
	v_add_nc_u32_e32 v86, v77, v20
	v_lshrrev_b32_e32 v11, s37, v3
	v_mul_lo_u32 v13, v9, s38
	v_add_nc_u32_e32 v27, s3, v25
	v_ashrrev_i32_e32 v26, 31, v25
	v_dual_mov_b32 v92, 0xfeffffff :: v_dual_add_nc_u32 v5, v53, v5
	v_mul_lo_u32 v22, v11, s38
	s_delay_alu instid0(VALU_DEP_4)
	v_add_nc_u32_e32 v29, s3, v27
	v_ashrrev_i32_e32 v28, 31, v27
	v_sub_nc_u32_e32 v24, v55, v13
	v_lshrrev_b32_e32 v5, s37, v5
	v_dual_mov_b32 v49, 0 :: v_dual_and_b32 v6, 28, v46
	v_add_nc_u32_e32 v31, s3, v29
	v_sub_nc_u32_e32 v22, v54, v22
	v_mul_lo_u32 v73, v24, s22
	v_ashrrev_i32_e32 v24, 31, v23
	v_ashrrev_i32_e32 v30, 31, v29
	v_add_nc_u32_e32 v33, s3, v31
	v_mul_lo_u32 v74, v22, s22
	v_ashrrev_i32_e32 v22, 31, v21
	v_ashrrev_i32_e32 v32, 31, v31
	v_mul_lo_u32 v5, v5, s38
	v_add_nc_u32_e32 v51, s3, v33
	v_ashrrev_i32_e32 v34, 31, v33
	v_lshlrev_b64 v[20:21], 2, v[21:22]
	v_lshlrev_b64 v[22:23], 2, v[23:24]
	;; [unrolled: 1-line block ×3, first 2 shown]
	v_ashrrev_i32_e32 v52, 31, v51
	v_lshlrev_b64 v[26:27], 2, v[27:28]
	v_lshlrev_b64 v[28:29], 2, v[29:30]
	;; [unrolled: 1-line block ×5, first 2 shown]
	v_dual_mov_b32 v51, 0 :: v_dual_add_nc_u32 v8, s2, v2
	v_mov_b32_e32 v93, 0xfeffffff
	v_dual_mov_b32 v91, 0 :: v_dual_mov_b32 v48, 0
	v_lshlrev_b32_e32 v7, 2, v6
	s_delay_alu instid0(VALU_DEP_4)
	v_add_nc_u32_e32 v10, s2, v8
	v_sub_nc_u32_e32 v5, v53, v5
	v_ashrrev_i32_e32 v1, 31, v0
	v_ashrrev_i32_e32 v3, 31, v2
	;; [unrolled: 1-line block ×3, first 2 shown]
	v_add_nc_u32_e32 v12, s2, v10
	v_ashrrev_i32_e32 v11, 31, v10
	v_mad_u32_u24 v64, 0x90, v4, v7
	v_lshl_or_b32 v75, v4, 7, v7
	v_mul_lo_u32 v72, v56, s22
	v_add_nc_u32_e32 v14, s2, v12
	v_ashrrev_i32_e32 v13, 31, v12
	v_mul_lo_u32 v76, v5, s22
	v_lshlrev_b64 v[4:5], 2, v[0:1]
	v_lshlrev_b32_e32 v85, 2, v6
	v_add_nc_u32_e32 v16, s2, v14
	v_ashrrev_i32_e32 v15, 31, v14
	v_lshlrev_b64 v[6:7], 2, v[2:3]
	v_lshlrev_b64 v[8:9], 2, v[8:9]
	;; [unrolled: 1-line block ×3, first 2 shown]
	v_add_nc_u32_e32 v18, s2, v16
	v_ashrrev_i32_e32 v17, 31, v16
	s_add_u32 s2, s0, 0xd0
	s_addc_u32 s3, s1, 0
	s_add_u32 s9, s40, 64
	v_ashrrev_i32_e32 v19, 31, v18
	s_addc_u32 s10, s41, 0
	v_lshlrev_b64 v[12:13], 2, v[12:13]
	v_lshlrev_b64 v[14:15], 2, v[14:15]
	;; [unrolled: 1-line block ×4, first 2 shown]
	v_lshl_add_u32 v63, v47, 9, 0x5800
	v_dual_mov_b32 v88, 0 :: v_dual_add_nc_u32 v65, 0x900, v64
	v_dual_mov_b32 v89, 0 :: v_dual_add_nc_u32 v66, 0x1200, v64
	v_add_nc_u32_e32 v67, 0x1b00, v64
	v_add_nc_u32_e32 v68, 0x2400, v64
	;; [unrolled: 1-line block ×12, first 2 shown]
	s_add_u32 s11, s40, 0x80
	v_mbcnt_lo_u32_b32 v87, -1, 0
	v_mov_b32_e32 v52, 0
	s_addc_u32 s12, s41, 0
	s_add_u32 s13, s40, 0xc0
	s_addc_u32 s20, s41, 0
.LBB59_8:                               ; =>This Inner Loop Header: Depth=1
	s_mul_hi_i32 s27, s16, s8
	s_mul_i32 s26, s16, s8
	s_delay_alu instid0(SALU_CYCLE_1) | instskip(NEXT) | instid1(SALU_CYCLE_1)
	s_lshl_b64 s[26:27], s[26:27], 2
	s_add_u32 s21, s4, s26
	s_addc_u32 s23, s5, s27
	v_add_co_u32 v0, vcc_lo, s21, v4
	v_add_co_ci_u32_e32 v1, vcc_lo, s23, v5, vcc_lo
	v_add_co_u32 v2, vcc_lo, s21, v6
	v_add_co_ci_u32_e32 v3, vcc_lo, s23, v7, vcc_lo
	s_delay_alu instid0(VALU_DEP_4) | instskip(NEXT) | instid1(VALU_DEP_4)
	v_add_co_u32 v0, vcc_lo, v0, v85
	v_add_co_ci_u32_e32 v1, vcc_lo, 0, v1, vcc_lo
	s_delay_alu instid0(VALU_DEP_4) | instskip(NEXT) | instid1(VALU_DEP_4)
	v_add_co_u32 v58, vcc_lo, v2, v85
	v_add_co_ci_u32_e32 v59, vcc_lo, 0, v3, vcc_lo
	s_clause 0x1
	global_load_b128 v[0:3], v[0:1], off
	global_load_b128 v[98:101], v[58:59], off
	v_add_co_u32 v58, vcc_lo, s21, v8
	v_add_co_ci_u32_e32 v59, vcc_lo, s23, v9, vcc_lo
	v_add_co_u32 v60, vcc_lo, s21, v10
	v_add_co_ci_u32_e32 v61, vcc_lo, s23, v11, vcc_lo
	s_delay_alu instid0(VALU_DEP_4) | instskip(NEXT) | instid1(VALU_DEP_4)
	v_add_co_u32 v58, vcc_lo, v58, v85
	v_add_co_ci_u32_e32 v59, vcc_lo, 0, v59, vcc_lo
	s_delay_alu instid0(VALU_DEP_4) | instskip(NEXT) | instid1(VALU_DEP_4)
	v_add_co_u32 v60, vcc_lo, v60, v85
	v_add_co_ci_u32_e32 v61, vcc_lo, 0, v61, vcc_lo
	v_add_co_u32 v96, vcc_lo, s21, v12
	v_add_co_ci_u32_e32 v97, vcc_lo, s23, v13, vcc_lo
	v_add_co_u32 v102, vcc_lo, s21, v14
	v_add_co_ci_u32_e32 v103, vcc_lo, s23, v15, vcc_lo
	s_delay_alu instid0(VALU_DEP_4) | instskip(NEXT) | instid1(VALU_DEP_4)
	v_add_co_u32 v96, vcc_lo, v96, v85
	v_add_co_ci_u32_e32 v97, vcc_lo, 0, v97, vcc_lo
	s_delay_alu instid0(VALU_DEP_4) | instskip(NEXT) | instid1(VALU_DEP_4)
	v_add_co_u32 v115, vcc_lo, v102, v85
	v_add_co_ci_u32_e32 v116, vcc_lo, 0, v103, vcc_lo
	;; [unrolled: 10-line block ×3, first 2 shown]
	s_clause 0x5
	global_load_b128 v[103:106], v[58:59], off
	global_load_b128 v[107:110], v[60:61], off
	;; [unrolled: 1-line block ×6, first 2 shown]
	v_dual_mov_b32 v102, 0 :: v_dual_mov_b32 v97, 0
	v_mov_b32_e32 v59, 0
	v_dual_mov_b32 v61, 0 :: v_dual_mov_b32 v96, 0
	s_and_not1_b32 vcc_lo, exec_lo, s7
	s_waitcnt vmcnt(7)
	ds_store_b128 v64, v[0:3]
	s_waitcnt vmcnt(6)
	ds_store_b128 v65, v[98:101]
	;; [unrolled: 2-line block ×8, first 2 shown]
	s_waitcnt lgkmcnt(0)
	s_barrier
	buffer_gl0_inv
	ds_load_b128 v[106:109], v57
	ds_load_b128 v[110:113], v63
	ds_load_b128 v[114:117], v63 offset:128
	ds_load_b128 v[126:129], v57 offset:4608
	;; [unrolled: 1-line block ×6, first 2 shown]
	s_waitcnt lgkmcnt(6)
	;;#ASMSTART
	v_dot2_f32_f16 v102, v106, v110, v102
	;;#ASMEND
	;;#ASMSTART
	v_dot2_f32_f16 v102, v107, v111, v102
	;;#ASMEND
	;; [unrolled: 3-line block ×4, first 2 shown]
	s_waitcnt lgkmcnt(5)
	;;#ASMSTART
	v_dot2_f32_f16 v97, v106, v114, v97
	;;#ASMEND
	;;#ASMSTART
	v_dot2_f32_f16 v97, v107, v115, v97
	;;#ASMEND
	;; [unrolled: 3-line block ×3, first 2 shown]
	v_mov_b32_e32 v2, 0
	;;#ASMSTART
	v_dot2_f32_f16 v97, v109, v117, v97
	;;#ASMEND
	s_waitcnt lgkmcnt(3)
	;;#ASMSTART
	v_dot2_f32_f16 v59, v106, v118, v59
	;;#ASMEND
	;;#ASMSTART
	v_dot2_f32_f16 v59, v107, v119, v59
	;;#ASMEND
	;; [unrolled: 3-line block ×4, first 2 shown]
	s_waitcnt lgkmcnt(2)
	;;#ASMSTART
	v_dot2_f32_f16 v2, v106, v122, v2
	;;#ASMEND
	;;#ASMSTART
	v_dot2_f32_f16 v2, v107, v123, v2
	;;#ASMEND
	v_dual_mov_b32 v103, 0 :: v_dual_mov_b32 v104, 0
	;;#ASMSTART
	v_dot2_f32_f16 v2, v108, v124, v2
	;;#ASMEND
	;;#ASMSTART
	v_dot2_f32_f16 v2, v109, v125, v2
	;;#ASMEND
	;; [unrolled: 3-line block ×4, first 2 shown]
	v_dual_mov_b32 v99, 0 :: v_dual_mov_b32 v100, 0
	;;#ASMSTART
	v_dot2_f32_f16 v103, v128, v112, v103
	;;#ASMEND
	;;#ASMSTART
	v_dot2_f32_f16 v103, v129, v113, v103
	;;#ASMEND
	;; [unrolled: 3-line block ×8, first 2 shown]
	v_dual_mov_b32 v3, 0 :: v_dual_mov_b32 v58, 0
	;;#ASMSTART
	v_dot2_f32_f16 v61, v128, v120, v61
	;;#ASMEND
	;;#ASMSTART
	v_dot2_f32_f16 v61, v129, v121, v61
	;;#ASMEND
	;; [unrolled: 3-line block ×6, first 2 shown]
	s_waitcnt lgkmcnt(1)
	;;#ASMSTART
	v_dot2_f32_f16 v104, v130, v110, v104
	;;#ASMEND
	;;#ASMSTART
	v_dot2_f32_f16 v104, v131, v111, v104
	;;#ASMEND
	;; [unrolled: 3-line block ×14, first 2 shown]
	v_dual_mov_b32 v105, 0 :: v_dual_mov_b32 v98, 0
	;;#ASMSTART
	v_dot2_f32_f16 v58, v132, v124, v58
	;;#ASMEND
	;;#ASMSTART
	v_dot2_f32_f16 v58, v133, v125, v58
	;;#ASMEND
	s_waitcnt lgkmcnt(0)
	;;#ASMSTART
	v_dot2_f32_f16 v105, v134, v110, v105
	;;#ASMEND
	;;#ASMSTART
	v_dot2_f32_f16 v105, v135, v111, v105
	;;#ASMEND
	v_dual_mov_b32 v101, 0 :: v_dual_mov_b32 v60, 0
	;;#ASMSTART
	v_dot2_f32_f16 v105, v136, v112, v105
	;;#ASMEND
	;;#ASMSTART
	v_dot2_f32_f16 v105, v137, v113, v105
	;;#ASMEND
	;; [unrolled: 3-line block ×14, first 2 shown]
	ds_load_b128 v[106:109], v57 offset:16
	ds_load_b128 v[110:113], v63 offset:16
	;; [unrolled: 1-line block ×8, first 2 shown]
	s_waitcnt lgkmcnt(6)
	;;#ASMSTART
	v_dot2_f32_f16 v102, v106, v110, v102
	;;#ASMEND
	;;#ASMSTART
	v_dot2_f32_f16 v102, v107, v111, v102
	;;#ASMEND
	;;#ASMSTART
	v_dot2_f32_f16 v102, v108, v112, v102
	;;#ASMEND
	;;#ASMSTART
	v_dot2_f32_f16 v102, v109, v113, v102
	;;#ASMEND
	s_waitcnt lgkmcnt(5)
	;;#ASMSTART
	v_dot2_f32_f16 v97, v106, v114, v97
	;;#ASMEND
	;;#ASMSTART
	v_dot2_f32_f16 v97, v107, v115, v97
	;;#ASMEND
	;;#ASMSTART
	v_dot2_f32_f16 v97, v108, v116, v97
	;;#ASMEND
	;;#ASMSTART
	v_dot2_f32_f16 v97, v109, v117, v97
	;;#ASMEND
	;; [unrolled: 13-line block ×5, first 2 shown]
	;;#ASMSTART
	v_dot2_f32_f16 v99, v126, v114, v99
	;;#ASMEND
	;;#ASMSTART
	v_dot2_f32_f16 v99, v127, v115, v99
	;;#ASMEND
	;; [unrolled: 3-line block ×12, first 2 shown]
	s_waitcnt lgkmcnt(1)
	;;#ASMSTART
	v_dot2_f32_f16 v104, v130, v110, v104
	;;#ASMEND
	;;#ASMSTART
	v_dot2_f32_f16 v104, v131, v111, v104
	;;#ASMEND
	;; [unrolled: 3-line block ×16, first 2 shown]
	s_waitcnt lgkmcnt(0)
	;;#ASMSTART
	v_dot2_f32_f16 v105, v134, v110, v105
	;;#ASMEND
	;;#ASMSTART
	v_dot2_f32_f16 v105, v135, v111, v105
	;;#ASMEND
	;; [unrolled: 3-line block ×16, first 2 shown]
	ds_load_b128 v[106:109], v57 offset:32
	ds_load_b128 v[110:113], v63 offset:32
	;; [unrolled: 1-line block ×8, first 2 shown]
	s_waitcnt lgkmcnt(6)
	;;#ASMSTART
	v_dot2_f32_f16 v102, v106, v110, v102
	;;#ASMEND
	;;#ASMSTART
	v_dot2_f32_f16 v102, v107, v111, v102
	;;#ASMEND
	;;#ASMSTART
	v_dot2_f32_f16 v102, v108, v112, v102
	;;#ASMEND
	;;#ASMSTART
	v_dot2_f32_f16 v102, v109, v113, v102
	;;#ASMEND
	s_waitcnt lgkmcnt(5)
	;;#ASMSTART
	v_dot2_f32_f16 v97, v106, v114, v97
	;;#ASMEND
	;;#ASMSTART
	v_dot2_f32_f16 v97, v107, v115, v97
	;;#ASMEND
	;;#ASMSTART
	v_dot2_f32_f16 v97, v108, v116, v97
	;;#ASMEND
	;;#ASMSTART
	v_dot2_f32_f16 v97, v109, v117, v97
	;;#ASMEND
	;; [unrolled: 13-line block ×5, first 2 shown]
	;;#ASMSTART
	v_dot2_f32_f16 v99, v126, v114, v99
	;;#ASMEND
	;;#ASMSTART
	v_dot2_f32_f16 v99, v127, v115, v99
	;;#ASMEND
	;; [unrolled: 3-line block ×12, first 2 shown]
	s_waitcnt lgkmcnt(1)
	;;#ASMSTART
	v_dot2_f32_f16 v104, v130, v110, v104
	;;#ASMEND
	;;#ASMSTART
	v_dot2_f32_f16 v104, v131, v111, v104
	;;#ASMEND
	;; [unrolled: 3-line block ×16, first 2 shown]
	s_waitcnt lgkmcnt(0)
	;;#ASMSTART
	v_dot2_f32_f16 v105, v134, v110, v105
	;;#ASMEND
	;;#ASMSTART
	v_dot2_f32_f16 v105, v135, v111, v105
	;;#ASMEND
	;; [unrolled: 3-line block ×16, first 2 shown]
	ds_load_b128 v[106:109], v57 offset:48
	ds_load_b128 v[110:113], v63 offset:48
	;; [unrolled: 1-line block ×8, first 2 shown]
	s_waitcnt lgkmcnt(6)
	;;#ASMSTART
	v_dot2_f32_f16 v102, v106, v110, v102
	;;#ASMEND
	;;#ASMSTART
	v_dot2_f32_f16 v102, v107, v111, v102
	;;#ASMEND
	;;#ASMSTART
	v_dot2_f32_f16 v102, v108, v112, v102
	;;#ASMEND
	;;#ASMSTART
	v_dot2_f32_f16 v102, v109, v113, v102
	;;#ASMEND
	s_waitcnt lgkmcnt(5)
	;;#ASMSTART
	v_dot2_f32_f16 v97, v106, v114, v97
	;;#ASMEND
	;;#ASMSTART
	v_dot2_f32_f16 v97, v107, v115, v97
	;;#ASMEND
	;;#ASMSTART
	v_dot2_f32_f16 v97, v108, v116, v97
	;;#ASMEND
	;;#ASMSTART
	v_dot2_f32_f16 v97, v109, v117, v97
	;;#ASMEND
	;; [unrolled: 13-line block ×5, first 2 shown]
	;;#ASMSTART
	v_dot2_f32_f16 v99, v126, v114, v99
	;;#ASMEND
	;;#ASMSTART
	v_dot2_f32_f16 v99, v127, v115, v99
	;;#ASMEND
	;; [unrolled: 3-line block ×12, first 2 shown]
	s_waitcnt lgkmcnt(1)
	;;#ASMSTART
	v_dot2_f32_f16 v104, v130, v110, v104
	;;#ASMEND
	;;#ASMSTART
	v_dot2_f32_f16 v104, v131, v111, v104
	;;#ASMEND
	;; [unrolled: 3-line block ×16, first 2 shown]
	s_waitcnt lgkmcnt(0)
	;;#ASMSTART
	v_dot2_f32_f16 v105, v134, v110, v105
	;;#ASMEND
	;;#ASMSTART
	v_dot2_f32_f16 v105, v135, v111, v105
	;;#ASMEND
	;; [unrolled: 3-line block ×16, first 2 shown]
	ds_load_b128 v[106:109], v57 offset:64
	ds_load_b128 v[110:113], v63 offset:64
	;; [unrolled: 1-line block ×8, first 2 shown]
	s_waitcnt lgkmcnt(6)
	;;#ASMSTART
	v_dot2_f32_f16 v102, v106, v110, v102
	;;#ASMEND
	;;#ASMSTART
	v_dot2_f32_f16 v102, v107, v111, v102
	;;#ASMEND
	;;#ASMSTART
	v_dot2_f32_f16 v102, v108, v112, v102
	;;#ASMEND
	;;#ASMSTART
	v_dot2_f32_f16 v102, v109, v113, v102
	;;#ASMEND
	s_waitcnt lgkmcnt(5)
	;;#ASMSTART
	v_dot2_f32_f16 v97, v106, v114, v97
	;;#ASMEND
	;;#ASMSTART
	v_dot2_f32_f16 v97, v107, v115, v97
	;;#ASMEND
	;;#ASMSTART
	v_dot2_f32_f16 v97, v108, v116, v97
	;;#ASMEND
	;;#ASMSTART
	v_dot2_f32_f16 v97, v109, v117, v97
	;;#ASMEND
	;; [unrolled: 13-line block ×5, first 2 shown]
	;;#ASMSTART
	v_dot2_f32_f16 v99, v126, v114, v99
	;;#ASMEND
	;;#ASMSTART
	v_dot2_f32_f16 v99, v127, v115, v99
	;;#ASMEND
	;; [unrolled: 3-line block ×12, first 2 shown]
	s_waitcnt lgkmcnt(1)
	;;#ASMSTART
	v_dot2_f32_f16 v104, v130, v110, v104
	;;#ASMEND
	;;#ASMSTART
	v_dot2_f32_f16 v104, v131, v111, v104
	;;#ASMEND
	;; [unrolled: 3-line block ×16, first 2 shown]
	s_waitcnt lgkmcnt(0)
	;;#ASMSTART
	v_dot2_f32_f16 v105, v134, v110, v105
	;;#ASMEND
	;;#ASMSTART
	v_dot2_f32_f16 v105, v135, v111, v105
	;;#ASMEND
	;; [unrolled: 3-line block ×16, first 2 shown]
	ds_load_b128 v[106:109], v57 offset:80
	ds_load_b128 v[110:113], v63 offset:80
	;; [unrolled: 1-line block ×8, first 2 shown]
	s_waitcnt lgkmcnt(6)
	;;#ASMSTART
	v_dot2_f32_f16 v102, v106, v110, v102
	;;#ASMEND
	;;#ASMSTART
	v_dot2_f32_f16 v102, v107, v111, v102
	;;#ASMEND
	;;#ASMSTART
	v_dot2_f32_f16 v102, v108, v112, v102
	;;#ASMEND
	;;#ASMSTART
	v_dot2_f32_f16 v102, v109, v113, v102
	;;#ASMEND
	s_waitcnt lgkmcnt(5)
	;;#ASMSTART
	v_dot2_f32_f16 v97, v106, v114, v97
	;;#ASMEND
	;;#ASMSTART
	v_dot2_f32_f16 v97, v107, v115, v97
	;;#ASMEND
	;;#ASMSTART
	v_dot2_f32_f16 v97, v108, v116, v97
	;;#ASMEND
	;;#ASMSTART
	v_dot2_f32_f16 v97, v109, v117, v97
	;;#ASMEND
	;; [unrolled: 13-line block ×5, first 2 shown]
	;;#ASMSTART
	v_dot2_f32_f16 v99, v126, v114, v99
	;;#ASMEND
	;;#ASMSTART
	v_dot2_f32_f16 v99, v127, v115, v99
	;;#ASMEND
	;; [unrolled: 3-line block ×12, first 2 shown]
	s_waitcnt lgkmcnt(1)
	;;#ASMSTART
	v_dot2_f32_f16 v104, v130, v110, v104
	;;#ASMEND
	;;#ASMSTART
	v_dot2_f32_f16 v104, v131, v111, v104
	;;#ASMEND
	;; [unrolled: 3-line block ×16, first 2 shown]
	s_waitcnt lgkmcnt(0)
	;;#ASMSTART
	v_dot2_f32_f16 v105, v134, v110, v105
	;;#ASMEND
	;;#ASMSTART
	v_dot2_f32_f16 v105, v135, v111, v105
	;;#ASMEND
	;; [unrolled: 3-line block ×16, first 2 shown]
	ds_load_b128 v[106:109], v57 offset:96
	ds_load_b128 v[110:113], v63 offset:96
	;; [unrolled: 1-line block ×8, first 2 shown]
	s_waitcnt lgkmcnt(6)
	;;#ASMSTART
	v_dot2_f32_f16 v102, v106, v110, v102
	;;#ASMEND
	;;#ASMSTART
	v_dot2_f32_f16 v102, v107, v111, v102
	;;#ASMEND
	;;#ASMSTART
	v_dot2_f32_f16 v102, v108, v112, v102
	;;#ASMEND
	;;#ASMSTART
	v_dot2_f32_f16 v102, v109, v113, v102
	;;#ASMEND
	s_waitcnt lgkmcnt(5)
	;;#ASMSTART
	v_dot2_f32_f16 v97, v106, v114, v97
	;;#ASMEND
	;;#ASMSTART
	v_dot2_f32_f16 v97, v107, v115, v97
	;;#ASMEND
	;;#ASMSTART
	v_dot2_f32_f16 v97, v108, v116, v97
	;;#ASMEND
	;;#ASMSTART
	v_dot2_f32_f16 v97, v109, v117, v97
	;;#ASMEND
	;; [unrolled: 13-line block ×5, first 2 shown]
	;;#ASMSTART
	v_dot2_f32_f16 v99, v126, v114, v99
	;;#ASMEND
	;;#ASMSTART
	v_dot2_f32_f16 v99, v127, v115, v99
	;;#ASMEND
	;; [unrolled: 3-line block ×12, first 2 shown]
	s_waitcnt lgkmcnt(1)
	;;#ASMSTART
	v_dot2_f32_f16 v104, v130, v110, v104
	;;#ASMEND
	;;#ASMSTART
	v_dot2_f32_f16 v104, v131, v111, v104
	;;#ASMEND
	;; [unrolled: 3-line block ×16, first 2 shown]
	s_waitcnt lgkmcnt(0)
	;;#ASMSTART
	v_dot2_f32_f16 v105, v134, v110, v105
	;;#ASMEND
	;;#ASMSTART
	v_dot2_f32_f16 v105, v135, v111, v105
	;;#ASMEND
	;; [unrolled: 3-line block ×16, first 2 shown]
	ds_load_b128 v[107:110], v57 offset:112
	ds_load_b128 v[115:118], v63 offset:112
	;; [unrolled: 1-line block ×8, first 2 shown]
	s_waitcnt lgkmcnt(6)
	;;#ASMSTART
	v_dot2_f32_f16 v102, v107, v115, v102
	;;#ASMEND
	;;#ASMSTART
	v_dot2_f32_f16 v102, v108, v116, v102
	;;#ASMEND
	;;#ASMSTART
	v_dot2_f32_f16 v102, v109, v117, v102
	;;#ASMEND
	;;#ASMSTART
	v_dot2_f32_f16 v102, v110, v118, v102
	;;#ASMEND
	s_waitcnt lgkmcnt(5)
	;;#ASMSTART
	v_dot2_f32_f16 v97, v107, v119, v97
	;;#ASMEND
	;;#ASMSTART
	v_dot2_f32_f16 v97, v108, v120, v97
	;;#ASMEND
	;;#ASMSTART
	v_dot2_f32_f16 v97, v109, v121, v97
	;;#ASMEND
	;;#ASMSTART
	v_dot2_f32_f16 v97, v110, v122, v97
	;;#ASMEND
	;; [unrolled: 13-line block ×4, first 2 shown]
	;;#ASMSTART
	v_dot2_f32_f16 v103, v131, v115, v103
	;;#ASMEND
	;;#ASMSTART
	v_dot2_f32_f16 v103, v132, v116, v103
	;;#ASMEND
	;; [unrolled: 3-line block ×16, first 2 shown]
	s_waitcnt lgkmcnt(1)
	;;#ASMSTART
	v_dot2_f32_f16 v104, v135, v115, v104
	;;#ASMEND
	;;#ASMSTART
	v_dot2_f32_f16 v104, v136, v116, v104
	;;#ASMEND
	;; [unrolled: 3-line block ×11, first 2 shown]
	v_add_nc_u32_e32 v114, s16, v44
	;;#ASMSTART
	v_dot2_f32_f16 v96, v138, v126, v96
	;;#ASMEND
	;;#ASMSTART
	v_dot2_f32_f16 v58, v135, v127, v58
	;;#ASMEND
	;; [unrolled: 3-line block ×5, first 2 shown]
	s_waitcnt lgkmcnt(0)
	;;#ASMSTART
	v_dot2_f32_f16 v105, v139, v115, v105
	;;#ASMEND
	;;#ASMSTART
	v_dot2_f32_f16 v105, v140, v116, v105
	;;#ASMEND
	v_add_nc_u32_e32 v0, v114, v72
	;;#ASMSTART
	v_dot2_f32_f16 v105, v141, v117, v105
	;;#ASMEND
	;;#ASMSTART
	v_dot2_f32_f16 v105, v142, v118, v105
	;;#ASMEND
	;; [unrolled: 3-line block ×7, first 2 shown]
	v_mov_b32_e32 v106, 0
	v_ashrrev_i32_e32 v1, 31, v0
	;;#ASMSTART
	v_dot2_f32_f16 v98, v140, v124, v98
	;;#ASMEND
	;;#ASMSTART
	v_dot2_f32_f16 v98, v141, v125, v98
	;;#ASMEND
	;; [unrolled: 3-line block ×7, first 2 shown]
	s_cbranch_vccnz .LBB59_10
; %bb.9:                                ;   in Loop: Header=BB59_8 Depth=1
	v_lshlrev_b64 v[106:107], 1, v[0:1]
	s_delay_alu instid0(VALU_DEP_1) | instskip(NEXT) | instid1(VALU_DEP_2)
	v_add_co_u32 v106, vcc_lo, s40, v106
	v_add_co_ci_u32_e32 v107, vcc_lo, s41, v107, vcc_lo
	flat_load_u16 v106, v[106:107]
	s_waitcnt vmcnt(0) lgkmcnt(0)
	v_cvt_f32_f16_e32 v106, v106
	s_delay_alu instid0(VALU_DEP_1)
	v_mul_f32_e32 v106, v50, v106
.LBB59_10:                              ;   in Loop: Header=BB59_8 Depth=1
	v_dual_mov_b32 v107, 0 :: v_dual_mov_b32 v108, 0
	s_and_not1_b32 vcc_lo, exec_lo, s7
	s_cbranch_vccnz .LBB59_12
; %bb.11:                               ;   in Loop: Header=BB59_8 Depth=1
	v_lshlrev_b64 v[108:109], 1, v[0:1]
	s_delay_alu instid0(VALU_DEP_1) | instskip(NEXT) | instid1(VALU_DEP_2)
	v_add_co_u32 v108, vcc_lo, s9, v108
	v_add_co_ci_u32_e32 v109, vcc_lo, s10, v109, vcc_lo
	flat_load_u16 v108, v[108:109]
	s_waitcnt vmcnt(0) lgkmcnt(0)
	v_cvt_f32_f16_e32 v108, v108
	s_delay_alu instid0(VALU_DEP_1)
	v_mul_f32_e32 v108, v50, v108
.LBB59_12:                              ;   in Loop: Header=BB59_8 Depth=1
	s_and_not1_b32 vcc_lo, exec_lo, s7
	s_cbranch_vccnz .LBB59_14
; %bb.13:                               ;   in Loop: Header=BB59_8 Depth=1
	v_lshlrev_b64 v[109:110], 1, v[0:1]
	s_delay_alu instid0(VALU_DEP_1) | instskip(NEXT) | instid1(VALU_DEP_2)
	v_add_co_u32 v109, vcc_lo, s11, v109
	v_add_co_ci_u32_e32 v110, vcc_lo, s12, v110, vcc_lo
	flat_load_u16 v107, v[109:110]
	s_waitcnt vmcnt(0) lgkmcnt(0)
	v_cvt_f32_f16_e32 v107, v107
	s_delay_alu instid0(VALU_DEP_1)
	v_mul_f32_e32 v107, v50, v107
.LBB59_14:                              ;   in Loop: Header=BB59_8 Depth=1
	v_dual_mov_b32 v110, 0 :: v_dual_mov_b32 v109, 0
	s_and_not1_b32 vcc_lo, exec_lo, s7
	s_cbranch_vccnz .LBB59_16
; %bb.15:                               ;   in Loop: Header=BB59_8 Depth=1
	v_lshlrev_b64 v[0:1], 1, v[0:1]
	s_delay_alu instid0(VALU_DEP_1) | instskip(NEXT) | instid1(VALU_DEP_2)
	v_add_co_u32 v0, vcc_lo, s13, v0
	v_add_co_ci_u32_e32 v1, vcc_lo, s20, v1, vcc_lo
	flat_load_u16 v0, v[0:1]
	s_waitcnt vmcnt(0) lgkmcnt(0)
	v_cvt_f32_f16_e32 v0, v0
	s_delay_alu instid0(VALU_DEP_1)
	v_mul_f32_e32 v109, v50, v0
.LBB59_16:                              ;   in Loop: Header=BB59_8 Depth=1
	v_add_f32_e32 v102, v102, v106
	v_add_f32_e32 v106, v103, v108
	v_xor_b32_e32 v0, 16, v87
	s_delay_alu instid0(VALU_DEP_4) | instskip(NEXT) | instid1(VALU_DEP_4)
	v_add_f32_e32 v103, v105, v109
	v_dual_add_f32 v1, 0x40051340, v102 :: v_dual_add_f32 v104, v104, v107
	s_delay_alu instid0(VALU_DEP_4) | instskip(NEXT) | instid1(VALU_DEP_4)
	v_add_f32_e32 v107, 0x40051340, v106
	v_cmp_gt_i32_e32 vcc_lo, 32, v0
	s_delay_alu instid0(VALU_DEP_3) | instskip(NEXT) | instid1(VALU_DEP_3)
	v_add_f32_e32 v105, 0x40051340, v104
	v_max3_f32 v1, v95, v1, v107
	v_dual_cndmask_b32 v0, v87, v0 :: v_dual_add_f32 v107, 0x40051340, v103
	s_delay_alu instid0(VALU_DEP_1) | instskip(NEXT) | instid1(VALU_DEP_2)
	v_lshlrev_b32_e32 v113, 2, v0
	v_max3_f32 v0, v1, v105, v107
	v_xor_b32_e32 v105, 8, v87
	ds_bpermute_b32 v1, v113, v0
	v_cmp_gt_i32_e32 vcc_lo, 32, v105
	v_cndmask_b32_e32 v105, v87, v105, vcc_lo
	s_delay_alu instid0(VALU_DEP_1) | instskip(SKIP_1) | instid1(VALU_DEP_1)
	v_lshlrev_b32_e32 v109, 2, v105
	v_xor_b32_e32 v105, 4, v87
	v_cmp_gt_i32_e32 vcc_lo, 32, v105
	s_waitcnt lgkmcnt(0)
	v_max_f32_e32 v1, v1, v1
	v_cndmask_b32_e32 v105, v87, v105, vcc_lo
	s_delay_alu instid0(VALU_DEP_2) | instskip(NEXT) | instid1(VALU_DEP_2)
	v_max_f32_e32 v0, v0, v1
	v_lshlrev_b32_e32 v108, 2, v105
	v_xor_b32_e32 v105, 2, v87
	ds_bpermute_b32 v1, v109, v0
	v_cmp_gt_i32_e32 vcc_lo, 32, v105
	v_cndmask_b32_e32 v105, v87, v105, vcc_lo
	s_delay_alu instid0(VALU_DEP_1) | instskip(SKIP_1) | instid1(VALU_DEP_1)
	v_lshlrev_b32_e32 v107, 2, v105
	v_xor_b32_e32 v105, 1, v87
	v_cmp_gt_i32_e32 vcc_lo, 32, v105
	s_waitcnt lgkmcnt(0)
	v_max_f32_e32 v1, v1, v1
	v_cndmask_b32_e32 v105, v87, v105, vcc_lo
	s_delay_alu instid0(VALU_DEP_2) | instskip(SKIP_1) | instid1(VALU_DEP_2)
	v_max_f32_e32 v0, v0, v1
	s_and_not1_b32 vcc_lo, exec_lo, s7
	v_lshlrev_b32_e32 v105, 2, v105
	ds_bpermute_b32 v1, v108, v0
	s_waitcnt lgkmcnt(0)
	v_max_f32_e32 v1, v1, v1
	s_delay_alu instid0(VALU_DEP_1) | instskip(SKIP_3) | instid1(VALU_DEP_1)
	v_max_f32_e32 v0, v0, v1
	ds_bpermute_b32 v1, v107, v0
	s_waitcnt lgkmcnt(0)
	v_max_f32_e32 v1, v1, v1
	v_max_f32_e32 v118, v0, v1
	v_add_nc_u32_e32 v0, v114, v73
	ds_bpermute_b32 v119, v105, v118
	v_ashrrev_i32_e32 v1, 31, v0
	s_cbranch_vccnz .LBB59_18
; %bb.17:                               ;   in Loop: Header=BB59_8 Depth=1
	s_delay_alu instid0(VALU_DEP_1) | instskip(NEXT) | instid1(VALU_DEP_1)
	v_lshlrev_b64 v[110:111], 1, v[0:1]
	v_add_co_u32 v110, vcc_lo, s40, v110
	s_delay_alu instid0(VALU_DEP_2) | instskip(SKIP_3) | instid1(VALU_DEP_1)
	v_add_co_ci_u32_e32 v111, vcc_lo, s41, v111, vcc_lo
	flat_load_u16 v110, v[110:111]
	s_waitcnt vmcnt(0) lgkmcnt(0)
	v_cvt_f32_f16_e32 v110, v110
	v_mul_f32_e32 v110, v50, v110
.LBB59_18:                              ;   in Loop: Header=BB59_8 Depth=1
	v_dual_mov_b32 v112, 0 :: v_dual_mov_b32 v115, 0
	s_and_not1_b32 vcc_lo, exec_lo, s7
	s_cbranch_vccnz .LBB59_20
; %bb.19:                               ;   in Loop: Header=BB59_8 Depth=1
	v_lshlrev_b64 v[115:116], 1, v[0:1]
	s_delay_alu instid0(VALU_DEP_1) | instskip(NEXT) | instid1(VALU_DEP_2)
	v_add_co_u32 v115, vcc_lo, s9, v115
	v_add_co_ci_u32_e32 v116, vcc_lo, s10, v116, vcc_lo
	flat_load_u16 v111, v[115:116]
	s_waitcnt vmcnt(0) lgkmcnt(0)
	v_cvt_f32_f16_e32 v111, v111
	s_delay_alu instid0(VALU_DEP_1)
	v_mul_f32_e32 v115, v50, v111
.LBB59_20:                              ;   in Loop: Header=BB59_8 Depth=1
	s_and_not1_b32 vcc_lo, exec_lo, s7
	s_cbranch_vccnz .LBB59_22
; %bb.21:                               ;   in Loop: Header=BB59_8 Depth=1
	v_lshlrev_b64 v[111:112], 1, v[0:1]
	s_delay_alu instid0(VALU_DEP_1) | instskip(NEXT) | instid1(VALU_DEP_2)
	v_add_co_u32 v111, vcc_lo, s11, v111
	v_add_co_ci_u32_e32 v112, vcc_lo, s12, v112, vcc_lo
	flat_load_u16 v111, v[111:112]
	s_waitcnt vmcnt(0) lgkmcnt(0)
	v_cvt_f32_f16_e32 v111, v111
	s_delay_alu instid0(VALU_DEP_1)
	v_mul_f32_e32 v112, v50, v111
.LBB59_22:                              ;   in Loop: Header=BB59_8 Depth=1
	v_mov_b32_e32 v111, 0
	v_mov_b32_e32 v117, 0
	s_and_not1_b32 vcc_lo, exec_lo, s7
	s_cbranch_vccnz .LBB59_24
; %bb.23:                               ;   in Loop: Header=BB59_8 Depth=1
	v_lshlrev_b64 v[0:1], 1, v[0:1]
	s_delay_alu instid0(VALU_DEP_1) | instskip(NEXT) | instid1(VALU_DEP_2)
	v_add_co_u32 v0, vcc_lo, s13, v0
	v_add_co_ci_u32_e32 v1, vcc_lo, s20, v1, vcc_lo
	flat_load_u16 v0, v[0:1]
	s_waitcnt vmcnt(0) lgkmcnt(0)
	v_cvt_f32_f16_e32 v0, v0
	s_delay_alu instid0(VALU_DEP_1)
	v_mul_f32_e32 v117, v50, v0
.LBB59_24:                              ;   in Loop: Header=BB59_8 Depth=1
	v_dual_add_f32 v116, v97, v110 :: v_dual_add_f32 v99, v99, v115
	v_add_f32_e32 v100, v100, v112
	s_and_not1_b32 vcc_lo, exec_lo, s7
	s_delay_alu instid0(VALU_DEP_2) | instskip(NEXT) | instid1(VALU_DEP_3)
	v_dual_add_f32 v97, v101, v117 :: v_dual_add_f32 v0, 0x40051340, v116
	v_add_f32_e32 v1, 0x40051340, v99
	s_delay_alu instid0(VALU_DEP_3) | instskip(NEXT) | instid1(VALU_DEP_2)
	v_add_f32_e32 v101, 0x40051340, v100
	v_max3_f32 v0, v94, v0, v1
	s_delay_alu instid0(VALU_DEP_4) | instskip(NEXT) | instid1(VALU_DEP_1)
	v_add_f32_e32 v1, 0x40051340, v97
	v_max3_f32 v0, v0, v101, v1
	ds_bpermute_b32 v1, v113, v0
	s_waitcnt lgkmcnt(0)
	v_max_f32_e32 v1, v1, v1
	s_delay_alu instid0(VALU_DEP_1) | instskip(SKIP_3) | instid1(VALU_DEP_1)
	v_max_f32_e32 v0, v0, v1
	ds_bpermute_b32 v1, v109, v0
	s_waitcnt lgkmcnt(0)
	v_max_f32_e32 v1, v1, v1
	v_max_f32_e32 v0, v0, v1
	ds_bpermute_b32 v1, v108, v0
	s_waitcnt lgkmcnt(0)
	v_max_f32_e32 v1, v1, v1
	s_delay_alu instid0(VALU_DEP_1) | instskip(SKIP_3) | instid1(VALU_DEP_1)
	v_max_f32_e32 v0, v0, v1
	ds_bpermute_b32 v1, v107, v0
	s_waitcnt lgkmcnt(0)
	v_max_f32_e32 v1, v1, v1
	v_max_f32_e32 v120, v0, v1
	v_add_nc_u32_e32 v0, v114, v74
	ds_bpermute_b32 v121, v105, v120
	v_ashrrev_i32_e32 v1, 31, v0
	s_cbranch_vccnz .LBB59_26
; %bb.25:                               ;   in Loop: Header=BB59_8 Depth=1
	s_delay_alu instid0(VALU_DEP_1) | instskip(NEXT) | instid1(VALU_DEP_1)
	v_lshlrev_b64 v[110:111], 1, v[0:1]
	v_add_co_u32 v110, vcc_lo, s40, v110
	s_delay_alu instid0(VALU_DEP_2) | instskip(SKIP_3) | instid1(VALU_DEP_1)
	v_add_co_ci_u32_e32 v111, vcc_lo, s41, v111, vcc_lo
	flat_load_u16 v101, v[110:111]
	s_waitcnt vmcnt(0) lgkmcnt(0)
	v_cvt_f32_f16_e32 v101, v101
	v_mul_f32_e32 v111, v50, v101
.LBB59_26:                              ;   in Loop: Header=BB59_8 Depth=1
	v_dual_mov_b32 v101, 0 :: v_dual_mov_b32 v110, 0
	s_and_not1_b32 vcc_lo, exec_lo, s7
	s_cbranch_vccnz .LBB59_28
; %bb.27:                               ;   in Loop: Header=BB59_8 Depth=1
	v_lshlrev_b64 v[122:123], 1, v[0:1]
	s_delay_alu instid0(VALU_DEP_1) | instskip(NEXT) | instid1(VALU_DEP_2)
	v_add_co_u32 v122, vcc_lo, s9, v122
	v_add_co_ci_u32_e32 v123, vcc_lo, s10, v123, vcc_lo
	flat_load_u16 v110, v[122:123]
	s_waitcnt vmcnt(0) lgkmcnt(0)
	v_cvt_f32_f16_e32 v110, v110
	s_delay_alu instid0(VALU_DEP_1)
	v_mul_f32_e32 v110, v50, v110
.LBB59_28:                              ;   in Loop: Header=BB59_8 Depth=1
	s_and_not1_b32 vcc_lo, exec_lo, s7
	s_cbranch_vccnz .LBB59_30
; %bb.29:                               ;   in Loop: Header=BB59_8 Depth=1
	v_lshlrev_b64 v[122:123], 1, v[0:1]
	s_delay_alu instid0(VALU_DEP_1) | instskip(NEXT) | instid1(VALU_DEP_2)
	v_add_co_u32 v122, vcc_lo, s11, v122
	v_add_co_ci_u32_e32 v123, vcc_lo, s12, v123, vcc_lo
	flat_load_u16 v101, v[122:123]
	s_waitcnt vmcnt(0) lgkmcnt(0)
	v_cvt_f32_f16_e32 v101, v101
	s_delay_alu instid0(VALU_DEP_1)
	v_mul_f32_e32 v101, v50, v101
.LBB59_30:                              ;   in Loop: Header=BB59_8 Depth=1
	v_mov_b32_e32 v115, 0
	v_mov_b32_e32 v117, 0
	s_and_not1_b32 vcc_lo, exec_lo, s7
	s_cbranch_vccnz .LBB59_32
; %bb.31:                               ;   in Loop: Header=BB59_8 Depth=1
	v_lshlrev_b64 v[0:1], 1, v[0:1]
	s_delay_alu instid0(VALU_DEP_1) | instskip(NEXT) | instid1(VALU_DEP_2)
	v_add_co_u32 v0, vcc_lo, s13, v0
	v_add_co_ci_u32_e32 v1, vcc_lo, s20, v1, vcc_lo
	flat_load_u16 v0, v[0:1]
	s_waitcnt vmcnt(0) lgkmcnt(0)
	v_cvt_f32_f16_e32 v0, v0
	s_delay_alu instid0(VALU_DEP_1)
	v_mul_f32_e32 v117, v50, v0
.LBB59_32:                              ;   in Loop: Header=BB59_8 Depth=1
	v_dual_add_f32 v111, v59, v111 :: v_dual_add_f32 v112, v61, v110
	v_add_f32_e32 v110, v96, v101
	s_and_not1_b32 vcc_lo, exec_lo, s7
	s_delay_alu instid0(VALU_DEP_2) | instskip(NEXT) | instid1(VALU_DEP_3)
	v_dual_add_f32 v101, v98, v117 :: v_dual_add_f32 v0, 0x40051340, v111
	v_add_f32_e32 v1, 0x40051340, v112
	s_delay_alu instid0(VALU_DEP_3) | instskip(NEXT) | instid1(VALU_DEP_2)
	v_add_f32_e32 v59, 0x40051340, v110
	v_max3_f32 v0, v93, v0, v1
	s_delay_alu instid0(VALU_DEP_4) | instskip(NEXT) | instid1(VALU_DEP_1)
	v_add_f32_e32 v1, 0x40051340, v101
	v_max3_f32 v0, v0, v59, v1
	ds_bpermute_b32 v1, v113, v0
	s_waitcnt lgkmcnt(0)
	v_max_f32_e32 v1, v1, v1
	s_delay_alu instid0(VALU_DEP_1) | instskip(SKIP_3) | instid1(VALU_DEP_1)
	v_max_f32_e32 v0, v0, v1
	ds_bpermute_b32 v1, v109, v0
	s_waitcnt lgkmcnt(0)
	v_max_f32_e32 v1, v1, v1
	v_max_f32_e32 v0, v0, v1
	ds_bpermute_b32 v1, v108, v0
	s_waitcnt lgkmcnt(0)
	v_max_f32_e32 v1, v1, v1
	s_delay_alu instid0(VALU_DEP_1) | instskip(SKIP_3) | instid1(VALU_DEP_1)
	v_max_f32_e32 v0, v0, v1
	ds_bpermute_b32 v1, v107, v0
	s_waitcnt lgkmcnt(0)
	v_max_f32_e32 v1, v1, v1
	v_dual_max_f32 v61, v0, v1 :: v_dual_add_nc_u32 v0, v114, v76
	ds_bpermute_b32 v98, v105, v61
	v_ashrrev_i32_e32 v1, 31, v0
	s_cbranch_vccnz .LBB59_34
; %bb.33:                               ;   in Loop: Header=BB59_8 Depth=1
	s_delay_alu instid0(VALU_DEP_1) | instskip(NEXT) | instid1(VALU_DEP_1)
	v_lshlrev_b64 v[114:115], 1, v[0:1]
	v_add_co_u32 v114, vcc_lo, s40, v114
	s_delay_alu instid0(VALU_DEP_2) | instskip(SKIP_3) | instid1(VALU_DEP_1)
	v_add_co_ci_u32_e32 v115, vcc_lo, s41, v115, vcc_lo
	flat_load_u16 v59, v[114:115]
	s_waitcnt vmcnt(0) lgkmcnt(0)
	v_cvt_f32_f16_e32 v59, v59
	v_mul_f32_e32 v115, v50, v59
.LBB59_34:                              ;   in Loop: Header=BB59_8 Depth=1
	v_dual_mov_b32 v59, 0 :: v_dual_mov_b32 v96, 0
	s_and_not1_b32 vcc_lo, exec_lo, s7
	s_cbranch_vccnz .LBB59_36
; %bb.35:                               ;   in Loop: Header=BB59_8 Depth=1
	v_lshlrev_b64 v[122:123], 1, v[0:1]
	s_delay_alu instid0(VALU_DEP_1) | instskip(NEXT) | instid1(VALU_DEP_2)
	v_add_co_u32 v122, vcc_lo, s9, v122
	v_add_co_ci_u32_e32 v123, vcc_lo, s10, v123, vcc_lo
	flat_load_u16 v96, v[122:123]
	s_waitcnt vmcnt(0) lgkmcnt(0)
	v_cvt_f32_f16_e32 v96, v96
	s_delay_alu instid0(VALU_DEP_1)
	v_mul_f32_e32 v96, v50, v96
.LBB59_36:                              ;   in Loop: Header=BB59_8 Depth=1
	s_and_not1_b32 vcc_lo, exec_lo, s7
	s_cbranch_vccnz .LBB59_38
; %bb.37:                               ;   in Loop: Header=BB59_8 Depth=1
	v_lshlrev_b64 v[122:123], 1, v[0:1]
	s_delay_alu instid0(VALU_DEP_1) | instskip(NEXT) | instid1(VALU_DEP_2)
	v_add_co_u32 v122, vcc_lo, s11, v122
	v_add_co_ci_u32_e32 v123, vcc_lo, s12, v123, vcc_lo
	flat_load_u16 v59, v[122:123]
	s_waitcnt vmcnt(0) lgkmcnt(0)
	v_cvt_f32_f16_e32 v59, v59
	s_delay_alu instid0(VALU_DEP_1)
	v_mul_f32_e32 v59, v50, v59
.LBB59_38:                              ;   in Loop: Header=BB59_8 Depth=1
	s_and_not1_b32 vcc_lo, exec_lo, s7
	s_cbranch_vccnz .LBB59_40
; %bb.39:                               ;   in Loop: Header=BB59_8 Depth=1
	v_lshlrev_b64 v[0:1], 1, v[0:1]
	s_delay_alu instid0(VALU_DEP_1) | instskip(NEXT) | instid1(VALU_DEP_2)
	v_add_co_u32 v0, vcc_lo, s13, v0
	v_add_co_ci_u32_e32 v1, vcc_lo, s20, v1, vcc_lo
	flat_load_u16 v0, v[0:1]
	s_waitcnt vmcnt(0) lgkmcnt(0)
	v_cvt_f32_f16_e32 v0, v0
	s_delay_alu instid0(VALU_DEP_1)
	v_mul_f32_e32 v0, v50, v0
	s_branch .LBB59_41
.LBB59_40:                              ;   in Loop: Header=BB59_8 Depth=1
	v_mov_b32_e32 v0, 0
.LBB59_41:                              ;   in Loop: Header=BB59_8 Depth=1
	v_dual_add_f32 v122, v2, v115 :: v_dual_add_f32 v117, v3, v96
	s_delay_alu instid0(VALU_DEP_2) | instskip(SKIP_1) | instid1(VALU_DEP_2)
	v_dual_add_f32 v114, v58, v59 :: v_dual_add_f32 v115, v60, v0
	s_mul_hi_i32 s27, s16, s17
	v_dual_add_f32 v0, 0x40051340, v122 :: v_dual_add_f32 v1, 0x40051340, v117
	s_delay_alu instid0(VALU_DEP_2) | instskip(SKIP_2) | instid1(VALU_DEP_2)
	v_dual_add_f32 v2, 0x40051340, v114 :: v_dual_add_f32 v3, 0x40051340, v115
	s_mul_i32 s26, s16, s17
	s_waitcnt lgkmcnt(0)
	v_max3_f32 v0, v92, v0, v1
	s_lshl_b64 s[26:27], s[26:27], 2
	s_barrier
	s_add_u32 s21, s18, s26
	s_addc_u32 s23, s19, s27
	v_max3_f32 v0, v0, v2, v3
	v_add_co_u32 v2, vcc_lo, s21, v20
	v_add_co_ci_u32_e32 v3, vcc_lo, s23, v21, vcc_lo
	ds_bpermute_b32 v1, v113, v0
	v_max_f32_e32 v60, v119, v119
	v_add_co_u32 v58, vcc_lo, s21, v22
	v_add_co_ci_u32_e32 v59, vcc_lo, s23, v23, vcc_lo
	v_add_co_u32 v113, vcc_lo, s21, v24
	s_waitcnt lgkmcnt(0)
	buffer_gl0_inv
	v_max_f32_e32 v1, v1, v1
	s_delay_alu instid0(VALU_DEP_1)
	v_max_f32_e32 v126, v0, v1
	ds_bpermute_b32 v109, v109, v126
	v_max_f32_e32 v96, v118, v118
	v_add_co_ci_u32_e32 v118, vcc_lo, s23, v25, vcc_lo
	v_add_co_u32 v119, vcc_lo, s21, v26
	v_add_co_ci_u32_e32 v123, vcc_lo, s23, v27, vcc_lo
	v_add_co_u32 v124, vcc_lo, s21, v28
	;; [unrolled: 2-line block ×4, first 2 shown]
	v_add_co_ci_u32_e32 v132, vcc_lo, s23, v33, vcc_lo
	s_waitcnt lgkmcnt(0)
	v_max_f32_e32 v109, v109, v109
	v_add_co_u32 v0, vcc_lo, v2, v85
	v_add_co_ci_u32_e32 v1, vcc_lo, 0, v3, vcc_lo
	v_add_co_u32 v2, vcc_lo, v58, v85
	v_add_co_ci_u32_e32 v3, vcc_lo, 0, v59, vcc_lo
	;; [unrolled: 2-line block ×6, first 2 shown]
	v_max_f32_e32 v109, v126, v109
	s_clause 0x1
	global_load_b128 v[123:126], v[0:1], off
	global_load_b128 v[127:130], v[2:3], off
	v_add_co_u32 v2, vcc_lo, s21, v34
	v_add_co_ci_u32_e32 v3, vcc_lo, s23, v35, vcc_lo
	v_add_co_u32 v0, vcc_lo, v131, v85
	v_add_co_ci_u32_e32 v1, vcc_lo, 0, v132, vcc_lo
	s_delay_alu instid0(VALU_DEP_4) | instskip(NEXT) | instid1(VALU_DEP_4)
	v_add_co_u32 v2, vcc_lo, v2, v85
	v_add_co_ci_u32_e32 v3, vcc_lo, 0, v3, vcc_lo
	s_clause 0x5
	global_load_b128 v[131:134], v[58:59], off
	global_load_b128 v[135:138], v[118:119], off
	;; [unrolled: 1-line block ×6, first 2 shown]
	v_max_f32_e32 v0, v96, v60
	ds_bpermute_b32 v108, v108, v109
	v_dual_max_f32 v1, v121, v121 :: v_dual_max_f32 v2, v120, v120
	v_sub_f32_e32 v3, v106, v0
	v_sub_f32_e32 v102, v102, v0
	s_delay_alu instid0(VALU_DEP_3) | instskip(NEXT) | instid1(VALU_DEP_3)
	v_max_f32_e32 v1, v2, v1
	v_cmp_ngt_f32_e32 vcc_lo, 0xc2ce8ed0, v3
	s_delay_alu instid0(VALU_DEP_2)
	v_sub_f32_e32 v60, v116, v1
	v_sub_f32_e32 v100, v100, v1
	s_waitcnt lgkmcnt(0)
	v_max_f32_e32 v58, v108, v108
	v_dual_sub_f32 v108, v95, v0 :: v_dual_mul_f32 v95, 0x3fb8aa3b, v102
	v_mul_f32_e32 v2, 0x3fb8aa3b, v3
	s_delay_alu instid0(VALU_DEP_3) | instskip(NEXT) | instid1(VALU_DEP_3)
	v_max_f32_e32 v58, v109, v58
	v_rndne_f32_e32 v118, v95
	v_sub_f32_e32 v104, v104, v0
	ds_bpermute_b32 v106, v107, v58
	v_mul_f32_e32 v107, 0x3fb8aa3b, v60
	v_fma_f32 v59, 0x3fb8aa3b, v3, -v2
	v_rndne_f32_e32 v96, v2
	s_delay_alu instid0(VALU_DEP_3) | instskip(NEXT) | instid1(VALU_DEP_2)
	v_rndne_f32_e32 v113, v107
	v_dual_fmac_f32 v59, 0x32a5705f, v3 :: v_dual_sub_f32 v2, v2, v96
	v_cvt_i32_f32_e32 v96, v96
	s_delay_alu instid0(VALU_DEP_2)
	v_add_f32_e32 v2, v2, v59
	v_fma_f32 v59, 0x3fb8aa3b, v60, -v107
	v_sub_f32_e32 v107, v107, v113
	v_fma_f32 v116, 0x3fb8aa3b, v102, -v95
	v_sub_f32_e32 v95, v95, v118
	v_mul_f32_e32 v109, 0x3fb8aa3b, v104
	s_waitcnt lgkmcnt(0)
	v_dual_fmac_f32 v59, 0x32a5705f, v60 :: v_dual_max_f32 v106, v106, v106
	v_exp_f32_e32 v2, v2
	s_delay_alu instid0(VALU_DEP_2) | instskip(NEXT) | instid1(VALU_DEP_2)
	v_fma_f32 v119, 0x3fb8aa3b, v104, -v109
	v_dual_fmac_f32 v116, 0x32a5705f, v102 :: v_dual_add_f32 v59, v107, v59
	v_rndne_f32_e32 v107, v109
	s_delay_alu instid0(VALU_DEP_3)
	v_fmac_f32_e32 v119, 0x32a5705f, v104
	s_waitcnt_depctr 0xfff
	v_ldexp_f32 v2, v2, v96
	v_sub_f32_e32 v96, v103, v0
	v_dual_max_f32 v106, v58, v106 :: v_dual_sub_f32 v109, v109, v107
	v_cvt_i32_f32_e32 v103, v113
	s_delay_alu instid0(VALU_DEP_4)
	v_cndmask_b32_e32 v2, 0, v2, vcc_lo
	v_cmp_nlt_f32_e32 vcc_lo, 0x42b17218, v3
	v_add_f32_e32 v58, v95, v116
	v_exp_f32_e32 v95, v59
	v_mul_f32_e32 v113, 0x3fb8aa3b, v96
	v_cvt_i32_f32_e32 v3, v118
	v_cndmask_b32_e32 v59, 0x7f800000, v2, vcc_lo
	v_exp_f32_e32 v58, v58
	v_cmp_ngt_f32_e32 vcc_lo, 0xc2ce8ed0, v60
	ds_bpermute_b32 v105, v105, v106
	v_ldexp_f32 v2, v95, v103
	v_add_f32_e32 v95, v109, v119
	v_rndne_f32_e32 v109, v113
	v_ldexp_f32 v3, v58, v3
	s_delay_alu instid0(VALU_DEP_3) | instskip(NEXT) | instid1(VALU_DEP_2)
	v_exp_f32_e32 v116, v95
	v_sub_f32_e32 v95, v113, v109
	v_fma_f32 v103, 0x3fb8aa3b, v96, -v113
	v_cndmask_b32_e32 v2, 0, v2, vcc_lo
	v_cmp_nlt_f32_e32 vcc_lo, 0x42b17218, v60
	v_cvt_f16_f32_e32 v113, v59
	s_delay_alu instid0(VALU_DEP_4) | instskip(NEXT) | instid1(VALU_DEP_4)
	v_fmac_f32_e32 v103, 0x32a5705f, v96
	v_cndmask_b32_e32 v58, 0x7f800000, v2, vcc_lo
	v_cmp_ngt_f32_e32 vcc_lo, 0xc2ce8ed0, v102
	v_cndmask_b32_e32 v2, 0, v3, vcc_lo
	v_cvt_i32_f32_e32 v3, v107
	v_cmp_nlt_f32_e32 vcc_lo, 0x42b17218, v102
	v_dual_add_f32 v60, v95, v103 :: v_dual_mul_f32 v103, 0x3fb8aa3b, v108
	v_cvt_i32_f32_e32 v107, v109
	v_sub_f32_e32 v109, v99, v1
	v_cndmask_b32_e32 v95, 0x7f800000, v2, vcc_lo
	v_ldexp_f32 v2, v116, v3
	v_exp_f32_e32 v3, v60
	v_fma_f32 v60, 0x3fb8aa3b, v108, -v103
	v_rndne_f32_e32 v102, v103
	v_cmp_ngt_f32_e32 vcc_lo, 0xc2ce8ed0, v104
	s_delay_alu instid0(VALU_DEP_3) | instskip(NEXT) | instid1(VALU_DEP_3)
	v_dual_add_f32 v59, v95, v59 :: v_dual_fmac_f32 v60, 0x32a5705f, v108
	v_sub_f32_e32 v103, v103, v102
	v_cndmask_b32_e32 v2, 0, v2, vcc_lo
	v_cmp_nlt_f32_e32 vcc_lo, 0x42b17218, v104
	s_delay_alu instid0(VALU_DEP_2) | instskip(NEXT) | instid1(TRANS32_DEP_1)
	v_cndmask_b32_e32 v99, 0x7f800000, v2, vcc_lo
	v_ldexp_f32 v2, v3, v107
	v_add_f32_e32 v3, v103, v60
	v_cmp_ngt_f32_e32 vcc_lo, 0xc2ce8ed0, v96
	v_sub_f32_e32 v107, v97, v1
	v_mul_f32_e32 v60, 0x3fb8aa3b, v109
	v_cvt_f16_f32_e32 v116, v99
	v_exp_f32_e32 v3, v3
	v_add_f32_e32 v59, v99, v59
	v_mul_f32_e32 v119, 0x3fb8aa3b, v107
	v_fma_f32 v103, 0x3fb8aa3b, v109, -v60
	v_cndmask_b32_e32 v2, 0, v2, vcc_lo
	v_rndne_f32_e32 v104, v60
	v_cmp_nlt_f32_e32 vcc_lo, 0x42b17218, v96
	v_rndne_f32_e32 v121, v119
	s_delay_alu instid0(VALU_DEP_3) | instskip(SKIP_4) | instid1(VALU_DEP_3)
	v_dual_fmac_f32 v103, 0x32a5705f, v109 :: v_dual_sub_f32 v60, v60, v104
	v_cndmask_b32_e32 v96, 0x7f800000, v2, vcc_lo
	v_cvt_i32_f32_e32 v2, v102
	v_cmp_ngt_f32_e32 vcc_lo, 0xc2ce8ed0, v108
	v_mul_f32_e32 v102, 0x3fb8aa3b, v100
	v_ldexp_f32 v2, v3, v2
	s_delay_alu instid0(VALU_DEP_1) | instskip(SKIP_3) | instid1(VALU_DEP_4)
	v_cndmask_b32_e32 v2, 0, v2, vcc_lo
	v_cmp_nlt_f32_e32 vcc_lo, 0x42b17218, v108
	v_fma_f32 v120, 0x3fb8aa3b, v107, -v119
	v_cvt_f16_f32_e32 v108, v58
	v_cndmask_b32_e32 v97, 0x7f800000, v2, vcc_lo
	v_add_f32_e32 v3, v60, v103
	v_cvt_i32_f32_e32 v2, v104
	v_fma_f32 v60, 0x3fb8aa3b, v100, -v102
	v_rndne_f32_e32 v103, v102
	v_cmp_ngt_f32_e32 vcc_lo, 0xc2ce8ed0, v109
	v_exp_f32_e32 v3, v3
	v_fmac_f32_e32 v120, 0x32a5705f, v107
	v_fmac_f32_e32 v60, 0x32a5705f, v100
	v_cvt_f16_f32_e32 v118, v96
	v_add_f32_e32 v59, v96, v59
	s_delay_alu instid0(VALU_DEP_1) | instskip(SKIP_2) | instid1(VALU_DEP_1)
	v_fmac_f32_e32 v59, v91, v97
	s_waitcnt_depctr 0xfff
	v_ldexp_f32 v2, v3, v2
	v_cndmask_b32_e32 v2, 0, v2, vcc_lo
	v_cmp_nlt_f32_e32 vcc_lo, 0x42b17218, v109
	v_sub_f32_e32 v102, v102, v103
	v_cvt_f16_f32_e32 v109, v95
	s_delay_alu instid0(VALU_DEP_2)
	v_add_f32_e32 v60, v102, v60
	v_sub_f32_e32 v102, v119, v121
	v_sub_f32_e32 v119, v94, v1
	v_max_f32_e32 v94, v98, v98
	v_max_f32_e32 v98, v61, v61
	v_exp_f32_e32 v3, v60
	v_cndmask_b32_e32 v61, 0x7f800000, v2, vcc_lo
	v_cmp_ngt_f32_e32 vcc_lo, 0xc2ce8ed0, v100
	s_delay_alu instid0(VALU_DEP_3)
	v_max_f32_e32 v2, v98, v94
	v_add_f32_e32 v60, v102, v120
	v_cvt_i32_f32_e32 v102, v103
	v_mul_f32_e32 v98, 0x3fb8aa3b, v119
	v_cvt_i32_f32_e32 v94, v121
	v_sub_f32_e32 v157, v93, v2
	v_exp_f32_e32 v60, v60
	v_ldexp_f32 v3, v3, v102
	v_rndne_f32_e32 v121, v98
	v_sub_f32_e32 v102, v112, v2
	v_cvt_f16_f32_e32 v120, v61
	s_delay_alu instid0(VALU_DEP_4) | instskip(SKIP_2) | instid1(TRANS32_DEP_1)
	v_dual_add_f32 v58, v58, v61 :: v_dual_cndmask_b32 v3, 0, v3
	v_cmp_nlt_f32_e32 vcc_lo, 0x42b17218, v100
	v_fma_f32 v100, 0x3fb8aa3b, v119, -v98
	v_ldexp_f32 v94, v60, v94
	s_waitcnt lgkmcnt(0)
	v_dual_cndmask_b32 v60, 0x7f800000, v3 :: v_dual_max_f32 v3, v105, v105
	v_sub_f32_e32 v105, v98, v121
	v_mul_f32_e32 v103, 0x3fb8aa3b, v102
	v_cmp_ngt_f32_e32 vcc_lo, 0xc2ce8ed0, v107
	v_fmac_f32_e32 v100, 0x32a5705f, v119
	v_max_f32_e32 v3, v106, v3
	v_cvt_i32_f32_e32 v121, v121
	v_fma_f32 v104, 0x3fb8aa3b, v102, -v103
	v_rndne_f32_e32 v112, v103
	v_cndmask_b32_e32 v94, 0, v94, vcc_lo
	v_cmp_nlt_f32_e32 vcc_lo, 0x42b17218, v107
	v_add_f32_e32 v100, v105, v100
	s_delay_alu instid0(VALU_DEP_4) | instskip(SKIP_2) | instid1(VALU_DEP_4)
	v_dual_fmac_f32 v104, 0x32a5705f, v102 :: v_dual_sub_f32 v103, v103, v112
	v_cvt_i32_f32_e32 v105, v112
	v_dual_cndmask_b32 v98, 0x7f800000, v94 :: v_dual_sub_f32 v115, v115, v3
	v_exp_f32_e32 v156, v100
	s_delay_alu instid0(VALU_DEP_3) | instskip(SKIP_3) | instid1(VALU_DEP_4)
	v_dual_add_f32 v94, v103, v104 :: v_dual_sub_f32 v103, v122, v3
	v_cmp_ngt_f32_e32 vcc_lo, 0xc2ce8ed0, v102
	v_sub_f32_e32 v114, v114, v3
	v_mul_f32_e32 v160, 0x3fb8aa3b, v115
	v_exp_f32_e32 v94, v94
	v_mul_f32_e32 v100, 0x3fb8aa3b, v103
	v_cvt_f16_f32_e64 v155, v98
	s_delay_alu instid0(VALU_DEP_3) | instskip(SKIP_1) | instid1(VALU_DEP_4)
	v_fma_f32 v162, 0x3fb8aa3b, v115, -v160
	v_rndne_f32_e32 v163, v160
	v_fma_f32 v93, 0x3fb8aa3b, v103, -v100
	v_rndne_f32_e32 v106, v100
	s_delay_alu instid0(TRANS32_DEP_1) | instskip(NEXT) | instid1(VALU_DEP_3)
	v_ldexp_f32 v94, v94, v105
	v_dual_fmac_f32 v93, 0x32a5705f, v103 :: v_dual_sub_f32 v104, v111, v2
	v_sub_f32_e32 v105, v110, v2
	s_delay_alu instid0(VALU_DEP_4) | instskip(NEXT) | instid1(VALU_DEP_4)
	v_sub_f32_e32 v100, v100, v106
	v_cndmask_b32_e32 v94, 0, v94, vcc_lo
	v_cmp_nlt_f32_e32 vcc_lo, 0x42b17218, v102
	s_delay_alu instid0(VALU_DEP_4) | instskip(NEXT) | instid1(VALU_DEP_4)
	v_dual_mul_f32 v107, 0x3fb8aa3b, v104 :: v_dual_mul_f32 v112, 0x3fb8aa3b, v105
	v_add_f32_e32 v93, v100, v93
	v_dual_sub_f32 v159, v101, v2 :: v_dual_sub_f32 v160, v160, v163
	s_delay_alu instid0(VALU_DEP_3)
	v_fma_f32 v110, 0x3fb8aa3b, v104, -v107
	v_rndne_f32_e32 v111, v107
	v_rndne_f32_e32 v158, v112
	v_exp_f32_e32 v93, v93
	v_cvt_f16_f32_e32 v122, v60
	v_fmac_f32_e32 v110, 0x32a5705f, v104
	v_sub_f32_e32 v100, v107, v111
	v_fma_f32 v107, 0x3fb8aa3b, v105, -v112
	v_add_f32_e32 v58, v60, v58
	s_delay_alu instid0(VALU_DEP_3) | instskip(NEXT) | instid1(VALU_DEP_3)
	v_add_f32_e32 v101, v100, v110
	v_dual_fmac_f32 v107, 0x32a5705f, v105 :: v_dual_sub_f32 v110, v112, v158
	v_cndmask_b32_e32 v100, 0x7f800000, v94, vcc_lo
	v_cvt_i32_f32_e32 v94, v106
	v_mul_f32_e32 v112, 0x3fb8aa3b, v159
	v_exp_f32_e32 v101, v101
	v_add_f32_e32 v102, v110, v107
	v_cmp_ngt_f32_e32 vcc_lo, 0xc2ce8ed0, v103
	v_ldexp_f32 v93, v93, v94
	v_fma_f32 v106, 0x3fb8aa3b, v159, -v112
	v_rndne_f32_e32 v107, v112
	v_cvt_i32_f32_e32 v94, v111
	v_exp_f32_e32 v102, v102
	v_cndmask_b32_e32 v93, 0, v93, vcc_lo
	v_cmp_nlt_f32_e32 vcc_lo, 0x42b17218, v103
	v_fmac_f32_e32 v106, 0x32a5705f, v159
	v_sub_f32_e32 v110, v112, v107
	v_cvt_i32_f32_e32 v111, v158
	v_ldexp_f32 v94, v101, v94
	v_cndmask_b32_e32 v93, 0x7f800000, v93, vcc_lo
	v_cmp_ngt_f32_e32 vcc_lo, 0xc2ce8ed0, v104
	v_add_f32_e32 v101, v110, v106
	v_ldexp_f32 v102, v102, v111
	v_mul_f32_e32 v158, 0x3fb8aa3b, v114
	v_add_f32_e32 v60, v98, v58
	v_cndmask_b32_e32 v94, 0, v94, vcc_lo
	v_cmp_ngt_f32_e32 vcc_lo, 0xc2ce8ed0, v105
	v_exp_f32_e32 v103, v101
	v_cndmask_b32_e32 v101, 0, v102, vcc_lo
	v_cmp_nlt_f32_e32 vcc_lo, 0x42b17218, v104
	v_sub_f32_e32 v102, v117, v3
	v_cndmask_b32_e32 v104, 0x7f800000, v94, vcc_lo
	v_cvt_i32_f32_e32 v94, v107
	v_cmp_nlt_f32_e32 vcc_lo, 0x42b17218, v105
	s_delay_alu instid0(VALU_DEP_4)
	v_mul_f32_e32 v105, 0x3fb8aa3b, v102
	s_delay_alu instid0(TRANS32_DEP_1) | instid1(VALU_DEP_3)
	v_ldexp_f32 v94, v103, v94
	v_mul_f32_e32 v103, 0x3fb8aa3b, v157
	s_delay_alu instid0(VALU_DEP_3)
	v_fma_f32 v111, 0x3fb8aa3b, v102, -v105
	v_rndne_f32_e32 v112, v105
	v_cndmask_b32_e32 v101, 0x7f800000, v101, vcc_lo
	v_cmp_ngt_f32_e32 vcc_lo, 0xc2ce8ed0, v159
	v_rndne_f32_e32 v117, v103
	v_fmac_f32_e32 v111, 0x32a5705f, v102
	v_sub_f32_e32 v105, v105, v112
	v_fma_f32 v106, 0x3fb8aa3b, v157, -v103
	s_delay_alu instid0(VALU_DEP_4) | instskip(SKIP_1) | instid1(VALU_DEP_4)
	v_dual_cndmask_b32 v94, 0, v94 :: v_dual_sub_f32 v161, v103, v117
	v_cmp_nlt_f32_e32 vcc_lo, 0x42b17218, v159
	v_add_f32_e32 v103, v105, v111
	v_fma_f32 v105, 0x3fb8aa3b, v114, -v158
	v_rndne_f32_e32 v111, v158
	v_fmac_f32_e32 v106, 0x32a5705f, v157
	v_fmac_f32_e32 v162, 0x32a5705f, v115
	v_exp_f32_e32 v164, v103
	s_delay_alu instid0(VALU_DEP_3)
	v_dual_fmac_f32 v105, 0x32a5705f, v114 :: v_dual_sub_f32 v158, v158, v111
	v_cndmask_b32_e32 v103, 0x7f800000, v94, vcc_lo
	v_cmp_ngt_f32_e32 vcc_lo, 0xc2ce8ed0, v102
	v_cvt_f16_f32_e32 v107, v100
	v_cvt_f16_f32_e32 v110, v101
	v_dual_add_f32 v94, v158, v105 :: v_dual_add_f32 v105, v161, v106
	v_cvt_i32_f32_e32 v106, v112
	v_add_f32_e32 v112, v160, v162
	v_sub_f32_e32 v160, v92, v3
	s_delay_alu instid0(VALU_DEP_4)
	v_exp_f32_e32 v94, v94
	v_exp_f32_e32 v159, v105
	v_ldexp_f32 v105, v164, v106
	v_exp_f32_e32 v106, v112
	v_cvt_i32_f32_e32 v92, v111
	v_cvt_i32_f32_e32 v111, v163
	v_cvt_f16_f32_e32 v112, v93
	v_cndmask_b32_e32 v105, 0, v105, vcc_lo
	v_cmp_nlt_f32_e32 vcc_lo, 0x42b17218, v102
	v_cvt_f16_f32_e64 v158, v103
	v_ldexp_f32 v92, v94, v92
	s_delay_alu instid0(VALU_DEP_4) | instskip(SKIP_3) | instid1(VALU_DEP_4)
	v_cndmask_b32_e32 v102, 0x7f800000, v105, vcc_lo
	v_cmp_ngt_f32_e32 vcc_lo, 0xc2ce8ed0, v114
	v_ldexp_f32 v94, v106, v111
	v_mul_f32_e32 v105, 0x3fb8aa3b, v160
	v_dual_add_f32 v93, v93, v102 :: v_dual_cndmask_b32 v92, 0, v92
	v_cmp_ngt_f32_e32 vcc_lo, 0xc2ce8ed0, v115
	s_delay_alu instid0(VALU_DEP_3) | instskip(SKIP_3) | instid1(VALU_DEP_4)
	v_fma_f32 v111, 0x3fb8aa3b, v160, -v105
	v_rndne_f32_e32 v161, v105
	v_cndmask_b32_e32 v106, 0, v94, vcc_lo
	v_cmp_nlt_f32_e32 vcc_lo, 0x42b17218, v114
	v_fmac_f32_e32 v111, 0x32a5705f, v160
	s_delay_alu instid0(VALU_DEP_4) | instskip(SKIP_3) | instid1(VALU_DEP_4)
	v_sub_f32_e32 v105, v105, v161
	v_cvt_f16_f32_e32 v114, v102
	v_cndmask_b32_e32 v94, 0x7f800000, v92, vcc_lo
	v_cmp_nlt_f32_e32 vcc_lo, 0x42b17218, v115
	v_add_f32_e32 v163, v105, v111
	v_pack_b32_f16 v105, v109, v108
	v_pack_b32_f16 v108, v107, v114
	v_cvt_f16_f32_e32 v115, v94
	v_cndmask_b32_e32 v92, 0x7f800000, v106, vcc_lo
	v_cvt_f16_f32_e32 v106, v104
	v_pack_b32_f16 v107, v113, v120
	v_exp_f32_e32 v114, v163
	v_pack_b32_f16 v110, v110, v115
	v_cvt_f16_f32_e64 v162, v92
	v_pack_b32_f16 v106, v106, v112
	v_pack_b32_f16 v109, v116, v122
	;; [unrolled: 1-line block ×3, first 2 shown]
	v_cvt_i32_f32_e32 v115, v161
	v_pack_b32_f16 v112, v158, v162
	ds_store_2addr_b64 v86, v[105:106], v[107:108] offset1:32
	ds_store_2addr_b64 v86, v[109:110], v[111:112] offset0:64 offset1:96
	s_waitcnt vmcnt(7)
	ds_store_b128 v75, v[123:126]
	s_waitcnt vmcnt(6)
	ds_store_b128 v78, v[127:130]
	;; [unrolled: 2-line block ×8, first 2 shown]
	v_ldexp_f32 v105, v156, v121
	v_cmp_ngt_f32_e32 vcc_lo, 0xc2ce8ed0, v119
	v_cvt_i32_f32_e32 v113, v117
	v_ldexp_f32 v106, v114, v115
	s_waitcnt lgkmcnt(0)
	s_barrier
	v_cndmask_b32_e32 v105, 0, v105, vcc_lo
	v_cmp_ngt_f32_e32 vcc_lo, 0xc2ce8ed0, v160
	v_ldexp_f32 v107, v159, v113
	buffer_gl0_inv
	ds_load_2addr_b32 v[123:124], v46 offset1:32
	ds_load_b128 v[108:111], v77
	v_cvt_f16_f32_e32 v116, v97
	v_cndmask_b32_e32 v106, 0, v106, vcc_lo
	v_cmp_ngt_f32_e32 vcc_lo, 0xc2ce8ed0, v157
	v_dual_cndmask_b32 v112, 0, v107 :: v_dual_add_nc_u32 v127, 0x400, v46
	v_cmp_nlt_f32_e32 vcc_lo, 0x42b17218, v119
	v_cndmask_b32_e32 v107, 0x7f800000, v105, vcc_lo
	v_cmp_nlt_f32_e32 vcc_lo, 0x42b17218, v160
	s_delay_alu instid0(VALU_DEP_2)
	v_cvt_f16_f32_e32 v119, v107
	v_cndmask_b32_e32 v105, 0x7f800000, v106, vcc_lo
	v_cmp_nlt_f32_e32 vcc_lo, 0x42b17218, v157
	s_waitcnt lgkmcnt(0)
	v_pk_mul_f16 v118, v123, v108 op_sel_hi:[1,0]
	v_pk_mul_f16 v108, v123, v108 op_sel:[0,1]
	v_pk_mul_f16 v122, v123, v109 op_sel_hi:[1,0]
	v_cvt_f16_f32_e32 v117, v105
	v_cndmask_b32_e32 v106, 0x7f800000, v112, vcc_lo
	ds_load_b128 v[112:115], v77 offset:16
	ds_load_2addr_b32 v[125:126], v46 offset0:64 offset1:96
	v_pk_fma_f16 v121, v116, v52, v118 op_sel_hi:[0,1,1]
	v_pk_fma_f16 v108, v119, v51, v108 op_sel_hi:[0,1,1]
	v_pk_mul_f16 v48, v117, v48 op_sel_hi:[0,1]
	v_cvt_f16_f32_e32 v120, v106
	ds_load_2addr_b32 v[51:52], v46 offset0:128 offset1:160
	ds_load_b128 v[116:119], v77 offset:32
	v_fmac_f32_e32 v60, v90, v107
	v_pk_fma_f16 v108, v124, v110, v108 op_sel:[0,1,0]
	v_pk_fma_f16 v48, v123, v109, v48 op_sel:[0,1,0]
	v_pk_fma_f16 v49, v120, v49, v122 op_sel_hi:[0,1,1]
	v_pk_fma_f16 v109, v124, v110, v121 op_sel_hi:[1,0,1]
	ds_load_b128 v[120:123], v77 offset:48
	v_pk_fma_f16 v110, v124, v111, v49 op_sel_hi:[1,0,1]
	v_pk_fma_f16 v111, v124, v111, v48 op_sel:[0,1,0]
	ds_load_2addr_b32 v[48:49], v46 offset0:192 offset1:224
	s_waitcnt lgkmcnt(4)
	v_pk_fma_f16 v109, v125, v112, v109 op_sel_hi:[1,0,1]
	v_pk_fma_f16 v108, v125, v112, v108 op_sel:[0,1,0]
	v_pk_fma_f16 v110, v125, v113, v110 op_sel_hi:[1,0,1]
	v_pk_fma_f16 v111, v125, v113, v111 op_sel:[0,1,0]
	s_delay_alu instid0(VALU_DEP_4) | instskip(NEXT) | instid1(VALU_DEP_4)
	v_pk_fma_f16 v109, v126, v114, v109 op_sel_hi:[1,0,1]
	v_pk_fma_f16 v108, v126, v114, v108 op_sel:[0,1,0]
	s_delay_alu instid0(VALU_DEP_4) | instskip(NEXT) | instid1(VALU_DEP_4)
	v_pk_fma_f16 v112, v126, v115, v110 op_sel_hi:[1,0,1]
	v_pk_fma_f16 v113, v126, v115, v111 op_sel:[0,1,0]
	s_waitcnt lgkmcnt(2)
	v_pk_fma_f16 v114, v51, v116, v109 op_sel_hi:[1,0,1]
	v_pk_fma_f16 v115, v51, v116, v108 op_sel:[0,1,0]
	ds_load_2addr_b32 v[124:125], v127 offset1:32
	ds_load_b128 v[108:111], v77 offset:64
	v_pk_fma_f16 v112, v51, v117, v112 op_sel_hi:[1,0,1]
	v_pk_fma_f16 v51, v51, v117, v113 op_sel:[0,1,0]
	v_pk_fma_f16 v113, v52, v118, v114 op_sel_hi:[1,0,1]
	v_pk_fma_f16 v114, v52, v118, v115 op_sel:[0,1,0]
	s_delay_alu instid0(VALU_DEP_4) | instskip(NEXT) | instid1(VALU_DEP_4)
	v_pk_fma_f16 v116, v52, v119, v112 op_sel_hi:[1,0,1]
	v_pk_fma_f16 v117, v52, v119, v51 op_sel:[0,1,0]
	s_waitcnt lgkmcnt(2)
	v_pk_fma_f16 v118, v48, v120, v113 op_sel_hi:[1,0,1]
	v_pk_fma_f16 v119, v48, v120, v114 op_sel:[0,1,0]
	ds_load_2addr_b32 v[51:52], v127 offset0:64 offset1:96
	ds_load_b128 v[112:115], v77 offset:80
	v_pk_fma_f16 v116, v48, v121, v116 op_sel_hi:[1,0,1]
	v_pk_fma_f16 v48, v48, v121, v117 op_sel:[0,1,0]
	v_pk_fma_f16 v117, v49, v122, v118 op_sel_hi:[1,0,1]
	v_pk_fma_f16 v118, v49, v122, v119 op_sel:[0,1,0]
	s_delay_alu instid0(VALU_DEP_4) | instskip(NEXT) | instid1(VALU_DEP_4)
	v_pk_fma_f16 v120, v49, v123, v116 op_sel_hi:[1,0,1]
	v_pk_fma_f16 v121, v49, v123, v48 op_sel:[0,1,0]
	s_waitcnt lgkmcnt(2)
	v_pk_fma_f16 v122, v124, v108, v117 op_sel_hi:[1,0,1]
	v_pk_fma_f16 v108, v124, v108, v118 op_sel:[0,1,0]
	ds_load_2addr_b32 v[48:49], v127 offset0:128 offset1:160
	ds_load_b128 v[116:119], v77 offset:96
	v_pk_fma_f16 v120, v124, v109, v120 op_sel_hi:[1,0,1]
	v_pk_fma_f16 v109, v124, v109, v121 op_sel:[0,1,0]
	v_pk_fma_f16 v121, v125, v110, v122 op_sel_hi:[1,0,1]
	v_pk_fma_f16 v108, v125, v110, v108 op_sel:[0,1,0]
	s_delay_alu instid0(VALU_DEP_4) | instskip(NEXT) | instid1(VALU_DEP_4)
	v_pk_fma_f16 v122, v125, v111, v120 op_sel_hi:[1,0,1]
	v_pk_fma_f16 v123, v125, v111, v109 op_sel:[0,1,0]
	s_waitcnt lgkmcnt(2)
	v_pk_fma_f16 v124, v51, v112, v121 op_sel_hi:[1,0,1]
	v_pk_fma_f16 v112, v51, v112, v108 op_sel:[0,1,0]
	ds_load_2addr_b32 v[120:121], v127 offset0:192 offset1:224
	ds_load_b128 v[108:111], v77 offset:112
	v_pk_fma_f16 v122, v51, v113, v122 op_sel_hi:[1,0,1]
	v_pk_fma_f16 v51, v51, v113, v123 op_sel:[0,1,0]
	v_pk_fma_f16 v113, v52, v114, v124 op_sel_hi:[1,0,1]
	v_pk_fma_f16 v112, v52, v114, v112 op_sel:[0,1,0]
	v_add_nc_u32_e32 v123, 0x800, v46
	v_pk_fma_f16 v122, v52, v115, v122 op_sel_hi:[1,0,1]
	v_pk_fma_f16 v124, v52, v115, v51 op_sel:[0,1,0]
	s_waitcnt lgkmcnt(2)
	v_pk_fma_f16 v125, v48, v116, v113 op_sel_hi:[1,0,1]
	v_pk_fma_f16 v116, v48, v116, v112 op_sel:[0,1,0]
	ds_load_2addr_b32 v[51:52], v123 offset1:32
	ds_load_b128 v[112:115], v77 offset:128
	v_pk_fma_f16 v122, v48, v117, v122 op_sel_hi:[1,0,1]
	v_pk_fma_f16 v48, v48, v117, v124 op_sel:[0,1,0]
	v_pk_fma_f16 v117, v49, v118, v125 op_sel_hi:[1,0,1]
	v_pk_fma_f16 v116, v49, v118, v116 op_sel:[0,1,0]
	s_delay_alu instid0(VALU_DEP_4) | instskip(NEXT) | instid1(VALU_DEP_4)
	v_pk_fma_f16 v122, v49, v119, v122 op_sel_hi:[1,0,1]
	v_pk_fma_f16 v124, v49, v119, v48 op_sel:[0,1,0]
	s_waitcnt lgkmcnt(2)
	v_pk_fma_f16 v125, v120, v108, v117 op_sel_hi:[1,0,1]
	v_pk_fma_f16 v108, v120, v108, v116 op_sel:[0,1,0]
	ds_load_2addr_b32 v[48:49], v123 offset0:64 offset1:96
	ds_load_b128 v[116:119], v77 offset:144
	v_pk_fma_f16 v122, v120, v109, v122 op_sel_hi:[1,0,1]
	v_pk_fma_f16 v109, v120, v109, v124 op_sel:[0,1,0]
	v_pk_fma_f16 v120, v121, v110, v125 op_sel_hi:[1,0,1]
	v_pk_fma_f16 v108, v121, v110, v108 op_sel:[0,1,0]
	s_delay_alu instid0(VALU_DEP_4) | instskip(NEXT) | instid1(VALU_DEP_4)
	v_pk_fma_f16 v122, v121, v111, v122 op_sel_hi:[1,0,1]
	v_pk_fma_f16 v124, v121, v111, v109 op_sel:[0,1,0]
	s_waitcnt lgkmcnt(2)
	v_pk_fma_f16 v125, v51, v112, v120 op_sel_hi:[1,0,1]
	v_pk_fma_f16 v112, v51, v112, v108 op_sel:[0,1,0]
	ds_load_2addr_b32 v[120:121], v123 offset0:128 offset1:160
	ds_load_b128 v[108:111], v77 offset:160
	v_pk_fma_f16 v122, v51, v113, v122 op_sel_hi:[1,0,1]
	v_pk_fma_f16 v51, v51, v113, v124 op_sel:[0,1,0]
	v_pk_fma_f16 v113, v52, v114, v125 op_sel_hi:[1,0,1]
	v_pk_fma_f16 v112, v52, v114, v112 op_sel:[0,1,0]
	s_delay_alu instid0(VALU_DEP_4) | instskip(NEXT) | instid1(VALU_DEP_4)
	v_pk_fma_f16 v122, v52, v115, v122 op_sel_hi:[1,0,1]
	v_pk_fma_f16 v124, v52, v115, v51 op_sel:[0,1,0]
	s_waitcnt lgkmcnt(2)
	v_pk_fma_f16 v125, v48, v116, v113 op_sel_hi:[1,0,1]
	v_pk_fma_f16 v116, v48, v116, v112 op_sel:[0,1,0]
	ds_load_2addr_b32 v[51:52], v123 offset0:192 offset1:224
	ds_load_b128 v[112:115], v77 offset:176
	v_pk_fma_f16 v122, v48, v117, v122 op_sel_hi:[1,0,1]
	v_pk_fma_f16 v48, v48, v117, v124 op_sel:[0,1,0]
	v_pk_fma_f16 v117, v49, v118, v125 op_sel_hi:[1,0,1]
	v_pk_fma_f16 v116, v49, v118, v116 op_sel:[0,1,0]
	v_add_nc_u32_e32 v123, 0xc00, v46
	;; [unrolled: 48-line block ×12, first 2 shown]
	v_pk_fma_f16 v122, v121, v111, v122 op_sel_hi:[1,0,1]
	v_pk_fma_f16 v124, v121, v111, v109 op_sel:[0,1,0]
	s_waitcnt lgkmcnt(2)
	v_pk_fma_f16 v125, v51, v112, v120 op_sel_hi:[1,0,1]
	v_pk_fma_f16 v112, v51, v112, v108 op_sel:[0,1,0]
	ds_load_2addr_b32 v[120:121], v123 offset1:32
	ds_load_b128 v[108:111], v77 offset:832
	v_pk_fma_f16 v122, v51, v113, v122 op_sel_hi:[1,0,1]
	v_pk_fma_f16 v51, v51, v113, v124 op_sel:[0,1,0]
	v_pk_fma_f16 v113, v52, v114, v125 op_sel_hi:[1,0,1]
	v_pk_fma_f16 v112, v52, v114, v112 op_sel:[0,1,0]
	s_delay_alu instid0(VALU_DEP_4) | instskip(NEXT) | instid1(VALU_DEP_4)
	v_pk_fma_f16 v122, v52, v115, v122 op_sel_hi:[1,0,1]
	v_pk_fma_f16 v124, v52, v115, v51 op_sel:[0,1,0]
	s_waitcnt lgkmcnt(2)
	v_pk_fma_f16 v125, v48, v116, v113 op_sel_hi:[1,0,1]
	v_pk_fma_f16 v116, v48, v116, v112 op_sel:[0,1,0]
	ds_load_2addr_b32 v[51:52], v123 offset0:64 offset1:96
	ds_load_b128 v[112:115], v77 offset:848
	v_pk_fma_f16 v95, v48, v117, v122 op_sel_hi:[1,0,1]
	v_pk_fma_f16 v48, v48, v117, v124 op_sel:[0,1,0]
	v_pk_fma_f16 v117, v49, v118, v125 op_sel_hi:[1,0,1]
	v_pk_fma_f16 v116, v49, v118, v116 op_sel:[0,1,0]
	s_delay_alu instid0(VALU_DEP_4) | instskip(NEXT) | instid1(VALU_DEP_4)
	v_pk_fma_f16 v95, v49, v119, v95 op_sel_hi:[1,0,1]
	v_pk_fma_f16 v99, v49, v119, v48 op_sel:[0,1,0]
	s_waitcnt lgkmcnt(2)
	v_pk_fma_f16 v122, v120, v108, v117 op_sel_hi:[1,0,1]
	v_pk_fma_f16 v108, v120, v108, v116 op_sel:[0,1,0]
	ds_load_2addr_b32 v[48:49], v123 offset0:128 offset1:160
	ds_load_b128 v[116:119], v77 offset:864
	v_pk_fma_f16 v95, v120, v109, v95 op_sel_hi:[1,0,1]
	v_pk_fma_f16 v99, v120, v109, v99 op_sel:[0,1,0]
	v_pk_fma_f16 v109, v121, v110, v122 op_sel_hi:[1,0,1]
	v_pk_fma_f16 v108, v121, v110, v108 op_sel:[0,1,0]
	v_add_nc_u32_e32 v122, 0x3800, v46
	v_pk_fma_f16 v120, v121, v111, v95 op_sel_hi:[1,0,1]
	v_pk_fma_f16 v99, v121, v111, v99 op_sel:[0,1,0]
	s_waitcnt lgkmcnt(2)
	v_pk_fma_f16 v121, v51, v112, v109 op_sel_hi:[1,0,1]
	v_pk_fma_f16 v112, v51, v112, v108 op_sel:[0,1,0]
	ds_load_2addr_b32 v[95:96], v123 offset0:192 offset1:224
	ds_load_b128 v[108:111], v77 offset:880
	v_pk_fma_f16 v91, v51, v113, v120 op_sel_hi:[1,0,1]
	v_pk_fma_f16 v51, v51, v113, v99 op_sel:[0,1,0]
	v_pk_fma_f16 v97, v52, v114, v121 op_sel_hi:[1,0,1]
	v_pk_fma_f16 v99, v52, v114, v112 op_sel:[0,1,0]
	s_delay_alu instid0(VALU_DEP_4) | instskip(NEXT) | instid1(VALU_DEP_4)
	v_pk_fma_f16 v91, v52, v115, v91 op_sel_hi:[1,0,1]
	v_pk_fma_f16 v120, v52, v115, v51 op_sel:[0,1,0]
	ds_load_2addr_b32 v[51:52], v122 offset1:32
	ds_load_b128 v[112:115], v77 offset:896
	s_waitcnt lgkmcnt(4)
	v_pk_fma_f16 v97, v48, v116, v97 op_sel_hi:[1,0,1]
	v_pk_fma_f16 v99, v48, v116, v99 op_sel:[0,1,0]
	v_pk_fma_f16 v91, v48, v117, v91 op_sel_hi:[1,0,1]
	v_pk_fma_f16 v48, v48, v117, v120 op_sel:[0,1,0]
	s_delay_alu instid0(VALU_DEP_4) | instskip(NEXT) | instid1(VALU_DEP_4)
	v_pk_fma_f16 v97, v49, v118, v97 op_sel_hi:[1,0,1]
	v_pk_fma_f16 v99, v49, v118, v99 op_sel:[0,1,0]
	s_delay_alu instid0(VALU_DEP_4) | instskip(NEXT) | instid1(VALU_DEP_4)
	v_pk_fma_f16 v61, v49, v119, v91 op_sel_hi:[1,0,1]
	v_pk_fma_f16 v91, v49, v119, v48 op_sel:[0,1,0]
	ds_load_2addr_b32 v[48:49], v122 offset0:64 offset1:96
	ds_load_b128 v[116:119], v77 offset:912
	s_waitcnt lgkmcnt(4)
	v_pk_fma_f16 v97, v95, v108, v97 op_sel_hi:[1,0,1]
	v_pk_fma_f16 v99, v95, v108, v99 op_sel:[0,1,0]
	v_pk_fma_f16 v61, v95, v109, v61 op_sel_hi:[1,0,1]
	v_pk_fma_f16 v91, v95, v109, v91 op_sel:[0,1,0]
	s_delay_alu instid0(VALU_DEP_4) | instskip(NEXT) | instid1(VALU_DEP_4)
	v_pk_fma_f16 v95, v96, v110, v97 op_sel_hi:[1,0,1]
	v_pk_fma_f16 v97, v96, v110, v99 op_sel:[0,1,0]
	s_delay_alu instid0(VALU_DEP_4) | instskip(NEXT) | instid1(VALU_DEP_4)
	v_pk_fma_f16 v58, v96, v111, v61 op_sel_hi:[1,0,1]
	v_pk_fma_f16 v61, v96, v111, v91 op_sel:[0,1,0]
	s_waitcnt lgkmcnt(2)
	v_pk_fma_f16 v91, v51, v112, v95 op_sel_hi:[1,0,1]
	v_pk_fma_f16 v99, v51, v112, v97 op_sel:[0,1,0]
	ds_load_2addr_b32 v[120:121], v122 offset0:128 offset1:160
	ds_load_b128 v[95:98], v77 offset:928
	v_pk_fma_f16 v58, v51, v113, v58 op_sel_hi:[1,0,1]
	v_pk_fma_f16 v51, v51, v113, v61 op_sel:[0,1,0]
	v_pk_fma_f16 v61, v52, v114, v91 op_sel_hi:[1,0,1]
	v_pk_fma_f16 v91, v52, v114, v99 op_sel:[0,1,0]
	v_add_f32_e32 v99, v104, v100
	v_pk_fma_f16 v58, v52, v115, v58 op_sel_hi:[1,0,1]
	v_pk_fma_f16 v90, v52, v115, v51 op_sel:[0,1,0]
	s_waitcnt lgkmcnt(2)
	v_pk_fma_f16 v61, v48, v116, v61 op_sel_hi:[1,0,1]
	v_pk_fma_f16 v91, v48, v116, v91 op_sel:[0,1,0]
	ds_load_2addr_b32 v[51:52], v122 offset0:192 offset1:224
	ds_load_b128 v[107:110], v77 offset:944
	v_pk_fma_f16 v58, v48, v117, v58 op_sel_hi:[1,0,1]
	v_pk_fma_f16 v48, v48, v117, v90 op_sel:[0,1,0]
	v_pk_fma_f16 v61, v49, v118, v61 op_sel_hi:[1,0,1]
	v_pk_fma_f16 v90, v49, v118, v91 op_sel:[0,1,0]
	v_add_nc_u32_e32 v100, 0x3c00, v46
	v_pk_fma_f16 v58, v49, v119, v58 op_sel_hi:[1,0,1]
	v_pk_fma_f16 v91, v49, v119, v48 op_sel:[0,1,0]
	ds_load_2addr_b32 v[48:49], v100 offset1:32
	ds_load_b128 v[111:114], v77 offset:960
	s_waitcnt lgkmcnt(4)
	v_pk_fma_f16 v61, v120, v95, v61 op_sel_hi:[1,0,1]
	v_pk_fma_f16 v90, v120, v95, v90 op_sel:[0,1,0]
	v_pk_fma_f16 v58, v120, v96, v58 op_sel_hi:[1,0,1]
	v_pk_fma_f16 v91, v120, v96, v91 op_sel:[0,1,0]
	v_add_f32_e32 v99, v101, v99
	v_pk_fma_f16 v61, v121, v97, v61 op_sel_hi:[1,0,1]
	v_pk_fma_f16 v90, v121, v97, v90 op_sel:[0,1,0]
	v_pk_fma_f16 v58, v121, v98, v58 op_sel_hi:[1,0,1]
	v_pk_fma_f16 v101, v121, v98, v91 op_sel:[0,1,0]
	s_waitcnt lgkmcnt(2)
	v_pk_fma_f16 v104, v51, v107, v61 op_sel_hi:[1,0,1]
	v_pk_fma_f16 v107, v51, v107, v90 op_sel:[0,1,0]
	ds_load_2addr_b32 v[90:91], v100 offset0:64 offset1:96
	ds_load_b128 v[95:98], v77 offset:976
	v_pk_fma_f16 v58, v51, v108, v58 op_sel_hi:[1,0,1]
	v_pk_fma_f16 v51, v51, v108, v101 op_sel:[0,1,0]
	v_add_f32_e32 v61, v103, v99
	v_pk_fma_f16 v99, v52, v109, v104 op_sel_hi:[1,0,1]
	v_pk_fma_f16 v101, v52, v109, v107 op_sel:[0,1,0]
	v_pk_fma_f16 v58, v52, v110, v58 op_sel_hi:[1,0,1]
	v_pk_fma_f16 v51, v52, v110, v51 op_sel:[0,1,0]
	v_fmac_f32_e32 v61, v89, v106
	s_waitcnt lgkmcnt(2)
	v_pk_fma_f16 v89, v48, v111, v99 op_sel_hi:[1,0,1]
	v_pk_fma_f16 v99, v48, v111, v101 op_sel:[0,1,0]
	v_pk_fma_f16 v58, v48, v112, v58 op_sel_hi:[1,0,1]
	v_pk_fma_f16 v48, v48, v112, v51 op_sel:[0,1,0]
	ds_load_2addr_b32 v[51:52], v100 offset0:128 offset1:160
	ds_load_b128 v[106:109], v77 offset:992
	v_pk_fma_f16 v89, v49, v113, v89 op_sel_hi:[1,0,1]
	v_pk_fma_f16 v99, v49, v113, v99 op_sel:[0,1,0]
	v_pk_fma_f16 v58, v49, v114, v58 op_sel_hi:[1,0,1]
	v_pk_fma_f16 v48, v49, v114, v48 op_sel:[0,1,0]
	s_waitcnt lgkmcnt(2)
	v_pk_fma_f16 v49, v90, v95, v89 op_sel_hi:[1,0,1]
	v_pk_fma_f16 v89, v90, v95, v99 op_sel:[0,1,0]
	v_pk_fma_f16 v58, v90, v96, v58 op_sel_hi:[1,0,1]
	ds_load_2addr_b32 v[103:104], v100 offset0:192 offset1:224
	ds_load_b128 v[99:102], v77 offset:1008
	v_pk_fma_f16 v48, v90, v96, v48 op_sel:[0,1,0]
	s_waitcnt lgkmcnt(0)
	s_barrier
	buffer_gl0_inv
	s_load_b32 s21, s[2:3], 0x4
	v_pk_fma_f16 v49, v91, v97, v49 op_sel_hi:[1,0,1]
	v_pk_fma_f16 v89, v91, v97, v89 op_sel:[0,1,0]
	v_pk_fma_f16 v58, v91, v98, v58 op_sel_hi:[1,0,1]
	v_pk_fma_f16 v48, v91, v98, v48 op_sel:[0,1,0]
	v_add_f32_e32 v90, v94, v93
	v_pk_fma_f16 v49, v51, v106, v49 op_sel_hi:[1,0,1]
	v_pk_fma_f16 v89, v51, v106, v89 op_sel:[0,1,0]
	v_pk_fma_f16 v58, v51, v107, v58 op_sel_hi:[1,0,1]
	v_pk_fma_f16 v48, v51, v107, v48 op_sel:[0,1,0]
	s_delay_alu instid0(VALU_DEP_4) | instskip(NEXT) | instid1(VALU_DEP_4)
	v_pk_fma_f16 v49, v52, v108, v49 op_sel_hi:[1,0,1]
	v_pk_fma_f16 v51, v52, v108, v89 op_sel:[0,1,0]
	s_delay_alu instid0(VALU_DEP_4) | instskip(NEXT) | instid1(VALU_DEP_4)
	v_pk_fma_f16 v89, v52, v109, v58 op_sel_hi:[1,0,1]
	v_pk_fma_f16 v48, v52, v109, v48 op_sel:[0,1,0]
	v_add_f32_e32 v58, v92, v90
	v_pk_fma_f16 v49, v103, v99, v49 op_sel_hi:[1,0,1]
	v_pk_fma_f16 v51, v103, v99, v51 op_sel:[0,1,0]
	v_pk_fma_f16 v89, v103, v100, v89 op_sel_hi:[1,0,1]
	v_pk_fma_f16 v48, v103, v100, v48 op_sel:[0,1,0]
	v_fmac_f32_e32 v58, v88, v105
	s_waitcnt lgkmcnt(0)
	s_lshl_b32 s21, s21, 7
	v_pk_fma_f16 v52, v104, v101, v49 op_sel_hi:[1,0,1]
	v_pk_fma_f16 v51, v104, v101, v51 op_sel:[0,1,0]
	v_pk_fma_f16 v49, v104, v102, v89 op_sel_hi:[1,0,1]
	v_pk_fma_f16 v48, v104, v102, v48 op_sel:[0,1,0]
	s_add_i32 s16, s21, s16
	s_delay_alu instid0(SALU_CYCLE_1)
	s_cmp_lt_i32 s16, s6
	s_cbranch_scc0 .LBB59_44
; %bb.42:                               ;   in Loop: Header=BB59_8 Depth=1
	v_dual_mov_b32 v95, v0 :: v_dual_mov_b32 v94, v1
	v_dual_mov_b32 v93, v2 :: v_dual_mov_b32 v92, v3
	;; [unrolled: 1-line block ×4, first 2 shown]
	s_branch .LBB59_8
.LBB59_43:
	s_mov_b32 s45, s44
	s_mov_b32 s46, s44
	;; [unrolled: 1-line block ×3, first 2 shown]
	v_dual_mov_b32 v0, s44 :: v_dual_mov_b32 v1, s45
	v_dual_mov_b32 v2, s46 :: v_dual_mov_b32 v3, s47
	v_dual_mov_b32 v61, 0 :: v_dual_mov_b32 v60, 0
	v_dual_mov_b32 v59, 0 :: v_dual_mov_b32 v48, 0
	v_mov_b32_e32 v51, 0
	v_mov_b32_e32 v49, 0
.LBB59_44:
	v_lshlrev_b32_e32 v14, 1, v44
	s_cmp_gt_i32 s42, s16
	s_cbranch_scc1 .LBB59_46
; %bb.45:
	v_mbcnt_lo_u32_b32 v4, -1, 0
	v_mov_b32_e32 v25, 32
	s_delay_alu instid0(VALU_DEP_2)
	v_xor_b32_e32 v26, 16, v4
	v_xor_b32_e32 v24, 8, v4
	v_xor_b32_e32 v23, 4, v4
	v_xor_b32_e32 v22, 2, v4
	v_xor_b32_e32 v21, 1, v4
	s_cbranch_execz .LBB59_47
	s_branch .LBB59_128
.LBB59_46:
                                        ; implicit-def: $vgpr4
                                        ; implicit-def: $vgpr25
                                        ; implicit-def: $vgpr26
                                        ; implicit-def: $vgpr24
                                        ; implicit-def: $vgpr23
                                        ; implicit-def: $vgpr22
                                        ; implicit-def: $vgpr21
.LBB59_47:
	v_dual_mov_b32 v20, 0 :: v_dual_add_nc_u32 v11, v62, v41
	s_mul_hi_i32 s3, s16, s8
	s_mul_i32 s2, s16, s8
	s_mov_b32 s44, 0
	s_delay_alu instid0(VALU_DEP_1)
	v_mul_lo_u32 v8, s8, v11
	s_lshl_b64 s[2:3], s[2:3], 2
	s_sub_i32 s20, s42, s16
	s_mov_b64 s[10:11], src_private_base
	s_add_u32 s9, s4, s2
	s_mov_b32 s45, s44
	s_mov_b32 s46, s44
	v_dual_mov_b32 v21, s44 :: v_dual_and_b32 v6, 28, v46
	v_ashrrev_i32_e32 v9, 31, v8
	s_addc_u32 s10, s5, s3
	s_lshl_b32 s12, s8, 4
	s_delay_alu instid0(VALU_DEP_2) | instskip(NEXT) | instid1(VALU_DEP_2)
	v_dual_mov_b32 v23, s46 :: v_dual_lshlrev_b32 v10, 2, v6
	v_lshlrev_b64 v[4:5], 2, v[8:9]
	v_dual_mov_b32 v33, 0 :: v_dual_add_nc_u32 v8, s12, v8
	v_cmp_gt_i32_e64 s2, s20, v11
	v_mov_b32_e32 v22, s45
	v_mad_u32_u24 v26, 0x90, v11, v10
	v_add_co_u32 v4, vcc_lo, s9, v4
	v_add_co_ci_u32_e32 v5, vcc_lo, s10, v5, vcc_lo
	v_ashrrev_i32_e32 v9, 31, v8
	s_delay_alu instid0(VALU_DEP_3) | instskip(NEXT) | instid1(VALU_DEP_3)
	v_add_co_u32 v4, vcc_lo, v4, v10
	v_add_co_ci_u32_e32 v5, vcc_lo, 0, v5, vcc_lo
	s_delay_alu instid0(VALU_DEP_3) | instskip(NEXT) | instid1(VALU_DEP_3)
	v_lshlrev_b64 v[12:13], 2, v[8:9]
	v_cndmask_b32_e64 v4, 0, v4, s2
	v_dual_mov_b32 v27, 0 :: v_dual_add_nc_u32 v8, s12, v8
	s_delay_alu instid0(VALU_DEP_4)
	v_cndmask_b32_e64 v5, s11, v5, s2
	v_mov_b32_e32 v66, 0
	v_add_co_u32 v9, vcc_lo, s9, v12
	v_add_co_ci_u32_e32 v12, vcc_lo, s10, v13, vcc_lo
	v_add_nc_u32_e32 v13, 16, v11
	s_clause 0x1
	scratch_store_b32 off, v20, off
	scratch_store_b96 off, v[21:23], off offset:4
	flat_load_b128 v[4:7], v[4:5]
	v_add_co_u32 v9, vcc_lo, v9, v10
	v_add_co_ci_u32_e32 v12, vcc_lo, 0, v12, vcc_lo
	v_cmp_gt_i32_e64 s3, s20, v13
	s_clause 0x1
	scratch_store_b32 off, v20, off
	scratch_store_b96 off, v[21:23], off offset:4
	v_mov_b32_e32 v62, 0
	v_mov_b32_e32 v32, 0
	s_cmp_lg_u64 s[40:41], 0
	v_cndmask_b32_e64 v16, s11, v12, s3
	v_cndmask_b32_e64 v15, 0, v9, s3
	v_ashrrev_i32_e32 v9, 31, v8
	v_dual_mov_b32 v65, 0 :: v_dual_mov_b32 v64, 0
	v_mov_b32_e32 v31, 0
	v_mov_b32_e32 v35, 0
	v_dual_mov_b32 v29, 0 :: v_dual_mov_b32 v34, 0
	v_mov_b32_e32 v63, 0
	v_dual_mov_b32 v67, 0 :: v_dual_mov_b32 v30, 0
	v_mov_b32_e32 v28, 0
	s_waitcnt vmcnt(0) lgkmcnt(0)
	ds_store_b128 v26, v[4:7]
	flat_load_b128 v[4:7], v[15:16]
	v_lshlrev_b64 v[15:16], 2, v[8:9]
	s_clause 0x1
	scratch_store_b32 off, v20, off
	scratch_store_b96 off, v[21:23], off offset:4
	v_add_nc_u32_e32 v8, s12, v8
	v_add_co_u32 v9, vcc_lo, s9, v15
	v_add_co_ci_u32_e32 v12, vcc_lo, s10, v16, vcc_lo
	v_add_nc_u32_e32 v15, 32, v11
	s_delay_alu instid0(VALU_DEP_3) | instskip(NEXT) | instid1(VALU_DEP_3)
	v_add_co_u32 v9, vcc_lo, v9, v10
	v_add_co_ci_u32_e32 v12, vcc_lo, 0, v12, vcc_lo
	s_delay_alu instid0(VALU_DEP_3) | instskip(NEXT) | instid1(VALU_DEP_1)
	v_cmp_gt_i32_e64 s4, s20, v15
	v_cndmask_b32_e64 v17, s11, v12, s4
	s_delay_alu instid0(VALU_DEP_4)
	v_cndmask_b32_e64 v16, 0, v9, s4
	v_ashrrev_i32_e32 v9, 31, v8
	s_waitcnt vmcnt(0) lgkmcnt(0)
	ds_store_b128 v26, v[4:7] offset:2304
	flat_load_b128 v[4:7], v[16:17]
	v_lshlrev_b64 v[16:17], 2, v[8:9]
	s_clause 0x1
	scratch_store_b32 off, v20, off
	scratch_store_b96 off, v[21:23], off offset:4
	v_add_nc_u32_e32 v8, s12, v8
	v_add_co_u32 v9, vcc_lo, s9, v16
	v_add_co_ci_u32_e32 v12, vcc_lo, s10, v17, vcc_lo
	v_add_nc_u32_e32 v16, 48, v11
	s_delay_alu instid0(VALU_DEP_3) | instskip(NEXT) | instid1(VALU_DEP_3)
	v_add_co_u32 v9, vcc_lo, v9, v10
	v_add_co_ci_u32_e32 v12, vcc_lo, 0, v12, vcc_lo
	s_delay_alu instid0(VALU_DEP_3) | instskip(NEXT) | instid1(VALU_DEP_1)
	v_cmp_gt_i32_e64 s5, s20, v16
	v_cndmask_b32_e64 v18, s11, v12, s5
	s_delay_alu instid0(VALU_DEP_4)
	v_cndmask_b32_e64 v17, 0, v9, s5
	v_ashrrev_i32_e32 v9, 31, v8
	s_waitcnt vmcnt(0) lgkmcnt(0)
	ds_store_b128 v26, v[4:7] offset:4608
	;; [unrolled: 20-line block ×3, first 2 shown]
	flat_load_b128 v[4:7], v[18:19]
	v_lshlrev_b64 v[18:19], 2, v[8:9]
	s_clause 0x1
	scratch_store_b32 off, v20, off
	scratch_store_b96 off, v[21:23], off offset:4
	v_add_nc_u32_e32 v8, s12, v8
	v_add_co_u32 v9, vcc_lo, s9, v18
	v_add_co_ci_u32_e32 v12, vcc_lo, s10, v19, vcc_lo
	v_add_nc_u32_e32 v18, 0x50, v11
	s_delay_alu instid0(VALU_DEP_3) | instskip(NEXT) | instid1(VALU_DEP_3)
	v_add_co_u32 v9, vcc_lo, v9, v10
	v_add_co_ci_u32_e32 v12, vcc_lo, 0, v12, vcc_lo
	s_delay_alu instid0(VALU_DEP_3) | instskip(SKIP_1) | instid1(VALU_DEP_2)
	v_cmp_gt_i32_e64 s7, s20, v18
	v_add_nc_u32_e32 v19, 0x60, v11
	v_cndmask_b32_e64 v25, s11, v12, s7
	v_cndmask_b32_e64 v24, 0, v9, s7
	v_ashrrev_i32_e32 v9, 31, v8
	s_delay_alu instid0(VALU_DEP_4)
	v_cmp_gt_i32_e64 s8, s20, v19
	s_waitcnt vmcnt(0) lgkmcnt(0)
	ds_store_b128 v26, v[4:7] offset:9216
	flat_load_b128 v[4:7], v[24:25]
	v_lshlrev_b64 v[24:25], 2, v[8:9]
	s_clause 0x1
	scratch_store_b32 off, v20, off
	scratch_store_b96 off, v[21:23], off offset:4
	v_add_nc_u32_e32 v8, s12, v8
	v_add_co_u32 v9, vcc_lo, s9, v24
	v_add_co_ci_u32_e32 v12, vcc_lo, s10, v25, vcc_lo
	s_delay_alu instid0(VALU_DEP_2) | instskip(NEXT) | instid1(VALU_DEP_2)
	v_add_co_u32 v9, vcc_lo, v9, v10
	v_add_co_ci_u32_e32 v12, vcc_lo, 0, v12, vcc_lo
	s_delay_alu instid0(VALU_DEP_2) | instskip(SKIP_1) | instid1(VALU_DEP_3)
	v_cndmask_b32_e64 v24, 0, v9, s8
	v_ashrrev_i32_e32 v9, 31, v8
	v_cndmask_b32_e64 v25, s11, v12, s8
	v_add_nc_u32_e32 v12, 0x70, v11
	s_delay_alu instid0(VALU_DEP_3) | instskip(NEXT) | instid1(VALU_DEP_1)
	v_lshlrev_b64 v[8:9], 2, v[8:9]
	v_add_co_u32 v8, vcc_lo, s9, v8
	s_delay_alu instid0(VALU_DEP_2) | instskip(NEXT) | instid1(VALU_DEP_4)
	v_add_co_ci_u32_e32 v9, vcc_lo, s10, v9, vcc_lo
	v_cmp_gt_i32_e64 s9, s20, v12
	s_delay_alu instid0(VALU_DEP_3) | instskip(NEXT) | instid1(VALU_DEP_3)
	v_add_co_u32 v8, vcc_lo, v8, v10
	v_add_co_ci_u32_e32 v9, vcc_lo, 0, v9, vcc_lo
	v_cmp_gt_i32_e64 s10, s20, v44
	s_delay_alu instid0(VALU_DEP_3) | instskip(NEXT) | instid1(VALU_DEP_3)
	v_cndmask_b32_e64 v8, 0, v8, s9
	v_cndmask_b32_e64 v9, s11, v9, s9
	s_cselect_b32 s11, -1, 0
	s_waitcnt vmcnt(0) lgkmcnt(0)
	ds_store_b128 v26, v[4:7] offset:11520
	flat_load_b128 v[4:7], v[24:25]
	s_clause 0x1
	scratch_store_b32 off, v20, off
	scratch_store_b96 off, v[21:23], off offset:4
	v_lshlrev_b32_e32 v21, 9, v47
	s_waitcnt vmcnt(0) lgkmcnt(0)
	ds_store_b128 v26, v[4:7] offset:13824
	flat_load_b128 v[4:7], v[8:9]
	v_mad_u64_u32 v[8:9], null, v56, s22, s[16:17]
	s_waitcnt vmcnt(0) lgkmcnt(0)
	ds_store_b128 v26, v[4:7] offset:16128
	s_waitcnt lgkmcnt(0)
	s_waitcnt_vscnt null, 0x0
	s_barrier
	buffer_gl0_inv
	ds_load_b128 v[4:7], v57
	ds_load_b128 v[22:25], v21 offset:22528
	ds_load_b128 v[68:71], v21 offset:22656
	;; [unrolled: 1-line block ×7, first 2 shown]
	s_waitcnt lgkmcnt(6)
	;;#ASMSTART
	v_dot2_f32_f16 v64, v4, v22, v64
	;;#ASMEND
	;;#ASMSTART
	v_dot2_f32_f16 v64, v5, v23, v64
	;;#ASMEND
	;;#ASMSTART
	v_dot2_f32_f16 v64, v6, v24, v64
	;;#ASMEND
	;;#ASMSTART
	v_dot2_f32_f16 v64, v7, v25, v64
	;;#ASMEND
	s_waitcnt lgkmcnt(5)
	;;#ASMSTART
	v_dot2_f32_f16 v34, v4, v68, v34
	;;#ASMEND
	;;#ASMSTART
	v_dot2_f32_f16 v34, v5, v69, v34
	;;#ASMEND
	;;#ASMSTART
	v_dot2_f32_f16 v34, v6, v70, v34
	;;#ASMEND
	;;#ASMSTART
	v_dot2_f32_f16 v34, v7, v71, v34
	;;#ASMEND
	;; [unrolled: 13-line block ×5, first 2 shown]
	;;#ASMSTART
	v_dot2_f32_f16 v35, v80, v68, v35
	;;#ASMEND
	;;#ASMSTART
	v_dot2_f32_f16 v35, v81, v69, v35
	;;#ASMEND
	;; [unrolled: 3-line block ×12, first 2 shown]
	s_waitcnt lgkmcnt(1)
	;;#ASMSTART
	v_dot2_f32_f16 v66, v84, v22, v66
	;;#ASMEND
	;;#ASMSTART
	v_dot2_f32_f16 v66, v85, v23, v66
	;;#ASMEND
	;; [unrolled: 3-line block ×16, first 2 shown]
	s_waitcnt lgkmcnt(0)
	;;#ASMSTART
	v_dot2_f32_f16 v67, v88, v22, v67
	;;#ASMEND
	;;#ASMSTART
	v_dot2_f32_f16 v67, v89, v23, v67
	;;#ASMEND
	;; [unrolled: 3-line block ×16, first 2 shown]
	ds_load_b128 v[4:7], v57 offset:16
	ds_load_b128 v[22:25], v21 offset:22544
	;; [unrolled: 1-line block ×8, first 2 shown]
	s_waitcnt lgkmcnt(6)
	;;#ASMSTART
	v_dot2_f32_f16 v64, v4, v22, v64
	;;#ASMEND
	;;#ASMSTART
	v_dot2_f32_f16 v64, v5, v23, v64
	;;#ASMEND
	;;#ASMSTART
	v_dot2_f32_f16 v64, v6, v24, v64
	;;#ASMEND
	;;#ASMSTART
	v_dot2_f32_f16 v64, v7, v25, v64
	;;#ASMEND
	s_waitcnt lgkmcnt(5)
	;;#ASMSTART
	v_dot2_f32_f16 v34, v4, v68, v34
	;;#ASMEND
	;;#ASMSTART
	v_dot2_f32_f16 v34, v5, v69, v34
	;;#ASMEND
	;;#ASMSTART
	v_dot2_f32_f16 v34, v6, v70, v34
	;;#ASMEND
	;;#ASMSTART
	v_dot2_f32_f16 v34, v7, v71, v34
	;;#ASMEND
	;; [unrolled: 13-line block ×5, first 2 shown]
	;;#ASMSTART
	v_dot2_f32_f16 v35, v80, v68, v35
	;;#ASMEND
	;;#ASMSTART
	v_dot2_f32_f16 v35, v81, v69, v35
	;;#ASMEND
	;; [unrolled: 3-line block ×12, first 2 shown]
	s_waitcnt lgkmcnt(1)
	;;#ASMSTART
	v_dot2_f32_f16 v66, v84, v22, v66
	;;#ASMEND
	;;#ASMSTART
	v_dot2_f32_f16 v66, v85, v23, v66
	;;#ASMEND
	;; [unrolled: 3-line block ×16, first 2 shown]
	s_waitcnt lgkmcnt(0)
	;;#ASMSTART
	v_dot2_f32_f16 v67, v88, v22, v67
	;;#ASMEND
	;;#ASMSTART
	v_dot2_f32_f16 v67, v89, v23, v67
	;;#ASMEND
	;; [unrolled: 3-line block ×16, first 2 shown]
	ds_load_b128 v[4:7], v57 offset:32
	ds_load_b128 v[22:25], v21 offset:22560
	;; [unrolled: 1-line block ×8, first 2 shown]
	s_waitcnt lgkmcnt(6)
	;;#ASMSTART
	v_dot2_f32_f16 v64, v4, v22, v64
	;;#ASMEND
	;;#ASMSTART
	v_dot2_f32_f16 v64, v5, v23, v64
	;;#ASMEND
	;;#ASMSTART
	v_dot2_f32_f16 v64, v6, v24, v64
	;;#ASMEND
	;;#ASMSTART
	v_dot2_f32_f16 v64, v7, v25, v64
	;;#ASMEND
	s_waitcnt lgkmcnt(5)
	;;#ASMSTART
	v_dot2_f32_f16 v34, v4, v68, v34
	;;#ASMEND
	;;#ASMSTART
	v_dot2_f32_f16 v34, v5, v69, v34
	;;#ASMEND
	;;#ASMSTART
	v_dot2_f32_f16 v34, v6, v70, v34
	;;#ASMEND
	;;#ASMSTART
	v_dot2_f32_f16 v34, v7, v71, v34
	;;#ASMEND
	;; [unrolled: 13-line block ×5, first 2 shown]
	;;#ASMSTART
	v_dot2_f32_f16 v35, v80, v68, v35
	;;#ASMEND
	;;#ASMSTART
	v_dot2_f32_f16 v35, v81, v69, v35
	;;#ASMEND
	;; [unrolled: 3-line block ×12, first 2 shown]
	s_waitcnt lgkmcnt(1)
	;;#ASMSTART
	v_dot2_f32_f16 v66, v84, v22, v66
	;;#ASMEND
	;;#ASMSTART
	v_dot2_f32_f16 v66, v85, v23, v66
	;;#ASMEND
	;; [unrolled: 3-line block ×16, first 2 shown]
	s_waitcnt lgkmcnt(0)
	;;#ASMSTART
	v_dot2_f32_f16 v67, v88, v22, v67
	;;#ASMEND
	;;#ASMSTART
	v_dot2_f32_f16 v67, v89, v23, v67
	;;#ASMEND
	;; [unrolled: 3-line block ×16, first 2 shown]
	ds_load_b128 v[4:7], v57 offset:48
	ds_load_b128 v[22:25], v21 offset:22576
	ds_load_b128 v[68:71], v21 offset:22704
	ds_load_b128 v[72:75], v21 offset:22832
	ds_load_b128 v[76:79], v21 offset:22960
	ds_load_b128 v[80:83], v57 offset:4656
	ds_load_b128 v[84:87], v57 offset:9264
	ds_load_b128 v[88:91], v57 offset:13872
	s_waitcnt lgkmcnt(6)
	;;#ASMSTART
	v_dot2_f32_f16 v64, v4, v22, v64
	;;#ASMEND
	;;#ASMSTART
	v_dot2_f32_f16 v64, v5, v23, v64
	;;#ASMEND
	;;#ASMSTART
	v_dot2_f32_f16 v64, v6, v24, v64
	;;#ASMEND
	;;#ASMSTART
	v_dot2_f32_f16 v64, v7, v25, v64
	;;#ASMEND
	s_waitcnt lgkmcnt(5)
	;;#ASMSTART
	v_dot2_f32_f16 v34, v4, v68, v34
	;;#ASMEND
	;;#ASMSTART
	v_dot2_f32_f16 v34, v5, v69, v34
	;;#ASMEND
	;;#ASMSTART
	v_dot2_f32_f16 v34, v6, v70, v34
	;;#ASMEND
	;;#ASMSTART
	v_dot2_f32_f16 v34, v7, v71, v34
	;;#ASMEND
	;; [unrolled: 13-line block ×5, first 2 shown]
	;;#ASMSTART
	v_dot2_f32_f16 v35, v80, v68, v35
	;;#ASMEND
	;;#ASMSTART
	v_dot2_f32_f16 v35, v81, v69, v35
	;;#ASMEND
	;; [unrolled: 3-line block ×12, first 2 shown]
	s_waitcnt lgkmcnt(1)
	;;#ASMSTART
	v_dot2_f32_f16 v66, v84, v22, v66
	;;#ASMEND
	;;#ASMSTART
	v_dot2_f32_f16 v66, v85, v23, v66
	;;#ASMEND
	;; [unrolled: 3-line block ×16, first 2 shown]
	s_waitcnt lgkmcnt(0)
	;;#ASMSTART
	v_dot2_f32_f16 v67, v88, v22, v67
	;;#ASMEND
	;;#ASMSTART
	v_dot2_f32_f16 v67, v89, v23, v67
	;;#ASMEND
	;; [unrolled: 3-line block ×16, first 2 shown]
	ds_load_b128 v[4:7], v57 offset:64
	ds_load_b128 v[22:25], v21 offset:22592
	;; [unrolled: 1-line block ×8, first 2 shown]
	s_waitcnt lgkmcnt(6)
	;;#ASMSTART
	v_dot2_f32_f16 v64, v4, v22, v64
	;;#ASMEND
	;;#ASMSTART
	v_dot2_f32_f16 v64, v5, v23, v64
	;;#ASMEND
	;;#ASMSTART
	v_dot2_f32_f16 v64, v6, v24, v64
	;;#ASMEND
	;;#ASMSTART
	v_dot2_f32_f16 v64, v7, v25, v64
	;;#ASMEND
	s_waitcnt lgkmcnt(5)
	;;#ASMSTART
	v_dot2_f32_f16 v34, v4, v68, v34
	;;#ASMEND
	;;#ASMSTART
	v_dot2_f32_f16 v34, v5, v69, v34
	;;#ASMEND
	;;#ASMSTART
	v_dot2_f32_f16 v34, v6, v70, v34
	;;#ASMEND
	;;#ASMSTART
	v_dot2_f32_f16 v34, v7, v71, v34
	;;#ASMEND
	;; [unrolled: 13-line block ×5, first 2 shown]
	;;#ASMSTART
	v_dot2_f32_f16 v35, v80, v68, v35
	;;#ASMEND
	;;#ASMSTART
	v_dot2_f32_f16 v35, v81, v69, v35
	;;#ASMEND
	;; [unrolled: 3-line block ×12, first 2 shown]
	s_waitcnt lgkmcnt(1)
	;;#ASMSTART
	v_dot2_f32_f16 v66, v84, v22, v66
	;;#ASMEND
	;;#ASMSTART
	v_dot2_f32_f16 v66, v85, v23, v66
	;;#ASMEND
	;; [unrolled: 3-line block ×16, first 2 shown]
	s_waitcnt lgkmcnt(0)
	;;#ASMSTART
	v_dot2_f32_f16 v67, v88, v22, v67
	;;#ASMEND
	;;#ASMSTART
	v_dot2_f32_f16 v67, v89, v23, v67
	;;#ASMEND
	;; [unrolled: 3-line block ×16, first 2 shown]
	ds_load_b128 v[4:7], v57 offset:80
	ds_load_b128 v[22:25], v21 offset:22608
	;; [unrolled: 1-line block ×8, first 2 shown]
	s_waitcnt lgkmcnt(6)
	;;#ASMSTART
	v_dot2_f32_f16 v64, v4, v22, v64
	;;#ASMEND
	;;#ASMSTART
	v_dot2_f32_f16 v64, v5, v23, v64
	;;#ASMEND
	;;#ASMSTART
	v_dot2_f32_f16 v64, v6, v24, v64
	;;#ASMEND
	;;#ASMSTART
	v_dot2_f32_f16 v64, v7, v25, v64
	;;#ASMEND
	s_waitcnt lgkmcnt(5)
	;;#ASMSTART
	v_dot2_f32_f16 v34, v4, v68, v34
	;;#ASMEND
	;;#ASMSTART
	v_dot2_f32_f16 v34, v5, v69, v34
	;;#ASMEND
	;;#ASMSTART
	v_dot2_f32_f16 v34, v6, v70, v34
	;;#ASMEND
	;;#ASMSTART
	v_dot2_f32_f16 v34, v7, v71, v34
	;;#ASMEND
	;; [unrolled: 13-line block ×5, first 2 shown]
	;;#ASMSTART
	v_dot2_f32_f16 v35, v80, v68, v35
	;;#ASMEND
	;;#ASMSTART
	v_dot2_f32_f16 v35, v81, v69, v35
	;;#ASMEND
	;; [unrolled: 3-line block ×12, first 2 shown]
	s_waitcnt lgkmcnt(1)
	;;#ASMSTART
	v_dot2_f32_f16 v66, v84, v22, v66
	;;#ASMEND
	;;#ASMSTART
	v_dot2_f32_f16 v66, v85, v23, v66
	;;#ASMEND
	;; [unrolled: 3-line block ×16, first 2 shown]
	s_waitcnt lgkmcnt(0)
	;;#ASMSTART
	v_dot2_f32_f16 v67, v88, v22, v67
	;;#ASMEND
	;;#ASMSTART
	v_dot2_f32_f16 v67, v89, v23, v67
	;;#ASMEND
	;; [unrolled: 3-line block ×16, first 2 shown]
	ds_load_b128 v[4:7], v57 offset:96
	ds_load_b128 v[22:25], v21 offset:22624
	;; [unrolled: 1-line block ×8, first 2 shown]
	s_waitcnt lgkmcnt(6)
	;;#ASMSTART
	v_dot2_f32_f16 v64, v4, v22, v64
	;;#ASMEND
	;;#ASMSTART
	v_dot2_f32_f16 v64, v5, v23, v64
	;;#ASMEND
	;;#ASMSTART
	v_dot2_f32_f16 v64, v6, v24, v64
	;;#ASMEND
	;;#ASMSTART
	v_dot2_f32_f16 v64, v7, v25, v64
	;;#ASMEND
	s_waitcnt lgkmcnt(5)
	;;#ASMSTART
	v_dot2_f32_f16 v34, v4, v68, v34
	;;#ASMEND
	;;#ASMSTART
	v_dot2_f32_f16 v34, v5, v69, v34
	;;#ASMEND
	;;#ASMSTART
	v_dot2_f32_f16 v34, v6, v70, v34
	;;#ASMEND
	;;#ASMSTART
	v_dot2_f32_f16 v34, v7, v71, v34
	;;#ASMEND
	;; [unrolled: 13-line block ×5, first 2 shown]
	;;#ASMSTART
	v_dot2_f32_f16 v35, v80, v68, v35
	;;#ASMEND
	;;#ASMSTART
	v_dot2_f32_f16 v35, v81, v69, v35
	;;#ASMEND
	;;#ASMSTART
	v_dot2_f32_f16 v35, v82, v70, v35
	;;#ASMEND
	;;#ASMSTART
	v_dot2_f32_f16 v35, v83, v71, v35
	;;#ASMEND
	;;#ASMSTART
	v_dot2_f32_f16 v30, v80, v72, v30
	;;#ASMEND
	;;#ASMSTART
	v_dot2_f32_f16 v30, v81, v73, v30
	;;#ASMEND
	;;#ASMSTART
	v_dot2_f32_f16 v30, v82, v74, v30
	;;#ASMEND
	;;#ASMSTART
	v_dot2_f32_f16 v30, v83, v75, v30
	;;#ASMEND
	;;#ASMSTART
	v_dot2_f32_f16 v28, v80, v76, v28
	;;#ASMEND
	;;#ASMSTART
	v_dot2_f32_f16 v28, v81, v77, v28
	;;#ASMEND
	;;#ASMSTART
	v_dot2_f32_f16 v28, v82, v78, v28
	;;#ASMEND
	;;#ASMSTART
	v_dot2_f32_f16 v28, v83, v79, v28
	;;#ASMEND
	s_waitcnt lgkmcnt(1)
	;;#ASMSTART
	v_dot2_f32_f16 v66, v84, v22, v66
	;;#ASMEND
	;;#ASMSTART
	v_dot2_f32_f16 v66, v85, v23, v66
	;;#ASMEND
	;; [unrolled: 3-line block ×16, first 2 shown]
	s_waitcnt lgkmcnt(0)
	;;#ASMSTART
	v_dot2_f32_f16 v67, v88, v22, v67
	;;#ASMEND
	;;#ASMSTART
	v_dot2_f32_f16 v67, v89, v23, v67
	;;#ASMEND
	;; [unrolled: 3-line block ×16, first 2 shown]
	ds_load_b128 v[22:25], v57 offset:112
	ds_load_b128 v[72:75], v21 offset:22640
	;; [unrolled: 1-line block ×8, first 2 shown]
	s_waitcnt lgkmcnt(6)
	;;#ASMSTART
	v_dot2_f32_f16 v64, v22, v72, v64
	;;#ASMEND
	;;#ASMSTART
	v_dot2_f32_f16 v64, v23, v73, v64
	;;#ASMEND
	;;#ASMSTART
	v_dot2_f32_f16 v64, v24, v74, v64
	;;#ASMEND
	;;#ASMSTART
	v_dot2_f32_f16 v64, v25, v75, v64
	;;#ASMEND
	s_waitcnt lgkmcnt(5)
	;;#ASMSTART
	v_dot2_f32_f16 v34, v22, v76, v34
	;;#ASMEND
	;;#ASMSTART
	v_dot2_f32_f16 v34, v23, v77, v34
	;;#ASMEND
	;;#ASMSTART
	v_dot2_f32_f16 v34, v24, v78, v34
	;;#ASMEND
	;;#ASMSTART
	v_dot2_f32_f16 v34, v25, v79, v34
	;;#ASMEND
	s_waitcnt lgkmcnt(4)
	;;#ASMSTART
	v_dot2_f32_f16 v33, v22, v80, v33
	;;#ASMEND
	;;#ASMSTART
	v_dot2_f32_f16 v33, v23, v81, v33
	;;#ASMEND
	;;#ASMSTART
	v_dot2_f32_f16 v33, v24, v82, v33
	;;#ASMEND
	;;#ASMSTART
	v_dot2_f32_f16 v33, v25, v83, v33
	;;#ASMEND
	s_waitcnt lgkmcnt(3)
	;;#ASMSTART
	v_dot2_f32_f16 v27, v22, v84, v27
	;;#ASMEND
	;;#ASMSTART
	v_dot2_f32_f16 v27, v23, v85, v27
	;;#ASMEND
	;;#ASMSTART
	v_dot2_f32_f16 v27, v24, v86, v27
	;;#ASMEND
	;;#ASMSTART
	v_dot2_f32_f16 v27, v25, v87, v27
	;;#ASMEND
	s_waitcnt lgkmcnt(2)
	;;#ASMSTART
	v_dot2_f32_f16 v65, v88, v72, v65
	;;#ASMEND
	;;#ASMSTART
	v_dot2_f32_f16 v65, v89, v73, v65
	;;#ASMEND
	;;#ASMSTART
	v_dot2_f32_f16 v65, v90, v74, v65
	;;#ASMEND
	;;#ASMSTART
	v_dot2_f32_f16 v65, v91, v75, v65
	;;#ASMEND
	;;#ASMSTART
	v_dot2_f32_f16 v35, v88, v76, v35
	;;#ASMEND
	;;#ASMSTART
	v_dot2_f32_f16 v35, v89, v77, v35
	;;#ASMEND
	;; [unrolled: 3-line block ×12, first 2 shown]
	s_waitcnt lgkmcnt(1)
	;;#ASMSTART
	v_dot2_f32_f16 v66, v92, v72, v66
	;;#ASMEND
	;;#ASMSTART
	v_dot2_f32_f16 v66, v93, v73, v66
	;;#ASMEND
	;; [unrolled: 3-line block ×16, first 2 shown]
	s_waitcnt lgkmcnt(0)
	;;#ASMSTART
	v_dot2_f32_f16 v67, v96, v72, v67
	;;#ASMEND
	;;#ASMSTART
	v_dot2_f32_f16 v67, v97, v73, v67
	;;#ASMEND
	;; [unrolled: 3-line block ×7, first 2 shown]
	v_mov_b32_e32 v7, v3
	;;#ASMSTART
	v_dot2_f32_f16 v63, v99, v79, v63
	;;#ASMEND
	;;#ASMSTART
	v_dot2_f32_f16 v32, v96, v80, v32
	;;#ASMEND
	v_dual_mov_b32 v6, v2 :: v_dual_mov_b32 v5, v1
	v_mov_b32_e32 v4, v0
	v_cndmask_b32_e64 v71, 0, 1, s11
	;;#ASMSTART
	v_dot2_f32_f16 v32, v97, v81, v32
	;;#ASMEND
	;;#ASMSTART
	v_dot2_f32_f16 v32, v98, v82, v32
	;;#ASMEND
	;; [unrolled: 3-line block ×7, first 2 shown]
	s_and_saveexec_b32 s12, s10
	s_cbranch_execz .LBB59_52
; %bb.48:
	s_and_not1_b32 vcc_lo, exec_lo, s11
	s_cbranch_vccnz .LBB59_50
; %bb.49:
	v_add_nc_u32_e32 v4, v8, v44
	s_delay_alu instid0(VALU_DEP_1) | instskip(NEXT) | instid1(VALU_DEP_1)
	v_ashrrev_i32_e32 v5, 31, v4
	v_lshlrev_b64 v[4:5], 1, v[4:5]
	s_delay_alu instid0(VALU_DEP_1) | instskip(NEXT) | instid1(VALU_DEP_2)
	v_add_co_u32 v4, vcc_lo, s40, v4
	v_add_co_ci_u32_e32 v5, vcc_lo, s41, v5, vcc_lo
	flat_load_u16 v4, v[4:5]
	s_waitcnt vmcnt(0) lgkmcnt(0)
	v_cvt_f32_f16_e32 v4, v4
	s_delay_alu instid0(VALU_DEP_1)
	v_mul_f32_e32 v4, v50, v4
	s_branch .LBB59_51
.LBB59_50:
	v_mov_b32_e32 v4, 0
.LBB59_51:
	s_delay_alu instid0(VALU_DEP_1) | instskip(SKIP_1) | instid1(VALU_DEP_2)
	v_add_f32_e32 v64, v64, v4
	v_max_f32_e32 v5, v0, v0
	v_add_f32_e32 v4, 0x40051340, v64
	s_delay_alu instid0(VALU_DEP_1) | instskip(SKIP_2) | instid1(VALU_DEP_3)
	v_max_f32_e32 v9, v5, v4
	v_dual_mov_b32 v7, v3 :: v_dual_mov_b32 v4, v0
	v_dual_mov_b32 v6, v2 :: v_dual_mov_b32 v5, v1
	v_mov_b32_e32 v4, v9
.LBB59_52:
	s_or_b32 exec_lo, exec_lo, s12
	v_add_nc_u32_e32 v56, 32, v44
	s_delay_alu instid0(VALU_DEP_1) | instskip(NEXT) | instid1(VALU_DEP_1)
	v_cmp_gt_i32_e64 s11, s20, v56
	s_and_saveexec_b32 s12, s11
	s_cbranch_execz .LBB59_57
; %bb.53:
	v_cmp_ne_u32_e32 vcc_lo, 1, v71
	s_cbranch_vccnz .LBB59_55
; %bb.54:
	v_ashrrev_i32_e32 v9, 31, v8
	v_add_co_u32 v21, vcc_lo, v8, v44
	s_delay_alu instid0(VALU_DEP_2) | instskip(NEXT) | instid1(VALU_DEP_1)
	v_add_co_ci_u32_e32 v22, vcc_lo, 0, v9, vcc_lo
	v_lshlrev_b64 v[21:22], 1, v[21:22]
	s_delay_alu instid0(VALU_DEP_1) | instskip(NEXT) | instid1(VALU_DEP_2)
	v_add_co_u32 v21, vcc_lo, s40, v21
	v_add_co_ci_u32_e32 v22, vcc_lo, s41, v22, vcc_lo
	flat_load_u16 v9, v[21:22] offset:64
	s_waitcnt vmcnt(0) lgkmcnt(0)
	v_cvt_f32_f16_e32 v9, v9
	s_delay_alu instid0(VALU_DEP_1)
	v_mul_f32_e32 v9, v50, v9
	s_branch .LBB59_56
.LBB59_55:
	v_mov_b32_e32 v9, 0
.LBB59_56:
	s_delay_alu instid0(VALU_DEP_1) | instskip(NEXT) | instid1(VALU_DEP_1)
	v_dual_add_f32 v65, v65, v9 :: v_dual_max_f32 v4, v4, v4
	v_add_f32_e32 v9, 0x40051340, v65
	s_delay_alu instid0(VALU_DEP_1)
	v_max_f32_e32 v4, v4, v9
.LBB59_57:
	s_or_b32 exec_lo, exec_lo, s12
	v_add_nc_u32_e32 v57, 64, v44
	s_delay_alu instid0(VALU_DEP_1) | instskip(NEXT) | instid1(VALU_DEP_1)
	v_cmp_gt_i32_e64 s12, s20, v57
	s_and_saveexec_b32 s13, s12
	s_cbranch_execz .LBB59_62
; %bb.58:
	v_cmp_ne_u32_e32 vcc_lo, 1, v71
	s_cbranch_vccnz .LBB59_60
; %bb.59:
	v_ashrrev_i32_e32 v9, 31, v8
	v_add_co_u32 v21, vcc_lo, v8, v44
	s_delay_alu instid0(VALU_DEP_2) | instskip(NEXT) | instid1(VALU_DEP_1)
	v_add_co_ci_u32_e32 v22, vcc_lo, 0, v9, vcc_lo
	v_lshlrev_b64 v[21:22], 1, v[21:22]
	s_delay_alu instid0(VALU_DEP_1) | instskip(NEXT) | instid1(VALU_DEP_2)
	v_add_co_u32 v21, vcc_lo, s40, v21
	v_add_co_ci_u32_e32 v22, vcc_lo, s41, v22, vcc_lo
	flat_load_u16 v9, v[21:22] offset:128
	s_waitcnt vmcnt(0) lgkmcnt(0)
	v_cvt_f32_f16_e32 v9, v9
	s_delay_alu instid0(VALU_DEP_1)
	v_mul_f32_e32 v9, v50, v9
	s_branch .LBB59_61
.LBB59_60:
	v_mov_b32_e32 v9, 0
.LBB59_61:
	s_delay_alu instid0(VALU_DEP_1) | instskip(NEXT) | instid1(VALU_DEP_1)
	v_add_f32_e32 v66, v66, v9
	v_dual_max_f32 v4, v4, v4 :: v_dual_add_f32 v9, 0x40051340, v66
	s_delay_alu instid0(VALU_DEP_1)
	v_max_f32_e32 v4, v4, v9
.LBB59_62:
	s_or_b32 exec_lo, exec_lo, s13
	v_add_nc_u32_e32 v68, 0x60, v44
	s_delay_alu instid0(VALU_DEP_1) | instskip(NEXT) | instid1(VALU_DEP_1)
	v_cmp_gt_i32_e64 s13, s20, v68
	s_and_saveexec_b32 s21, s13
	s_cbranch_execz .LBB59_67
; %bb.63:
	v_cmp_ne_u32_e32 vcc_lo, 1, v71
	s_cbranch_vccnz .LBB59_65
; %bb.64:
	v_ashrrev_i32_e32 v9, 31, v8
	v_add_co_u32 v8, vcc_lo, v8, v44
	s_delay_alu instid0(VALU_DEP_2) | instskip(NEXT) | instid1(VALU_DEP_1)
	v_add_co_ci_u32_e32 v9, vcc_lo, 0, v9, vcc_lo
	v_lshlrev_b64 v[8:9], 1, v[8:9]
	s_delay_alu instid0(VALU_DEP_1) | instskip(NEXT) | instid1(VALU_DEP_2)
	v_add_co_u32 v8, vcc_lo, s40, v8
	v_add_co_ci_u32_e32 v9, vcc_lo, s41, v9, vcc_lo
	flat_load_u16 v8, v[8:9] offset:192
	s_waitcnt vmcnt(0) lgkmcnt(0)
	v_cvt_f32_f16_e32 v8, v8
	s_delay_alu instid0(VALU_DEP_1)
	v_mul_f32_e32 v8, v50, v8
	s_branch .LBB59_66
.LBB59_65:
	v_mov_b32_e32 v8, 0
.LBB59_66:
	s_delay_alu instid0(VALU_DEP_1) | instskip(SKIP_1) | instid1(VALU_DEP_2)
	v_add_f32_e32 v67, v67, v8
	v_max_f32_e32 v4, v4, v4
	v_add_f32_e32 v8, 0x40051340, v67
	s_delay_alu instid0(VALU_DEP_1)
	v_max_f32_e32 v4, v4, v8
.LBB59_67:
	s_or_b32 exec_lo, exec_lo, s21
	v_xor_b32_e32 v26, 16, v45
	v_xor_b32_e32 v24, 8, v45
	;; [unrolled: 1-line block ×3, first 2 shown]
	v_mul_hi_u32 v25, s36, v55
	v_xor_b32_e32 v22, 2, v45
	v_cmp_gt_i32_e32 vcc_lo, 32, v26
	v_xor_b32_e32 v21, 1, v45
	v_cndmask_b32_e32 v8, v45, v26, vcc_lo
	v_cmp_gt_i32_e32 vcc_lo, 32, v24
	v_cndmask_b32_e32 v9, v45, v24, vcc_lo
	v_cmp_gt_i32_e32 vcc_lo, 32, v23
	s_delay_alu instid0(VALU_DEP_2)
	v_lshlrev_b32_e32 v73, 2, v9
	v_dual_cndmask_b32 v9, v45, v23 :: v_dual_lshlrev_b32 v74, 2, v8
	v_cmp_gt_i32_e32 vcc_lo, 32, v22
	ds_bpermute_b32 v8, v74, v4
	v_dual_cndmask_b32 v9, v45, v22 :: v_dual_lshlrev_b32 v72, 2, v9
	v_cmp_gt_i32_e32 vcc_lo, 32, v21
	v_max_f32_e32 v4, v4, v4
	s_delay_alu instid0(VALU_DEP_3) | instskip(SKIP_2) | instid1(VALU_DEP_1)
	v_lshlrev_b32_e32 v70, 2, v9
	v_cndmask_b32_e32 v9, v45, v21, vcc_lo
	s_waitcnt lgkmcnt(0)
	v_dual_max_f32 v8, v8, v8 :: v_dual_lshlrev_b32 v69, 2, v9
	s_delay_alu instid0(VALU_DEP_1) | instskip(SKIP_3) | instid1(VALU_DEP_1)
	v_max_f32_e32 v4, v4, v8
	ds_bpermute_b32 v8, v73, v4
	s_waitcnt lgkmcnt(0)
	v_max_f32_e32 v8, v8, v8
	v_max_f32_e32 v4, v4, v8
	ds_bpermute_b32 v8, v72, v4
	s_waitcnt lgkmcnt(0)
	v_max_f32_e32 v8, v8, v8
	s_delay_alu instid0(VALU_DEP_1) | instskip(SKIP_3) | instid1(VALU_DEP_1)
	v_max_f32_e32 v4, v4, v8
	ds_bpermute_b32 v8, v70, v4
	s_waitcnt lgkmcnt(0)
	v_max_f32_e32 v8, v8, v8
	v_max_f32_e32 v4, v4, v8
	v_add_nc_u32_e32 v8, v55, v25
	ds_bpermute_b32 v9, v69, v4
	v_lshrrev_b32_e32 v8, s37, v8
	s_delay_alu instid0(VALU_DEP_1) | instskip(NEXT) | instid1(VALU_DEP_1)
	v_mul_lo_u32 v8, v8, s38
	v_sub_nc_u32_e32 v25, v55, v8
	s_waitcnt lgkmcnt(0)
	v_max_f32_e32 v55, v9, v9
	s_delay_alu instid0(VALU_DEP_2) | instskip(NEXT) | instid1(VALU_DEP_2)
	v_mad_u64_u32 v[8:9], null, v25, s22, s[16:17]
	v_dual_mov_b32 v25, 32 :: v_dual_max_f32 v4, v4, v55
	s_and_saveexec_b32 s21, s10
	s_cbranch_execnz .LBB59_71
; %bb.68:
	s_or_b32 exec_lo, exec_lo, s21
	s_and_saveexec_b32 s21, s11
	s_cbranch_execnz .LBB59_75
.LBB59_69:
	s_or_b32 exec_lo, exec_lo, s21
	s_and_saveexec_b32 s21, s12
	s_cbranch_execnz .LBB59_79
.LBB59_70:
	s_or_b32 exec_lo, exec_lo, s21
	s_and_saveexec_b32 s21, s13
	s_cbranch_execnz .LBB59_83
	s_branch .LBB59_87
.LBB59_71:
	v_cmp_ne_u32_e32 vcc_lo, 1, v71
	s_cbranch_vccnz .LBB59_73
; %bb.72:
	s_delay_alu instid0(VALU_DEP_3) | instskip(NEXT) | instid1(VALU_DEP_1)
	v_add_nc_u32_e32 v75, v8, v44
	v_ashrrev_i32_e32 v76, 31, v75
	s_delay_alu instid0(VALU_DEP_1) | instskip(NEXT) | instid1(VALU_DEP_1)
	v_lshlrev_b64 v[75:76], 1, v[75:76]
	v_add_co_u32 v75, vcc_lo, s40, v75
	s_delay_alu instid0(VALU_DEP_2) | instskip(SKIP_3) | instid1(VALU_DEP_1)
	v_add_co_ci_u32_e32 v76, vcc_lo, s41, v76, vcc_lo
	flat_load_u16 v9, v[75:76]
	s_waitcnt vmcnt(0) lgkmcnt(0)
	v_cvt_f32_f16_e32 v9, v9
	v_mul_f32_e32 v9, v50, v9
	s_branch .LBB59_74
.LBB59_73:
	v_mov_b32_e32 v9, 0
.LBB59_74:
	s_delay_alu instid0(VALU_DEP_1) | instskip(SKIP_1) | instid1(VALU_DEP_2)
	v_add_f32_e32 v34, v34, v9
	v_max_f32_e32 v5, v5, v5
	v_add_f32_e32 v9, 0x40051340, v34
	s_delay_alu instid0(VALU_DEP_1)
	v_max_f32_e32 v5, v5, v9
	s_or_b32 exec_lo, exec_lo, s21
	s_and_saveexec_b32 s21, s11
	s_cbranch_execz .LBB59_69
.LBB59_75:
	v_cmp_ne_u32_e32 vcc_lo, 1, v71
	s_cbranch_vccnz .LBB59_77
; %bb.76:
	v_ashrrev_i32_e32 v9, 31, v8
	v_add_co_u32 v75, vcc_lo, v8, v44
	s_delay_alu instid0(VALU_DEP_2) | instskip(NEXT) | instid1(VALU_DEP_1)
	v_add_co_ci_u32_e32 v76, vcc_lo, 0, v9, vcc_lo
	v_lshlrev_b64 v[75:76], 1, v[75:76]
	s_delay_alu instid0(VALU_DEP_1) | instskip(NEXT) | instid1(VALU_DEP_2)
	v_add_co_u32 v75, vcc_lo, s40, v75
	v_add_co_ci_u32_e32 v76, vcc_lo, s41, v76, vcc_lo
	flat_load_u16 v9, v[75:76] offset:64
	s_waitcnt vmcnt(0) lgkmcnt(0)
	v_cvt_f32_f16_e32 v9, v9
	s_delay_alu instid0(VALU_DEP_1)
	v_mul_f32_e32 v9, v50, v9
	s_branch .LBB59_78
.LBB59_77:
	v_mov_b32_e32 v9, 0
.LBB59_78:
	s_delay_alu instid0(VALU_DEP_1) | instskip(SKIP_1) | instid1(VALU_DEP_2)
	v_add_f32_e32 v35, v35, v9
	v_max_f32_e32 v5, v5, v5
	v_add_f32_e32 v9, 0x40051340, v35
	s_delay_alu instid0(VALU_DEP_1)
	v_max_f32_e32 v5, v5, v9
	s_or_b32 exec_lo, exec_lo, s21
	s_and_saveexec_b32 s21, s12
	s_cbranch_execz .LBB59_70
.LBB59_79:
	v_cmp_ne_u32_e32 vcc_lo, 1, v71
	s_cbranch_vccnz .LBB59_81
; %bb.80:
	v_ashrrev_i32_e32 v9, 31, v8
	v_add_co_u32 v75, vcc_lo, v8, v44
	s_delay_alu instid0(VALU_DEP_2) | instskip(NEXT) | instid1(VALU_DEP_1)
	v_add_co_ci_u32_e32 v76, vcc_lo, 0, v9, vcc_lo
	v_lshlrev_b64 v[75:76], 1, v[75:76]
	s_delay_alu instid0(VALU_DEP_1) | instskip(NEXT) | instid1(VALU_DEP_2)
	v_add_co_u32 v75, vcc_lo, s40, v75
	v_add_co_ci_u32_e32 v76, vcc_lo, s41, v76, vcc_lo
	flat_load_u16 v9, v[75:76] offset:128
	s_waitcnt vmcnt(0) lgkmcnt(0)
	v_cvt_f32_f16_e32 v9, v9
	s_delay_alu instid0(VALU_DEP_1)
	v_mul_f32_e32 v9, v50, v9
	s_branch .LBB59_82
.LBB59_81:
	v_mov_b32_e32 v9, 0
.LBB59_82:
	s_delay_alu instid0(VALU_DEP_1) | instskip(SKIP_1) | instid1(VALU_DEP_2)
	v_add_f32_e32 v62, v62, v9
	v_max_f32_e32 v5, v5, v5
	v_add_f32_e32 v9, 0x40051340, v62
	s_delay_alu instid0(VALU_DEP_1)
	v_max_f32_e32 v5, v5, v9
	s_or_b32 exec_lo, exec_lo, s21
	s_and_saveexec_b32 s21, s13
	s_cbranch_execz .LBB59_87
.LBB59_83:
	v_cmp_ne_u32_e32 vcc_lo, 1, v71
	s_cbranch_vccnz .LBB59_85
; %bb.84:
	v_ashrrev_i32_e32 v9, 31, v8
	v_add_co_u32 v8, vcc_lo, v8, v44
	s_delay_alu instid0(VALU_DEP_2) | instskip(NEXT) | instid1(VALU_DEP_1)
	v_add_co_ci_u32_e32 v9, vcc_lo, 0, v9, vcc_lo
	v_lshlrev_b64 v[8:9], 1, v[8:9]
	s_delay_alu instid0(VALU_DEP_1) | instskip(NEXT) | instid1(VALU_DEP_2)
	v_add_co_u32 v8, vcc_lo, s40, v8
	v_add_co_ci_u32_e32 v9, vcc_lo, s41, v9, vcc_lo
	flat_load_u16 v8, v[8:9] offset:192
	s_waitcnt vmcnt(0) lgkmcnt(0)
	v_cvt_f32_f16_e32 v8, v8
	s_delay_alu instid0(VALU_DEP_1)
	v_mul_f32_e32 v8, v50, v8
	s_branch .LBB59_86
.LBB59_85:
	v_mov_b32_e32 v8, 0
.LBB59_86:
	s_delay_alu instid0(VALU_DEP_1) | instskip(NEXT) | instid1(VALU_DEP_1)
	v_add_f32_e32 v63, v63, v8
	v_dual_max_f32 v5, v5, v5 :: v_dual_add_f32 v8, 0x40051340, v63
	s_delay_alu instid0(VALU_DEP_1)
	v_max_f32_e32 v5, v5, v8
.LBB59_87:
	s_or_b32 exec_lo, exec_lo, s21
	ds_bpermute_b32 v8, v74, v5
	v_mul_hi_u32 v9, s36, v54
	s_waitcnt lgkmcnt(0)
	v_dual_max_f32 v5, v5, v5 :: v_dual_max_f32 v8, v8, v8
	s_delay_alu instid0(VALU_DEP_1) | instskip(SKIP_3) | instid1(VALU_DEP_1)
	v_max_f32_e32 v5, v5, v8
	ds_bpermute_b32 v8, v73, v5
	s_waitcnt lgkmcnt(0)
	v_max_f32_e32 v8, v8, v8
	v_max_f32_e32 v5, v5, v8
	ds_bpermute_b32 v8, v72, v5
	s_waitcnt lgkmcnt(0)
	v_max_f32_e32 v8, v8, v8
	s_delay_alu instid0(VALU_DEP_1) | instskip(SKIP_3) | instid1(VALU_DEP_1)
	v_max_f32_e32 v5, v5, v8
	ds_bpermute_b32 v8, v70, v5
	s_waitcnt lgkmcnt(0)
	v_max_f32_e32 v8, v8, v8
	v_dual_max_f32 v5, v5, v8 :: v_dual_add_nc_u32 v8, v54, v9
	ds_bpermute_b32 v9, v69, v5
	v_lshrrev_b32_e32 v8, s37, v8
	s_delay_alu instid0(VALU_DEP_1) | instskip(NEXT) | instid1(VALU_DEP_1)
	v_mul_lo_u32 v8, v8, s38
	v_sub_nc_u32_e32 v54, v54, v8
	s_waitcnt lgkmcnt(0)
	v_max_f32_e32 v55, v9, v9
	s_delay_alu instid0(VALU_DEP_2) | instskip(NEXT) | instid1(VALU_DEP_2)
	v_mad_u64_u32 v[8:9], null, v54, s22, s[16:17]
	v_max_f32_e32 v5, v5, v55
	s_and_saveexec_b32 s21, s10
	s_cbranch_execnz .LBB59_91
; %bb.88:
	s_or_b32 exec_lo, exec_lo, s21
	s_and_saveexec_b32 s21, s11
	s_cbranch_execnz .LBB59_95
.LBB59_89:
	s_or_b32 exec_lo, exec_lo, s21
	s_and_saveexec_b32 s21, s12
	s_cbranch_execnz .LBB59_99
.LBB59_90:
	s_or_b32 exec_lo, exec_lo, s21
	s_and_saveexec_b32 s21, s13
	s_cbranch_execnz .LBB59_103
	s_branch .LBB59_107
.LBB59_91:
	v_cmp_ne_u32_e32 vcc_lo, 1, v71
	s_cbranch_vccnz .LBB59_93
; %bb.92:
	s_delay_alu instid0(VALU_DEP_3) | instskip(NEXT) | instid1(VALU_DEP_1)
	v_add_nc_u32_e32 v54, v8, v44
	v_ashrrev_i32_e32 v55, 31, v54
	s_delay_alu instid0(VALU_DEP_1) | instskip(NEXT) | instid1(VALU_DEP_1)
	v_lshlrev_b64 v[54:55], 1, v[54:55]
	v_add_co_u32 v54, vcc_lo, s40, v54
	s_delay_alu instid0(VALU_DEP_2) | instskip(SKIP_3) | instid1(VALU_DEP_1)
	v_add_co_ci_u32_e32 v55, vcc_lo, s41, v55, vcc_lo
	flat_load_u16 v9, v[54:55]
	s_waitcnt vmcnt(0) lgkmcnt(0)
	v_cvt_f32_f16_e32 v9, v9
	v_mul_f32_e32 v9, v50, v9
	s_branch .LBB59_94
.LBB59_93:
	v_mov_b32_e32 v9, 0
.LBB59_94:
	s_delay_alu instid0(VALU_DEP_1) | instskip(NEXT) | instid1(VALU_DEP_1)
	v_dual_add_f32 v33, v33, v9 :: v_dual_max_f32 v6, v6, v6
	v_add_f32_e32 v9, 0x40051340, v33
	s_delay_alu instid0(VALU_DEP_1)
	v_max_f32_e32 v6, v6, v9
	s_or_b32 exec_lo, exec_lo, s21
	s_and_saveexec_b32 s21, s11
	s_cbranch_execz .LBB59_89
.LBB59_95:
	v_cmp_ne_u32_e32 vcc_lo, 1, v71
	s_cbranch_vccnz .LBB59_97
; %bb.96:
	v_ashrrev_i32_e32 v9, 31, v8
	v_add_co_u32 v54, vcc_lo, v8, v44
	s_delay_alu instid0(VALU_DEP_2) | instskip(NEXT) | instid1(VALU_DEP_1)
	v_add_co_ci_u32_e32 v55, vcc_lo, 0, v9, vcc_lo
	v_lshlrev_b64 v[54:55], 1, v[54:55]
	s_delay_alu instid0(VALU_DEP_1) | instskip(NEXT) | instid1(VALU_DEP_2)
	v_add_co_u32 v54, vcc_lo, s40, v54
	v_add_co_ci_u32_e32 v55, vcc_lo, s41, v55, vcc_lo
	flat_load_u16 v9, v[54:55] offset:64
	s_waitcnt vmcnt(0) lgkmcnt(0)
	v_cvt_f32_f16_e32 v9, v9
	s_delay_alu instid0(VALU_DEP_1)
	v_mul_f32_e32 v9, v50, v9
	s_branch .LBB59_98
.LBB59_97:
	v_mov_b32_e32 v9, 0
.LBB59_98:
	s_delay_alu instid0(VALU_DEP_1) | instskip(SKIP_1) | instid1(VALU_DEP_2)
	v_add_f32_e32 v30, v30, v9
	v_max_f32_e32 v6, v6, v6
	v_add_f32_e32 v9, 0x40051340, v30
	s_delay_alu instid0(VALU_DEP_1)
	v_max_f32_e32 v6, v6, v9
	s_or_b32 exec_lo, exec_lo, s21
	s_and_saveexec_b32 s21, s12
	s_cbranch_execz .LBB59_90
.LBB59_99:
	v_cmp_ne_u32_e32 vcc_lo, 1, v71
	s_cbranch_vccnz .LBB59_101
; %bb.100:
	v_ashrrev_i32_e32 v9, 31, v8
	v_add_co_u32 v54, vcc_lo, v8, v44
	s_delay_alu instid0(VALU_DEP_2) | instskip(NEXT) | instid1(VALU_DEP_1)
	v_add_co_ci_u32_e32 v55, vcc_lo, 0, v9, vcc_lo
	v_lshlrev_b64 v[54:55], 1, v[54:55]
	s_delay_alu instid0(VALU_DEP_1) | instskip(NEXT) | instid1(VALU_DEP_2)
	v_add_co_u32 v54, vcc_lo, s40, v54
	v_add_co_ci_u32_e32 v55, vcc_lo, s41, v55, vcc_lo
	flat_load_u16 v9, v[54:55] offset:128
	s_waitcnt vmcnt(0) lgkmcnt(0)
	v_cvt_f32_f16_e32 v9, v9
	s_delay_alu instid0(VALU_DEP_1)
	v_mul_f32_e32 v9, v50, v9
	s_branch .LBB59_102
.LBB59_101:
	v_mov_b32_e32 v9, 0
.LBB59_102:
	s_delay_alu instid0(VALU_DEP_1) | instskip(NEXT) | instid1(VALU_DEP_1)
	v_dual_add_f32 v31, v31, v9 :: v_dual_max_f32 v6, v6, v6
	v_add_f32_e32 v9, 0x40051340, v31
	s_delay_alu instid0(VALU_DEP_1)
	v_max_f32_e32 v6, v6, v9
	s_or_b32 exec_lo, exec_lo, s21
	s_and_saveexec_b32 s21, s13
	s_cbranch_execz .LBB59_107
.LBB59_103:
	v_cmp_ne_u32_e32 vcc_lo, 1, v71
	s_cbranch_vccnz .LBB59_105
; %bb.104:
	v_ashrrev_i32_e32 v9, 31, v8
	v_add_co_u32 v8, vcc_lo, v8, v44
	s_delay_alu instid0(VALU_DEP_2) | instskip(NEXT) | instid1(VALU_DEP_1)
	v_add_co_ci_u32_e32 v9, vcc_lo, 0, v9, vcc_lo
	v_lshlrev_b64 v[8:9], 1, v[8:9]
	s_delay_alu instid0(VALU_DEP_1) | instskip(NEXT) | instid1(VALU_DEP_2)
	v_add_co_u32 v8, vcc_lo, s40, v8
	v_add_co_ci_u32_e32 v9, vcc_lo, s41, v9, vcc_lo
	flat_load_u16 v8, v[8:9] offset:192
	s_waitcnt vmcnt(0) lgkmcnt(0)
	v_cvt_f32_f16_e32 v8, v8
	s_delay_alu instid0(VALU_DEP_1)
	v_mul_f32_e32 v8, v50, v8
	s_branch .LBB59_106
.LBB59_105:
	v_mov_b32_e32 v8, 0
.LBB59_106:
	s_delay_alu instid0(VALU_DEP_1) | instskip(SKIP_1) | instid1(VALU_DEP_2)
	v_add_f32_e32 v32, v32, v8
	v_max_f32_e32 v6, v6, v6
	v_add_f32_e32 v8, 0x40051340, v32
	s_delay_alu instid0(VALU_DEP_1)
	v_max_f32_e32 v6, v6, v8
.LBB59_107:
	s_or_b32 exec_lo, exec_lo, s21
	ds_bpermute_b32 v8, v74, v6
	v_max_f32_e32 v6, v6, v6
	v_mul_hi_u32 v9, s36, v53
	s_waitcnt lgkmcnt(0)
	v_max_f32_e32 v8, v8, v8
	s_delay_alu instid0(VALU_DEP_1) | instskip(SKIP_3) | instid1(VALU_DEP_1)
	v_max_f32_e32 v6, v6, v8
	ds_bpermute_b32 v8, v73, v6
	s_waitcnt lgkmcnt(0)
	v_max_f32_e32 v8, v8, v8
	v_max_f32_e32 v6, v6, v8
	ds_bpermute_b32 v8, v72, v6
	s_waitcnt lgkmcnt(0)
	v_max_f32_e32 v8, v8, v8
	s_delay_alu instid0(VALU_DEP_1) | instskip(SKIP_3) | instid1(VALU_DEP_1)
	v_max_f32_e32 v6, v6, v8
	ds_bpermute_b32 v8, v70, v6
	s_waitcnt lgkmcnt(0)
	v_max_f32_e32 v8, v8, v8
	v_max_f32_e32 v6, v6, v8
	v_add_nc_u32_e32 v8, v53, v9
	ds_bpermute_b32 v9, v69, v6
	v_lshrrev_b32_e32 v8, s37, v8
	s_delay_alu instid0(VALU_DEP_1) | instskip(NEXT) | instid1(VALU_DEP_1)
	v_mul_lo_u32 v8, v8, s38
	v_sub_nc_u32_e32 v53, v53, v8
	s_waitcnt lgkmcnt(0)
	v_max_f32_e32 v54, v9, v9
	s_delay_alu instid0(VALU_DEP_2) | instskip(NEXT) | instid1(VALU_DEP_2)
	v_mad_u64_u32 v[8:9], null, v53, s22, s[16:17]
	v_max_f32_e32 v6, v6, v54
	s_and_saveexec_b32 s21, s10
	s_cbranch_execnz .LBB59_111
; %bb.108:
	s_or_b32 exec_lo, exec_lo, s21
	s_and_saveexec_b32 s10, s11
	s_cbranch_execnz .LBB59_115
.LBB59_109:
	s_or_b32 exec_lo, exec_lo, s10
	s_and_saveexec_b32 s10, s12
	s_cbranch_execnz .LBB59_119
.LBB59_110:
	s_or_b32 exec_lo, exec_lo, s10
	s_and_saveexec_b32 s10, s13
	s_cbranch_execnz .LBB59_123
	s_branch .LBB59_127
.LBB59_111:
	v_cmp_ne_u32_e32 vcc_lo, 1, v71
	s_cbranch_vccnz .LBB59_113
; %bb.112:
	s_delay_alu instid0(VALU_DEP_3) | instskip(NEXT) | instid1(VALU_DEP_1)
	v_add_nc_u32_e32 v53, v8, v44
	v_ashrrev_i32_e32 v54, 31, v53
	s_delay_alu instid0(VALU_DEP_1) | instskip(NEXT) | instid1(VALU_DEP_1)
	v_lshlrev_b64 v[53:54], 1, v[53:54]
	v_add_co_u32 v53, vcc_lo, s40, v53
	s_delay_alu instid0(VALU_DEP_2) | instskip(SKIP_3) | instid1(VALU_DEP_1)
	v_add_co_ci_u32_e32 v54, vcc_lo, s41, v54, vcc_lo
	flat_load_u16 v9, v[53:54]
	s_waitcnt vmcnt(0) lgkmcnt(0)
	v_cvt_f32_f16_e32 v9, v9
	v_mul_f32_e32 v9, v50, v9
	s_branch .LBB59_114
.LBB59_113:
	v_mov_b32_e32 v9, 0
.LBB59_114:
	s_delay_alu instid0(VALU_DEP_1) | instskip(SKIP_1) | instid1(VALU_DEP_2)
	v_add_f32_e32 v27, v27, v9
	v_max_f32_e32 v7, v7, v7
	v_add_f32_e32 v9, 0x40051340, v27
	s_delay_alu instid0(VALU_DEP_1)
	v_max_f32_e32 v7, v7, v9
	s_or_b32 exec_lo, exec_lo, s21
	s_and_saveexec_b32 s10, s11
	s_cbranch_execz .LBB59_109
.LBB59_115:
	v_cmp_ne_u32_e32 vcc_lo, 1, v71
	s_cbranch_vccnz .LBB59_117
; %bb.116:
	v_ashrrev_i32_e32 v9, 31, v8
	v_add_co_u32 v53, vcc_lo, v8, v44
	s_delay_alu instid0(VALU_DEP_2) | instskip(NEXT) | instid1(VALU_DEP_1)
	v_add_co_ci_u32_e32 v54, vcc_lo, 0, v9, vcc_lo
	v_lshlrev_b64 v[53:54], 1, v[53:54]
	s_delay_alu instid0(VALU_DEP_1) | instskip(NEXT) | instid1(VALU_DEP_2)
	v_add_co_u32 v53, vcc_lo, s40, v53
	v_add_co_ci_u32_e32 v54, vcc_lo, s41, v54, vcc_lo
	flat_load_u16 v9, v[53:54] offset:64
	s_waitcnt vmcnt(0) lgkmcnt(0)
	v_cvt_f32_f16_e32 v9, v9
	s_delay_alu instid0(VALU_DEP_1)
	v_mul_f32_e32 v9, v50, v9
	s_branch .LBB59_118
.LBB59_117:
	v_mov_b32_e32 v9, 0
.LBB59_118:
	s_delay_alu instid0(VALU_DEP_1) | instskip(NEXT) | instid1(VALU_DEP_1)
	v_dual_add_f32 v28, v28, v9 :: v_dual_max_f32 v7, v7, v7
	v_add_f32_e32 v9, 0x40051340, v28
	s_delay_alu instid0(VALU_DEP_1)
	v_max_f32_e32 v7, v7, v9
	s_or_b32 exec_lo, exec_lo, s10
	s_and_saveexec_b32 s10, s12
	s_cbranch_execz .LBB59_110
.LBB59_119:
	v_cmp_ne_u32_e32 vcc_lo, 1, v71
	s_cbranch_vccnz .LBB59_121
; %bb.120:
	v_ashrrev_i32_e32 v9, 31, v8
	v_add_co_u32 v53, vcc_lo, v8, v44
	s_delay_alu instid0(VALU_DEP_2) | instskip(NEXT) | instid1(VALU_DEP_1)
	v_add_co_ci_u32_e32 v54, vcc_lo, 0, v9, vcc_lo
	v_lshlrev_b64 v[53:54], 1, v[53:54]
	s_delay_alu instid0(VALU_DEP_1) | instskip(NEXT) | instid1(VALU_DEP_2)
	v_add_co_u32 v53, vcc_lo, s40, v53
	v_add_co_ci_u32_e32 v54, vcc_lo, s41, v54, vcc_lo
	flat_load_u16 v9, v[53:54] offset:128
	s_waitcnt vmcnt(0) lgkmcnt(0)
	v_cvt_f32_f16_e32 v9, v9
	s_delay_alu instid0(VALU_DEP_1)
	v_mul_f32_e32 v9, v50, v9
	s_branch .LBB59_122
.LBB59_121:
	v_mov_b32_e32 v9, 0
.LBB59_122:
	s_delay_alu instid0(VALU_DEP_1) | instskip(SKIP_1) | instid1(VALU_DEP_2)
	v_add_f32_e32 v29, v29, v9
	v_max_f32_e32 v7, v7, v7
	v_add_f32_e32 v9, 0x40051340, v29
	s_delay_alu instid0(VALU_DEP_1)
	v_max_f32_e32 v7, v7, v9
	s_or_b32 exec_lo, exec_lo, s10
	s_and_saveexec_b32 s10, s13
	s_cbranch_execz .LBB59_127
.LBB59_123:
	v_cmp_ne_u32_e32 vcc_lo, 1, v71
	s_cbranch_vccnz .LBB59_125
; %bb.124:
	v_ashrrev_i32_e32 v9, 31, v8
	v_add_co_u32 v8, vcc_lo, v8, v44
	s_delay_alu instid0(VALU_DEP_2) | instskip(NEXT) | instid1(VALU_DEP_1)
	v_add_co_ci_u32_e32 v9, vcc_lo, 0, v9, vcc_lo
	v_lshlrev_b64 v[8:9], 1, v[8:9]
	s_delay_alu instid0(VALU_DEP_1) | instskip(NEXT) | instid1(VALU_DEP_2)
	v_add_co_u32 v8, vcc_lo, s40, v8
	v_add_co_ci_u32_e32 v9, vcc_lo, s41, v9, vcc_lo
	flat_load_u16 v8, v[8:9] offset:192
	s_waitcnt vmcnt(0) lgkmcnt(0)
	v_cvt_f32_f16_e32 v8, v8
	s_delay_alu instid0(VALU_DEP_1)
	v_mul_f32_e32 v8, v50, v8
	s_branch .LBB59_126
.LBB59_125:
	v_mov_b32_e32 v8, 0
.LBB59_126:
	s_delay_alu instid0(VALU_DEP_1) | instskip(NEXT) | instid1(VALU_DEP_1)
	v_dual_add_f32 v20, v20, v8 :: v_dual_max_f32 v7, v7, v7
	v_add_f32_e32 v8, 0x40051340, v20
	s_delay_alu instid0(VALU_DEP_1)
	v_max_f32_e32 v7, v7, v8
.LBB59_127:
	s_or_b32 exec_lo, exec_lo, s10
	ds_bpermute_b32 v8, v74, v7
	v_dual_max_f32 v7, v7, v7 :: v_dual_sub_f32 v50, v65, v4
	v_dual_sub_f32 v9, v64, v4 :: v_dual_sub_f32 v34, v34, v5
	v_sub_f32_e32 v53, v66, v4
	v_dual_sub_f32 v54, v67, v4 :: v_dual_sub_f32 v55, v62, v5
	s_delay_alu instid0(VALU_DEP_4) | instskip(SKIP_1) | instid1(VALU_DEP_3)
	v_dual_sub_f32 v35, v35, v5 :: v_dual_mul_f32 v64, 0x3fb8aa3b, v50
	v_dual_sub_f32 v62, v63, v5 :: v_dual_sub_f32 v63, v33, v6
	v_dual_mul_f32 v33, 0x3fb8aa3b, v9 :: v_dual_mul_f32 v66, 0x3fb8aa3b, v54
	s_delay_alu instid0(VALU_DEP_3) | instskip(SKIP_1) | instid1(VALU_DEP_3)
	v_fma_f32 v78, 0x3fb8aa3b, v50, -v64
	v_dual_mul_f32 v65, 0x3fb8aa3b, v53 :: v_dual_mul_f32 v74, 0x3fb8aa3b, v55
	v_fma_f32 v77, 0x3fb8aa3b, v9, -v33
	v_rndne_f32_e32 v79, v64
	s_waitcnt lgkmcnt(0)
	v_dual_mul_f32 v75, 0x3fb8aa3b, v62 :: v_dual_max_f32 v8, v8, v8
	v_fma_f32 v80, 0x3fb8aa3b, v53, -v65
	v_fma_f32 v82, 0x3fb8aa3b, v54, -v66
	v_sub_f32_e32 v64, v64, v79
	v_rndne_f32_e32 v83, v66
	v_dual_max_f32 v7, v7, v8 :: v_dual_fmac_f32 v78, 0x32a5705f, v50
	v_rndne_f32_e32 v8, v33
	v_dual_fmac_f32 v77, 0x32a5705f, v9 :: v_dual_fmac_f32 v82, 0x32a5705f, v54
	ds_bpermute_b32 v73, v73, v7
	v_dual_mul_f32 v67, 0x3fb8aa3b, v34 :: v_dual_mul_f32 v76, 0x3fb8aa3b, v63
	v_dual_sub_f32 v33, v33, v8 :: v_dual_fmac_f32 v80, 0x32a5705f, v53
	v_rndne_f32_e32 v81, v65
	v_rndne_f32_e32 v91, v75
	s_delay_alu instid0(VALU_DEP_4) | instskip(SKIP_1) | instid1(VALU_DEP_4)
	v_fma_f32 v84, 0x3fb8aa3b, v34, -v67
	v_fma_f32 v90, 0x3fb8aa3b, v62, -v75
	v_dual_add_f32 v64, v64, v78 :: v_dual_sub_f32 v65, v65, v81
	s_delay_alu instid0(VALU_DEP_4)
	v_sub_f32_e32 v75, v75, v91
	v_rndne_f32_e32 v89, v74
	v_mul_f32_e32 v71, 0x3fb8aa3b, v35
	v_fma_f32 v92, 0x3fb8aa3b, v63, -v76
	v_cvt_i32_f32_e32 v8, v8
	v_dual_fmac_f32 v84, 0x32a5705f, v34 :: v_dual_add_f32 v65, v65, v80
	v_exp_f32_e32 v64, v64
	s_waitcnt lgkmcnt(0)
	v_dual_fmac_f32 v92, 0x32a5705f, v63 :: v_dual_max_f32 v73, v73, v73
	v_dual_sub_f32 v66, v66, v83 :: v_dual_add_f32 v33, v33, v77
	v_fma_f32 v88, 0x3fb8aa3b, v55, -v74
	v_cvt_i32_f32_e32 v79, v79
	v_sub_f32_e32 v74, v74, v89
	s_delay_alu instid0(VALU_DEP_4)
	v_add_f32_e32 v66, v66, v82
	v_exp_f32_e32 v33, v33
	v_fma_f32 v86, 0x3fb8aa3b, v35, -v71
	v_max_f32_e32 v7, v7, v73
	v_exp_f32_e32 v65, v65
	v_cmp_ngt_f32_e32 vcc_lo, 0xc2ce8ed0, v9
	v_cvt_i32_f32_e32 v81, v81
	v_fmac_f32_e32 v86, 0x32a5705f, v35
	ds_bpermute_b32 v72, v72, v7
	v_exp_f32_e32 v66, v66
	v_rndne_f32_e32 v85, v67
	v_ldexp_f32 v8, v33, v8
	v_ldexp_f32 v33, v64, v79
	v_cvt_i32_f32_e32 v73, v83
	v_ldexp_f32 v64, v65, v81
	v_rndne_f32_e32 v87, v71
	v_cndmask_b32_e32 v8, 0, v8, vcc_lo
	v_cmp_ngt_f32_e32 vcc_lo, 0xc2ce8ed0, v50
	v_dual_sub_f32 v67, v67, v85 :: v_dual_fmac_f32 v88, 0x32a5705f, v55
	v_ldexp_f32 v65, v66, v73
	v_dual_sub_f32 v71, v71, v87 :: v_dual_fmac_f32 v90, 0x32a5705f, v62
	v_cndmask_b32_e32 v33, 0, v33, vcc_lo
	v_cmp_ngt_f32_e32 vcc_lo, 0xc2ce8ed0, v53
	v_cvt_i32_f32_e32 v83, v85
	s_delay_alu instid0(VALU_DEP_4)
	v_dual_add_f32 v71, v71, v86 :: v_dual_add_f32 v74, v74, v88
	s_waitcnt lgkmcnt(0)
	v_dual_add_f32 v75, v75, v90 :: v_dual_max_f32 v72, v72, v72
	v_cndmask_b32_e32 v64, 0, v64, vcc_lo
	v_cmp_ngt_f32_e32 vcc_lo, 0xc2ce8ed0, v54
	v_exp_f32_e32 v71, v71
	v_cvt_i32_f32_e32 v85, v87
	v_max_f32_e32 v7, v7, v72
	v_exp_f32_e32 v72, v74
	v_cndmask_b32_e32 v65, 0, v65, vcc_lo
	v_cmp_ngt_f32_e32 vcc_lo, 0xc2ce8ed0, v34
	v_add_f32_e32 v67, v67, v84
	ds_bpermute_b32 v70, v70, v7
	v_cvt_i32_f32_e32 v87, v89
	v_sub_f32_e32 v31, v31, v6
	v_exp_f32_e32 v74, v75
	v_exp_f32_e32 v67, v67
	v_cmp_gt_u32_e64 s10, s20, v56
	v_rndne_f32_e32 v93, v76
	v_mul_f32_e32 v75, 0x3fb8aa3b, v31
	v_cvt_i32_f32_e32 v89, v91
	v_cmp_ngt_f32_e64 s13, 0xc2ce8ed0, v62
	v_cmp_gt_u32_e64 s11, s20, v57
	v_cmp_gt_u32_e64 s12, s20, v68
	s_waitcnt lgkmcnt(0)
	s_barrier
	v_ldexp_f32 v66, v67, v83
	v_ldexp_f32 v67, v71, v85
	;; [unrolled: 1-line block ×3, first 2 shown]
	buffer_gl0_inv
	v_lshl_or_b32 v13, v13, 7, v10
	v_cndmask_b32_e32 v66, 0, v66, vcc_lo
	v_cmp_ngt_f32_e32 vcc_lo, 0xc2ce8ed0, v35
	v_max_f32_e32 v70, v70, v70
	v_lshl_or_b32 v15, v15, 7, v10
	v_lshl_or_b32 v19, v19, 7, v10
	v_dual_sub_f32 v0, v0, v4 :: v_dual_cndmask_b32 v67, 0, v67
	v_cmp_ngt_f32_e32 vcc_lo, 0xc2ce8ed0, v55
	v_max_f32_e32 v7, v7, v70
	v_cndmask_b32_e32 v71, 0, v71, vcc_lo
	v_cmp_nlt_f32_e32 vcc_lo, 0x42b17218, v9
	v_cndmask_b32_e32 v8, 0x7f800000, v8, vcc_lo
	v_cmp_nlt_f32_e32 vcc_lo, 0x42b17218, v50
	;; [unrolled: 2-line block ×3, first 2 shown]
	v_cndmask_b32_e32 v33, 0x7f800000, v64, vcc_lo
	ds_bpermute_b32 v64, v69, v7
	v_cmp_nlt_f32_e32 vcc_lo, 0x42b17218, v54
	v_cndmask_b32_e64 v54, 0, v9, s10
	v_cndmask_b32_e32 v50, 0x7f800000, v65, vcc_lo
	v_cmp_nlt_f32_e32 vcc_lo, 0x42b17218, v34
	s_waitcnt lgkmcnt(0)
	v_dual_max_f32 v9, v64, v64 :: v_dual_cndmask_b32 v34, 0x7f800000, v66
	v_sub_f32_e32 v64, v30, v6
	v_ldexp_f32 v30, v74, v89
	v_cmp_nlt_f32_e32 vcc_lo, 0x42b17218, v35
	s_delay_alu instid0(VALU_DEP_4)
	v_max_f32_e32 v7, v7, v9
	v_sub_f32_e32 v9, v76, v93
	v_rndne_f32_e32 v76, v75
	v_cndmask_b32_e64 v30, 0, v30, s13
	v_cmp_nlt_f32_e64 s13, 0x42b17218, v62
	v_cvt_i32_f32_e32 v62, v93
	v_add_f32_e32 v9, v9, v92
	v_cndmask_b32_e32 v65, 0x7f800000, v67, vcc_lo
	v_cmp_nlt_f32_e32 vcc_lo, 0x42b17218, v55
	v_cndmask_b32_e64 v30, 0x7f800000, v30, s13
	v_cmp_ngt_f32_e64 s13, 0xc2ce8ed0, v63
	v_exp_f32_e32 v9, v9
	v_sub_f32_e32 v27, v27, v7
	v_cndmask_b32_e32 v55, 0x7f800000, v71, vcc_lo
	v_cmp_gt_u32_e32 vcc_lo, s20, v44
	v_sub_f32_e32 v20, v20, v7
	s_mov_b32 s20, 0
	v_sub_f32_e32 v29, v29, v7
	s_mov_b32 s21, s20
	v_cndmask_b32_e32 v35, 0, v34, vcc_lo
	v_cndmask_b32_e64 v34, 0, v55, s11
	v_ldexp_f32 v9, v9, v62
	v_fma_f32 v62, 0x3fb8aa3b, v31, -v75
	v_cndmask_b32_e32 v53, 0, v8, vcc_lo
	s_mov_b32 s22, s20
	v_sub_f32_e32 v3, v3, v7
	v_cndmask_b32_e64 v9, 0, v9, s13
	v_cmp_nlt_f32_e64 s13, 0x42b17218, v63
	v_fmac_f32_e32 v62, 0x32a5705f, v31
	v_cndmask_b32_e64 v8, 0, v50, s12
	v_cvt_f16_f32_e32 v67, v54
	v_cndmask_b32_e64 v30, 0, v30, s12
	v_cndmask_b32_e64 v9, 0x7f800000, v9, s13
	v_mul_f32_e32 v55, 0x3fb8aa3b, v64
	v_cmp_ngt_f32_e64 s13, 0xc2ce8ed0, v64
	v_cvt_f16_f32_e32 v73, v8
	v_cvt_f16_f32_e32 v72, v34
	v_add_f32_e32 v54, v53, v54
	v_fma_f32 v70, 0x3fb8aa3b, v64, -v55
	v_rndne_f32_e32 v74, v55
	s_delay_alu instid0(VALU_DEP_1) | instskip(SKIP_2) | instid1(VALU_DEP_3)
	v_dual_fmac_f32 v70, 0x32a5705f, v64 :: v_dual_sub_f32 v55, v55, v74
	v_cvt_i32_f32_e32 v63, v74
	v_cvt_f16_f32_e32 v74, v30
	v_add_f32_e32 v55, v55, v70
	v_dual_sub_f32 v70, v75, v76 :: v_dual_sub_f32 v75, v32, v6
	v_cndmask_b32_e32 v32, 0, v9, vcc_lo
	v_cvt_i32_f32_e32 v76, v76
	s_delay_alu instid0(VALU_DEP_4) | instskip(NEXT) | instid1(VALU_DEP_3)
	v_exp_f32_e32 v55, v55
	v_add_f32_e32 v62, v70, v62
	v_mul_f32_e32 v70, 0x3fb8aa3b, v75
	v_cvt_f16_f32_e32 v66, v35
	v_cvt_f16_f32_e32 v77, v32
	v_cndmask_b32_e64 v33, 0, v33, s11
	v_exp_f32_e32 v9, v62
	v_fma_f32 v62, 0x3fb8aa3b, v75, -v70
	s_delay_alu instid0(TRANS32_DEP_2) | instskip(SKIP_1) | instid1(VALU_DEP_3)
	v_ldexp_f32 v55, v55, v63
	v_rndne_f32_e32 v63, v70
	v_fmac_f32_e32 v62, 0x32a5705f, v75
	v_cvt_f16_f32_e32 v69, v33
	v_add_f32_e32 v54, v33, v54
	v_cndmask_b32_e64 v55, 0, v55, s13
	v_sub_f32_e32 v70, v70, v63
	v_cmp_nlt_f32_e64 s13, 0x42b17218, v64
	v_ldexp_f32 v9, v9, v76
	v_cvt_i32_f32_e32 v63, v63
	v_add_f32_e32 v8, v8, v54
	v_add_f32_e32 v64, v70, v62
	v_cndmask_b32_e64 v55, 0x7f800000, v55, s13
	v_cndmask_b32_e64 v50, 0, v65, s10
	v_cvt_f16_f32_e32 v65, v53
	s_delay_alu instid0(VALU_DEP_3)
	v_cndmask_b32_e64 v62, 0, v55, s10
	v_exp_f32_e32 v55, v64
	v_mul_f32_e32 v64, 0x3fb8aa3b, v27
	v_cmp_ngt_f32_e64 s13, 0xc2ce8ed0, v31
	v_cvt_f16_f32_e32 v71, v50
	v_cvt_f16_f32_e32 v76, v62
	v_add_f32_e32 v35, v35, v50
	v_fma_f32 v70, 0x3fb8aa3b, v27, -v64
	v_cndmask_b32_e64 v9, 0, v9, s13
	v_cmp_nlt_f32_e64 s13, 0x42b17218, v31
	v_rndne_f32_e32 v78, v64
	s_delay_alu instid0(VALU_DEP_4) | instskip(NEXT) | instid1(VALU_DEP_3)
	v_fmac_f32_e32 v70, 0x32a5705f, v27
	v_cndmask_b32_e64 v9, 0x7f800000, v9, s13
	s_delay_alu instid0(VALU_DEP_1) | instskip(SKIP_3) | instid1(VALU_DEP_4)
	v_cndmask_b32_e64 v31, 0, v9, s11
	v_sub_f32_e32 v9, v28, v7
	v_ldexp_f32 v28, v55, v63
	v_sub_f32_e32 v55, v64, v78
	v_cvt_f16_f32_e32 v79, v31
	s_delay_alu instid0(VALU_DEP_4) | instskip(NEXT) | instid1(VALU_DEP_3)
	v_mul_f32_e32 v63, 0x3fb8aa3b, v9
	v_dual_add_f32 v55, v55, v70 :: v_dual_mul_f32 v70, 0x3fb8aa3b, v29
	s_delay_alu instid0(VALU_DEP_2) | instskip(SKIP_1) | instid1(VALU_DEP_3)
	v_fma_f32 v64, 0x3fb8aa3b, v9, -v63
	v_rndne_f32_e32 v80, v63
	v_fma_f32 v81, 0x3fb8aa3b, v29, -v70
	v_rndne_f32_e32 v82, v70
	s_delay_alu instid0(VALU_DEP_4) | instskip(SKIP_2) | instid1(VALU_DEP_4)
	v_fmac_f32_e32 v64, 0x32a5705f, v9
	v_cmp_ngt_f32_e64 s13, 0xc2ce8ed0, v75
	v_sub_f32_e32 v63, v63, v80
	v_dual_fmac_f32 v81, 0x32a5705f, v29 :: v_dual_sub_f32 v70, v70, v82
	s_delay_alu instid0(VALU_DEP_3) | instskip(SKIP_4) | instid1(VALU_DEP_3)
	v_cndmask_b32_e64 v28, 0, v28, s13
	v_cmp_nlt_f32_e64 s13, 0x42b17218, v75
	v_exp_f32_e32 v75, v55
	v_mul_f32_e32 v55, 0x3fb8aa3b, v20
	v_dual_add_f32 v63, v63, v64 :: v_dual_add_f32 v64, v70, v81
	v_cndmask_b32_e64 v28, 0x7f800000, v28, s13
	v_cmp_ngt_f32_e64 s13, 0xc2ce8ed0, v27
	s_delay_alu instid0(VALU_DEP_4) | instskip(SKIP_3) | instid1(VALU_DEP_2)
	v_rndne_f32_e32 v84, v55
	v_fma_f32 v83, 0x3fb8aa3b, v20, -v55
	v_exp_f32_e32 v63, v63
	v_exp_f32_e32 v64, v64
	v_sub_f32_e32 v85, v55, v84
	v_cndmask_b32_e64 v55, 0, v28, s12
	v_cvt_i32_f32_e32 v28, v78
	v_fmac_f32_e32 v83, 0x32a5705f, v20
	v_cvt_i32_f32_e32 v81, v84
	s_delay_alu instid0(VALU_DEP_4) | instskip(NEXT) | instid1(VALU_DEP_4)
	v_cvt_f16_f32_e32 v78, v55
	v_ldexp_f32 v28, v75, v28
	s_delay_alu instid0(VALU_DEP_4) | instskip(SKIP_2) | instid1(VALU_DEP_4)
	v_add_f32_e32 v70, v85, v83
	v_cvt_i32_f32_e32 v75, v80
	v_cvt_i32_f32_e32 v80, v82
	v_cndmask_b32_e64 v28, 0, v28, s13
	v_cmp_nlt_f32_e64 s13, 0x42b17218, v27
	v_exp_f32_e32 v70, v70
	v_ldexp_f32 v63, v63, v75
	s_delay_alu instid0(VALU_DEP_2) | instskip(SKIP_2) | instid1(VALU_DEP_3)
	v_cndmask_b32_e64 v27, 0x7f800000, v28, s13
	v_cmp_ngt_f32_e64 s13, 0xc2ce8ed0, v9
	v_ldexp_f32 v28, v64, v80
	v_cndmask_b32_e32 v27, 0, v27, vcc_lo
	s_delay_alu instid0(VALU_DEP_3) | instskip(SKIP_1) | instid1(TRANS32_DEP_1)
	v_cndmask_b32_e64 v63, 0, v63, s13
	v_cmp_ngt_f32_e64 s13, 0xc2ce8ed0, v29
	v_ldexp_f32 v64, v70, v81
	v_mul_lo_u32 v70, s17, v11
	v_lshl_or_b32 v11, v11, 7, v10
	s_delay_alu instid0(VALU_DEP_4) | instskip(SKIP_1) | instid1(VALU_DEP_1)
	v_cndmask_b32_e64 v28, 0, v28, s13
	v_cmp_ngt_f32_e64 s13, 0xc2ce8ed0, v20
	v_cndmask_b32_e64 v64, 0, v64, s13
	v_cmp_nlt_f32_e64 s13, 0x42b17218, v9
	s_delay_alu instid0(VALU_DEP_1) | instskip(SKIP_2) | instid1(VALU_DEP_2)
	v_cndmask_b32_e64 v9, 0x7f800000, v63, s13
	v_cmp_nlt_f32_e64 s13, 0x42b17218, v29
	v_lshlrev_b32_e32 v29, 10, v47
	v_cndmask_b32_e64 v63, 0x7f800000, v28, s13
	v_cmp_nlt_f32_e64 s13, 0x42b17218, v20
	v_cndmask_b32_e64 v28, 0, v9, s10
	s_delay_alu instid0(VALU_DEP_4)
	v_add_nc_u32_e32 v47, 0x4800, v29
	s_mul_i32 s10, s16, s17
	v_cndmask_b32_e64 v20, 0, v63, s11
	v_cndmask_b32_e64 v64, 0x7f800000, v64, s13
	v_cvt_f16_f32_e32 v63, v27
	v_cvt_f16_f32_e32 v75, v28
	v_lshl_add_u32 v82, v44, 3, v47
	s_mul_hi_i32 s11, s16, s17
	v_cndmask_b32_e64 v9, 0, v64, s12
	v_pack_b32_f16 v64, v77, v63
	v_pack_b32_f16 v63, v65, v66
	;; [unrolled: 1-line block ×3, first 2 shown]
	v_ashrrev_i32_e32 v71, 31, v70
	v_lshl_add_u32 v77, v56, 3, v47
	v_pack_b32_f16 v66, v76, v75
	v_lshl_add_u32 v75, v57, 3, v47
	v_lshl_add_u32 v47, v68, 3, v47
	v_lshlrev_b64 v[67:68], 2, v[70:71]
	s_lshl_b64 s[10:11], s[10:11], 2
	v_pack_b32_f16 v71, v73, v74
	s_add_u32 s12, s18, s10
	s_addc_u32 s13, s19, s11
	v_cvt_f16_f32_e32 v80, v20
	v_add_co_u32 v67, vcc_lo, s12, v67
	v_add_co_ci_u32_e32 v68, vcc_lo, s13, v68, vcc_lo
	v_cvt_f16_f32_e32 v81, v9
	s_delay_alu instid0(VALU_DEP_3) | instskip(NEXT) | instid1(VALU_DEP_3)
	v_add_co_u32 v73, vcc_lo, v67, v10
	v_add_co_ci_u32_e32 v74, vcc_lo, 0, v68, vcc_lo
	s_mov_b64 s[10:11], src_private_base
	v_pack_b32_f16 v56, v69, v72
	v_mov_b32_e32 v76, 0
	s_delay_alu instid0(VALU_DEP_3)
	v_cndmask_b32_e64 v74, s11, v74, s2
	v_cndmask_b32_e64 v73, 0, v73, s2
	s_lshl_b32 s2, s17, 4
	v_dual_mov_b32 v69, s22 :: v_dual_mov_b32 v68, s21
	v_mov_b32_e32 v67, s20
	v_pack_b32_f16 v57, v79, v80
	v_pack_b32_f16 v72, v78, v81
	ds_store_b64 v82, v[63:64]
	ds_store_b64 v77, v[65:66]
	;; [unrolled: 1-line block ×4, first 2 shown]
	s_clause 0x1
	scratch_store_b32 off, v76, off
	scratch_store_b96 off, v[67:69], off offset:4
	flat_load_b128 v[63:66], v[73:74]
	v_add_nc_u32_e32 v56, s2, v70
	s_clause 0x1
	scratch_store_b32 off, v76, off
	scratch_store_b96 off, v[67:69], off offset:4
	v_add_nc_u32_e32 v78, 0x3800, v46
	v_add_nc_u32_e32 v77, 0xc00, v46
	v_ashrrev_i32_e32 v57, 31, v56
	s_delay_alu instid0(VALU_DEP_1) | instskip(SKIP_1) | instid1(VALU_DEP_2)
	v_lshlrev_b64 v[70:71], 2, v[56:57]
	v_add_nc_u32_e32 v56, s2, v56
	v_add_co_u32 v47, vcc_lo, s12, v70
	s_delay_alu instid0(VALU_DEP_3) | instskip(NEXT) | instid1(VALU_DEP_2)
	v_add_co_ci_u32_e32 v57, vcc_lo, s13, v71, vcc_lo
	v_add_co_u32 v47, vcc_lo, v47, v10
	s_delay_alu instid0(VALU_DEP_2) | instskip(NEXT) | instid1(VALU_DEP_2)
	v_add_co_ci_u32_e32 v57, vcc_lo, 0, v57, vcc_lo
	v_cndmask_b32_e64 v70, 0, v47, s3
	s_delay_alu instid0(VALU_DEP_2)
	v_cndmask_b32_e64 v71, s11, v57, s3
	v_ashrrev_i32_e32 v57, 31, v56
	s_waitcnt vmcnt(0) lgkmcnt(0)
	ds_store_b128 v11, v[63:66]
	flat_load_b128 v[63:66], v[70:71]
	v_lshlrev_b64 v[70:71], 2, v[56:57]
	s_clause 0x1
	scratch_store_b32 off, v76, off
	scratch_store_b96 off, v[67:69], off offset:4
	v_add_nc_u32_e32 v56, s2, v56
	v_add_co_u32 v11, vcc_lo, s12, v70
	v_add_co_ci_u32_e32 v47, vcc_lo, s13, v71, vcc_lo
	s_delay_alu instid0(VALU_DEP_3) | instskip(NEXT) | instid1(VALU_DEP_3)
	v_ashrrev_i32_e32 v57, 31, v56
	v_add_co_u32 v11, vcc_lo, v11, v10
	s_delay_alu instid0(VALU_DEP_3) | instskip(NEXT) | instid1(VALU_DEP_2)
	v_add_co_ci_u32_e32 v47, vcc_lo, 0, v47, vcc_lo
	v_cndmask_b32_e64 v70, 0, v11, s4
	s_delay_alu instid0(VALU_DEP_2)
	v_cndmask_b32_e64 v71, s11, v47, s4
	v_lshl_or_b32 v47, v16, 7, v10
	s_waitcnt vmcnt(0) lgkmcnt(0)
	ds_store_b128 v13, v[63:66]
	flat_load_b128 v[63:66], v[70:71]
	v_lshlrev_b64 v[70:71], 2, v[56:57]
	s_clause 0x1
	scratch_store_b32 off, v76, off
	scratch_store_b96 off, v[67:69], off offset:4
	v_add_nc_u32_e32 v56, s2, v56
	v_add_co_u32 v11, vcc_lo, s12, v70
	v_add_co_ci_u32_e32 v13, vcc_lo, s13, v71, vcc_lo
	s_delay_alu instid0(VALU_DEP_3) | instskip(NEXT) | instid1(VALU_DEP_3)
	v_ashrrev_i32_e32 v57, 31, v56
	v_add_co_u32 v11, vcc_lo, v11, v10
	s_delay_alu instid0(VALU_DEP_3) | instskip(NEXT) | instid1(VALU_DEP_2)
	v_add_co_ci_u32_e32 v13, vcc_lo, 0, v13, vcc_lo
	v_cndmask_b32_e64 v70, 0, v11, s5
	s_delay_alu instid0(VALU_DEP_2)
	v_cndmask_b32_e64 v71, s11, v13, s5
	s_waitcnt vmcnt(0) lgkmcnt(0)
	ds_store_b128 v15, v[63:66]
	flat_load_b128 v[63:66], v[70:71]
	v_lshlrev_b64 v[70:71], 2, v[56:57]
	s_clause 0x1
	scratch_store_b32 off, v76, off
	scratch_store_b96 off, v[67:69], off offset:4
	v_add_co_u32 v11, vcc_lo, s12, v70
	v_add_co_ci_u32_e32 v13, vcc_lo, s13, v71, vcc_lo
	s_delay_alu instid0(VALU_DEP_2) | instskip(NEXT) | instid1(VALU_DEP_2)
	v_add_co_u32 v11, vcc_lo, v11, v10
	v_add_co_ci_u32_e32 v13, vcc_lo, 0, v13, vcc_lo
	s_delay_alu instid0(VALU_DEP_2) | instskip(NEXT) | instid1(VALU_DEP_2)
	v_cndmask_b32_e64 v15, 0, v11, s6
	v_cndmask_b32_e64 v16, s11, v13, s6
	s_waitcnt vmcnt(0) lgkmcnt(0)
	ds_store_b128 v47, v[63:66]
	flat_load_b128 v[63:66], v[15:16]
	v_add_nc_u32_e32 v15, s2, v56
	v_lshl_or_b32 v47, v17, 7, v10
	s_clause 0x1
	scratch_store_b32 off, v76, off
	scratch_store_b96 off, v[67:69], off offset:4
	v_ashrrev_i32_e32 v16, 31, v15
	s_delay_alu instid0(VALU_DEP_1) | instskip(NEXT) | instid1(VALU_DEP_1)
	v_lshlrev_b64 v[56:57], 2, v[15:16]
	v_add_co_u32 v11, vcc_lo, s12, v56
	s_delay_alu instid0(VALU_DEP_2) | instskip(SKIP_1) | instid1(VALU_DEP_3)
	v_add_co_ci_u32_e32 v13, vcc_lo, s13, v57, vcc_lo
	v_add_nc_u32_e32 v56, s2, v15
	v_add_co_u32 v11, vcc_lo, v11, v10
	s_delay_alu instid0(VALU_DEP_3) | instskip(NEXT) | instid1(VALU_DEP_3)
	v_add_co_ci_u32_e32 v13, vcc_lo, 0, v13, vcc_lo
	v_ashrrev_i32_e32 v57, 31, v56
	s_delay_alu instid0(VALU_DEP_3) | instskip(NEXT) | instid1(VALU_DEP_3)
	v_cndmask_b32_e64 v16, 0, v11, s7
	v_cndmask_b32_e64 v17, s11, v13, s7
	s_waitcnt vmcnt(0) lgkmcnt(0)
	ds_store_b128 v47, v[63:66]
	flat_load_b128 v[63:66], v[16:17]
	v_lshlrev_b64 v[15:16], 2, v[56:57]
	v_add_nc_u32_e32 v56, s2, v56
	v_lshl_or_b32 v17, v18, 7, v10
	s_delay_alu instid0(VALU_DEP_2) | instskip(NEXT) | instid1(VALU_DEP_4)
	v_ashrrev_i32_e32 v57, 31, v56
	v_add_co_u32 v11, vcc_lo, s12, v15
	v_add_co_ci_u32_e32 v13, vcc_lo, s13, v16, vcc_lo
	s_delay_alu instid0(VALU_DEP_3) | instskip(NEXT) | instid1(VALU_DEP_3)
	v_lshlrev_b64 v[56:57], 2, v[56:57]
	v_add_co_u32 v11, vcc_lo, v11, v10
	s_delay_alu instid0(VALU_DEP_3) | instskip(NEXT) | instid1(VALU_DEP_2)
	v_add_co_ci_u32_e32 v13, vcc_lo, 0, v13, vcc_lo
	v_cndmask_b32_e64 v15, 0, v11, s8
	s_delay_alu instid0(VALU_DEP_4) | instskip(NEXT) | instid1(VALU_DEP_3)
	v_add_co_u32 v11, vcc_lo, s12, v56
	v_cndmask_b32_e64 v16, s11, v13, s8
	v_add_co_ci_u32_e32 v13, vcc_lo, s13, v57, vcc_lo
	s_delay_alu instid0(VALU_DEP_3) | instskip(SKIP_1) | instid1(VALU_DEP_3)
	v_add_co_u32 v11, vcc_lo, v11, v10
	v_lshl_or_b32 v10, v12, 7, v10
	v_add_co_ci_u32_e32 v13, vcc_lo, 0, v13, vcc_lo
	s_delay_alu instid0(VALU_DEP_3) | instskip(SKIP_1) | instid1(VALU_DEP_3)
	v_cndmask_b32_e64 v56, 0, v11, s9
	v_cmp_ngt_f32_e32 vcc_lo, 0xc2ce8ed0, v0
	v_cndmask_b32_e64 v57, s11, v13, s9
	v_dual_sub_f32 v13, v2, v6 :: v_dual_mul_f32 v2, 0x3fb8aa3b, v0
	s_clause 0x1
	scratch_store_b32 off, v76, off
	scratch_store_b96 off, v[67:69], off offset:4
	v_fma_f32 v47, 0x3fb8aa3b, v0, -v2
	s_delay_alu instid0(VALU_DEP_1)
	v_fmac_f32_e32 v47, 0x32a5705f, v0
	s_waitcnt vmcnt(0) lgkmcnt(0)
	ds_store_b128 v17, v[63:66]
	flat_load_b128 v[15:18], v[15:16]
	s_clause 0x1
	scratch_store_b32 off, v76, off
	scratch_store_b96 off, v[67:69], off offset:4
	v_mul_f32_e32 v66, 0x3fb8aa3b, v3
	v_add_nc_u32_e32 v76, 0x800, v46
	s_delay_alu instid0(VALU_DEP_2) | instskip(SKIP_1) | instid1(VALU_DEP_2)
	v_fma_f32 v67, 0x3fb8aa3b, v3, -v66
	v_rndne_f32_e32 v68, v66
	v_fmac_f32_e32 v67, 0x32a5705f, v3
	s_waitcnt vmcnt(0) lgkmcnt(0)
	ds_store_b128 v19, v[15:18]
	flat_load_b128 v[15:18], v[56:57]
	v_rndne_f32_e32 v56, v2
	s_delay_alu instid0(VALU_DEP_1) | instskip(SKIP_1) | instid1(VALU_DEP_2)
	v_dual_mul_f32 v19, 0x3fb8aa3b, v13 :: v_dual_sub_f32 v2, v2, v56
	v_cvt_i32_f32_e32 v12, v56
	v_fma_f32 v64, 0x3fb8aa3b, v13, -v19
	v_rndne_f32_e32 v65, v19
	s_delay_alu instid0(VALU_DEP_4) | instskip(NEXT) | instid1(VALU_DEP_3)
	v_add_f32_e32 v2, v2, v47
	v_dual_sub_f32 v47, v66, v68 :: v_dual_fmac_f32 v64, 0x32a5705f, v13
	s_delay_alu instid0(VALU_DEP_3) | instskip(NEXT) | instid1(VALU_DEP_3)
	v_sub_f32_e32 v19, v19, v65
	v_exp_f32_e32 v2, v2
	s_delay_alu instid0(VALU_DEP_2) | instskip(NEXT) | instid1(VALU_DEP_2)
	v_add_f32_e32 v47, v47, v67
	v_add_f32_e32 v19, v19, v64
	s_delay_alu instid0(VALU_DEP_2) | instskip(NEXT) | instid1(VALU_DEP_1)
	v_exp_f32_e32 v47, v47
	v_exp_f32_e32 v19, v19
	s_delay_alu instid0(TRANS32_DEP_3) | instskip(SKIP_1) | instid1(VALU_DEP_2)
	v_ldexp_f32 v2, v2, v12
	v_cvt_i32_f32_e32 v12, v68
	v_cndmask_b32_e32 v2, 0, v2, vcc_lo
	s_waitcnt_depctr 0xfff
	v_ldexp_f32 v47, v47, v12
	v_sub_f32_e32 v1, v1, v5
	s_delay_alu instid0(VALU_DEP_1) | instskip(SKIP_1) | instid1(VALU_DEP_2)
	v_mul_f32_e32 v11, 0x3fb8aa3b, v1
	v_cmp_ngt_f32_e32 vcc_lo, 0xc2ce8ed0, v1
	v_fma_f32 v57, 0x3fb8aa3b, v1, -v11
	v_rndne_f32_e32 v63, v11
	s_delay_alu instid0(VALU_DEP_2) | instskip(NEXT) | instid1(VALU_DEP_2)
	v_fmac_f32_e32 v57, 0x32a5705f, v1
	v_sub_f32_e32 v11, v11, v63
	v_cvt_i32_f32_e32 v56, v63
	s_delay_alu instid0(VALU_DEP_2) | instskip(SKIP_1) | instid1(VALU_DEP_2)
	v_add_f32_e32 v11, v11, v57
	v_cvt_i32_f32_e32 v57, v65
	v_exp_f32_e32 v11, v11
	s_delay_alu instid0(VALU_DEP_1) | instskip(SKIP_2) | instid1(VALU_DEP_1)
	v_ldexp_f32 v19, v19, v57
	s_waitcnt_depctr 0xfff
	v_ldexp_f32 v11, v11, v56
	v_cndmask_b32_e32 v56, 0, v11, vcc_lo
	v_cmp_ngt_f32_e32 vcc_lo, 0xc2ce8ed0, v3
	s_waitcnt vmcnt(0) lgkmcnt(0)
	ds_store_b128 v10, v[15:18]
	v_cndmask_b32_e32 v10, 0, v47, vcc_lo
	v_cmp_ngt_f32_e32 vcc_lo, 0xc2ce8ed0, v13
	s_waitcnt lgkmcnt(0)
	s_waitcnt_vscnt null, 0x0
	s_barrier
	buffer_gl0_inv
	ds_load_2addr_b32 v[11:12], v46 offset1:32
	ds_load_b128 v[15:18], v29 offset:18432
	v_cndmask_b32_e32 v19, 0, v19, vcc_lo
	v_cmp_nlt_f32_e32 vcc_lo, 0x42b17218, v0
	v_cndmask_b32_e32 v2, 0x7f800000, v2, vcc_lo
	v_cmp_nlt_f32_e32 vcc_lo, 0x42b17218, v3
	s_delay_alu instid0(VALU_DEP_2) | instskip(SKIP_2) | instid1(VALU_DEP_3)
	v_fmac_f32_e32 v8, v59, v2
	v_cndmask_b32_e32 v10, 0x7f800000, v10, vcc_lo
	v_cmp_nlt_f32_e32 vcc_lo, 0x42b17218, v1
	v_mov_b32_e32 v59, v8
	s_delay_alu instid0(VALU_DEP_3)
	v_cvt_f16_f32_e32 v3, v10
	v_cndmask_b32_e32 v1, 0x7f800000, v56, vcc_lo
	v_cmp_nlt_f32_e32 vcc_lo, 0x42b17218, v13
	ds_load_b128 v[63:66], v29 offset:18448
	ds_load_2addr_b32 v[56:57], v46 offset0:64 offset1:96
	v_cvt_f16_f32_e32 v13, v2
	v_pk_mul_f16 v3, v3, v48 op_sel_hi:[0,1]
	s_waitcnt lgkmcnt(2)
	v_pk_mul_f16 v72, v11, v15 op_sel_hi:[1,0]
	v_cndmask_b32_e32 v0, 0x7f800000, v19, vcc_lo
	v_cvt_f16_f32_e32 v19, v1
	v_pk_mul_f16 v15, v11, v15 op_sel:[0,1]
	v_pk_mul_f16 v73, v11, v16 op_sel_hi:[1,0]
	ds_load_2addr_b32 v[47:48], v46 offset0:128 offset1:160
	v_cvt_f16_f32_e32 v71, v0
	v_pk_fma_f16 v3, v11, v16, v3 op_sel:[0,1,0]
	ds_load_b128 v[67:70], v29 offset:18464
	v_pk_fma_f16 v11, v13, v52, v72 op_sel_hi:[0,1,1]
	v_pk_fma_f16 v13, v19, v51, v15 op_sel_hi:[0,1,1]
	v_pk_fma_f16 v15, v71, v49, v73 op_sel_hi:[0,1,1]
	ds_load_b128 v[71:74], v29 offset:18480
	v_pk_fma_f16 v3, v12, v18, v3 op_sel:[0,1,0]
	v_pk_fma_f16 v16, v12, v17, v11 op_sel_hi:[1,0,1]
	v_pk_fma_f16 v13, v12, v17, v13 op_sel:[0,1,0]
	v_pk_fma_f16 v15, v12, v18, v15 op_sel_hi:[1,0,1]
	ds_load_2addr_b32 v[11:12], v46 offset0:192 offset1:224
	s_waitcnt lgkmcnt(4)
	v_pk_fma_f16 v3, v56, v64, v3 op_sel:[0,1,0]
	v_pk_fma_f16 v16, v56, v63, v16 op_sel_hi:[1,0,1]
	v_pk_fma_f16 v13, v56, v63, v13 op_sel:[0,1,0]
	v_pk_fma_f16 v15, v56, v64, v15 op_sel_hi:[1,0,1]
	v_add_nc_u32_e32 v75, 0x400, v46
	v_pk_fma_f16 v3, v57, v66, v3 op_sel:[0,1,0]
	v_pk_fma_f16 v19, v57, v65, v16 op_sel_hi:[1,0,1]
	v_pk_fma_f16 v13, v57, v65, v13 op_sel:[0,1,0]
	v_pk_fma_f16 v49, v57, v66, v15 op_sel_hi:[1,0,1]
	ds_load_2addr_b32 v[51:52], v75 offset1:32
	s_waitcnt lgkmcnt(3)
	v_pk_fma_f16 v3, v47, v68, v3 op_sel:[0,1,0]
	ds_load_b128 v[15:18], v29 offset:18496
	ds_load_b128 v[63:66], v29 offset:18512
	v_pk_fma_f16 v19, v47, v67, v19 op_sel_hi:[1,0,1]
	v_pk_fma_f16 v13, v47, v67, v13 op_sel:[0,1,0]
	v_pk_fma_f16 v47, v47, v68, v49 op_sel_hi:[1,0,1]
	v_pk_fma_f16 v3, v48, v70, v3 op_sel:[0,1,0]
	ds_load_2addr_b32 v[56:57], v75 offset0:64 offset1:96
	v_pk_fma_f16 v19, v48, v69, v19 op_sel_hi:[1,0,1]
	v_pk_fma_f16 v13, v48, v69, v13 op_sel:[0,1,0]
	v_pk_fma_f16 v47, v48, v70, v47 op_sel_hi:[1,0,1]
	s_waitcnt lgkmcnt(4)
	v_pk_fma_f16 v3, v11, v72, v3 op_sel:[0,1,0]
	ds_load_b128 v[67:70], v29 offset:18528
	v_pk_fma_f16 v19, v11, v71, v19 op_sel_hi:[1,0,1]
	v_pk_fma_f16 v13, v11, v71, v13 op_sel:[0,1,0]
	v_pk_fma_f16 v11, v11, v72, v47 op_sel_hi:[1,0,1]
	v_pk_fma_f16 v3, v12, v74, v3 op_sel:[0,1,0]
	ds_load_2addr_b32 v[47:48], v75 offset0:128 offset1:160
	v_pk_fma_f16 v19, v12, v73, v19 op_sel_hi:[1,0,1]
	v_pk_fma_f16 v13, v12, v73, v13 op_sel:[0,1,0]
	v_pk_fma_f16 v11, v12, v74, v11 op_sel_hi:[1,0,1]
	s_waitcnt lgkmcnt(4)
	v_pk_fma_f16 v3, v51, v16, v3 op_sel:[0,1,0]
	v_add_nc_u32_e32 v49, 0x1000, v46
	v_pk_fma_f16 v19, v51, v15, v19 op_sel_hi:[1,0,1]
	v_pk_fma_f16 v13, v51, v15, v13 op_sel:[0,1,0]
	v_pk_fma_f16 v15, v51, v16, v11 op_sel_hi:[1,0,1]
	v_pk_fma_f16 v3, v52, v18, v3 op_sel:[0,1,0]
	ds_load_2addr_b32 v[11:12], v75 offset0:192 offset1:224
	v_pk_fma_f16 v19, v52, v17, v19 op_sel_hi:[1,0,1]
	v_pk_fma_f16 v13, v52, v17, v13 op_sel:[0,1,0]
	v_pk_fma_f16 v51, v52, v18, v15 op_sel_hi:[1,0,1]
	s_waitcnt lgkmcnt(3)
	v_pk_fma_f16 v3, v56, v64, v3 op_sel:[0,1,0]
	ds_load_b128 v[15:18], v29 offset:18544
	v_pk_fma_f16 v19, v56, v63, v19 op_sel_hi:[1,0,1]
	v_pk_fma_f16 v13, v56, v63, v13 op_sel:[0,1,0]
	v_pk_fma_f16 v56, v56, v64, v51 op_sel_hi:[1,0,1]
	v_pk_fma_f16 v3, v57, v66, v3 op_sel:[0,1,0]
	ds_load_2addr_b32 v[51:52], v76 offset1:32
	v_pk_fma_f16 v19, v57, v65, v19 op_sel_hi:[1,0,1]
	v_pk_fma_f16 v13, v57, v65, v13 op_sel:[0,1,0]
	v_pk_fma_f16 v56, v57, v66, v56 op_sel_hi:[1,0,1]
	s_waitcnt lgkmcnt(3)
	v_pk_fma_f16 v3, v47, v68, v3 op_sel:[0,1,0]
	ds_load_b128 v[63:66], v29 offset:18560
	v_pk_fma_f16 v19, v47, v67, v19 op_sel_hi:[1,0,1]
	v_pk_fma_f16 v13, v47, v67, v13 op_sel:[0,1,0]
	v_pk_fma_f16 v47, v47, v68, v56 op_sel_hi:[1,0,1]
	v_pk_fma_f16 v3, v48, v70, v3 op_sel:[0,1,0]
	ds_load_2addr_b32 v[56:57], v76 offset0:64 offset1:96
	v_pk_fma_f16 v19, v48, v69, v19 op_sel_hi:[1,0,1]
	v_pk_fma_f16 v13, v48, v69, v13 op_sel:[0,1,0]
	v_pk_fma_f16 v47, v48, v70, v47 op_sel_hi:[1,0,1]
	ds_load_b128 v[67:70], v29 offset:18576
	s_waitcnt lgkmcnt(4)
	v_pk_fma_f16 v3, v11, v16, v3 op_sel:[0,1,0]
	v_pk_fma_f16 v19, v11, v15, v19 op_sel_hi:[1,0,1]
	v_pk_fma_f16 v13, v11, v15, v13 op_sel:[0,1,0]
	v_pk_fma_f16 v11, v11, v16, v47 op_sel_hi:[1,0,1]
	ds_load_2addr_b32 v[47:48], v76 offset0:128 offset1:160
	v_pk_fma_f16 v3, v12, v18, v3 op_sel:[0,1,0]
	v_pk_fma_f16 v19, v12, v17, v19 op_sel_hi:[1,0,1]
	v_pk_fma_f16 v13, v12, v17, v13 op_sel:[0,1,0]
	v_pk_fma_f16 v11, v12, v18, v11 op_sel_hi:[1,0,1]
	ds_load_b128 v[15:18], v29 offset:18592
	s_waitcnt lgkmcnt(4)
	v_pk_fma_f16 v3, v51, v64, v3 op_sel:[0,1,0]
	v_pk_fma_f16 v19, v51, v63, v19 op_sel_hi:[1,0,1]
	v_pk_fma_f16 v13, v51, v63, v13 op_sel:[0,1,0]
	v_pk_fma_f16 v51, v51, v64, v11 op_sel_hi:[1,0,1]
	ds_load_2addr_b32 v[11:12], v76 offset0:192 offset1:224
	v_pk_fma_f16 v3, v52, v66, v3 op_sel:[0,1,0]
	v_pk_fma_f16 v19, v52, v65, v19 op_sel_hi:[1,0,1]
	v_pk_fma_f16 v13, v52, v65, v13 op_sel:[0,1,0]
	v_pk_fma_f16 v51, v52, v66, v51 op_sel_hi:[1,0,1]
	ds_load_b128 v[63:66], v29 offset:18608
	s_waitcnt lgkmcnt(4)
	v_pk_fma_f16 v3, v56, v68, v3 op_sel:[0,1,0]
	v_pk_fma_f16 v19, v56, v67, v19 op_sel_hi:[1,0,1]
	v_pk_fma_f16 v13, v56, v67, v13 op_sel:[0,1,0]
	v_pk_fma_f16 v56, v56, v68, v51 op_sel_hi:[1,0,1]
	ds_load_2addr_b32 v[51:52], v77 offset1:32
	v_pk_fma_f16 v3, v57, v70, v3 op_sel:[0,1,0]
	v_pk_fma_f16 v19, v57, v69, v19 op_sel_hi:[1,0,1]
	v_pk_fma_f16 v13, v57, v69, v13 op_sel:[0,1,0]
	v_pk_fma_f16 v56, v57, v70, v56 op_sel_hi:[1,0,1]
	ds_load_b128 v[67:70], v29 offset:18624
	s_waitcnt lgkmcnt(4)
	v_pk_fma_f16 v57, v47, v16, v3 op_sel:[0,1,0]
	v_pk_fma_f16 v19, v47, v15, v19 op_sel_hi:[1,0,1]
	v_pk_fma_f16 v13, v47, v15, v13 op_sel:[0,1,0]
	v_pk_fma_f16 v15, v47, v16, v56 op_sel_hi:[1,0,1]
	v_add_nc_u32_e32 v71, 0x1400, v46
	v_pk_fma_f16 v16, v48, v18, v57 op_sel:[0,1,0]
	v_pk_fma_f16 v19, v48, v17, v19 op_sel_hi:[1,0,1]
	v_pk_fma_f16 v13, v48, v17, v13 op_sel:[0,1,0]
	v_pk_fma_f16 v47, v48, v18, v15 op_sel_hi:[1,0,1]
	ds_load_2addr_b32 v[56:57], v77 offset0:64 offset1:96
	s_waitcnt lgkmcnt(3)
	v_pk_fma_f16 v48, v11, v64, v16 op_sel:[0,1,0]
	ds_load_b128 v[15:18], v29 offset:18640
	v_pk_fma_f16 v19, v11, v63, v19 op_sel_hi:[1,0,1]
	v_pk_fma_f16 v13, v11, v63, v13 op_sel:[0,1,0]
	v_pk_fma_f16 v11, v11, v64, v47 op_sel_hi:[1,0,1]
	v_pk_fma_f16 v63, v12, v66, v48 op_sel:[0,1,0]
	ds_load_2addr_b32 v[47:48], v77 offset0:128 offset1:160
	v_pk_fma_f16 v19, v12, v65, v19 op_sel_hi:[1,0,1]
	v_pk_fma_f16 v13, v12, v65, v13 op_sel:[0,1,0]
	v_pk_fma_f16 v11, v12, v66, v11 op_sel_hi:[1,0,1]
	s_waitcnt lgkmcnt(3)
	v_pk_fma_f16 v12, v51, v68, v63 op_sel:[0,1,0]
	ds_load_b128 v[63:66], v29 offset:18656
	v_pk_fma_f16 v19, v51, v67, v19 op_sel_hi:[1,0,1]
	v_pk_fma_f16 v13, v51, v67, v13 op_sel:[0,1,0]
	v_pk_fma_f16 v51, v51, v68, v11 op_sel_hi:[1,0,1]
	v_pk_fma_f16 v67, v52, v70, v12 op_sel:[0,1,0]
	ds_load_2addr_b32 v[11:12], v77 offset0:192 offset1:224
	v_pk_fma_f16 v19, v52, v69, v19 op_sel_hi:[1,0,1]
	v_pk_fma_f16 v13, v52, v69, v13 op_sel:[0,1,0]
	v_pk_fma_f16 v51, v52, v70, v51 op_sel_hi:[1,0,1]
	v_add_nc_u32_e32 v72, 0x1800, v46
	s_waitcnt lgkmcnt(3)
	v_pk_fma_f16 v52, v56, v16, v67 op_sel:[0,1,0]
	ds_load_b128 v[67:70], v29 offset:18672
	v_pk_fma_f16 v19, v56, v15, v19 op_sel_hi:[1,0,1]
	v_pk_fma_f16 v13, v56, v15, v13 op_sel:[0,1,0]
	v_pk_fma_f16 v15, v56, v16, v51 op_sel_hi:[1,0,1]
	v_pk_fma_f16 v16, v57, v18, v52 op_sel:[0,1,0]
	ds_load_2addr_b32 v[51:52], v49 offset1:32
	v_pk_fma_f16 v19, v57, v17, v19 op_sel_hi:[1,0,1]
	v_pk_fma_f16 v13, v57, v17, v13 op_sel:[0,1,0]
	v_pk_fma_f16 v56, v57, v18, v15 op_sel_hi:[1,0,1]
	s_waitcnt lgkmcnt(3)
	v_pk_fma_f16 v57, v47, v64, v16 op_sel:[0,1,0]
	ds_load_b128 v[15:18], v29 offset:18688
	v_pk_fma_f16 v19, v47, v63, v19 op_sel_hi:[1,0,1]
	v_pk_fma_f16 v13, v47, v63, v13 op_sel:[0,1,0]
	v_pk_fma_f16 v47, v47, v64, v56 op_sel_hi:[1,0,1]
	v_pk_fma_f16 v63, v48, v66, v57 op_sel:[0,1,0]
	ds_load_2addr_b32 v[56:57], v49 offset0:64 offset1:96
	v_pk_fma_f16 v19, v48, v65, v19 op_sel_hi:[1,0,1]
	v_pk_fma_f16 v13, v48, v65, v13 op_sel:[0,1,0]
	v_pk_fma_f16 v47, v48, v66, v47 op_sel_hi:[1,0,1]
	v_add_nc_u32_e32 v3, 0x1c00, v46
	s_waitcnt lgkmcnt(3)
	v_pk_fma_f16 v48, v11, v68, v63 op_sel:[0,1,0]
	ds_load_b128 v[63:66], v29 offset:18704
	v_pk_fma_f16 v19, v11, v67, v19 op_sel_hi:[1,0,1]
	v_pk_fma_f16 v13, v11, v67, v13 op_sel:[0,1,0]
	v_pk_fma_f16 v11, v11, v68, v47 op_sel_hi:[1,0,1]
	v_pk_fma_f16 v67, v12, v70, v48 op_sel:[0,1,0]
	ds_load_2addr_b32 v[47:48], v49 offset0:128 offset1:160
	v_pk_fma_f16 v19, v12, v69, v19 op_sel_hi:[1,0,1]
	v_pk_fma_f16 v13, v12, v69, v13 op_sel:[0,1,0]
	v_pk_fma_f16 v11, v12, v70, v11 op_sel_hi:[1,0,1]
	s_waitcnt lgkmcnt(3)
	v_pk_fma_f16 v12, v51, v16, v67 op_sel:[0,1,0]
	ds_load_b128 v[67:70], v29 offset:18720
	v_pk_fma_f16 v19, v51, v15, v19 op_sel_hi:[1,0,1]
	v_pk_fma_f16 v13, v51, v15, v13 op_sel:[0,1,0]
	v_pk_fma_f16 v15, v51, v16, v11 op_sel_hi:[1,0,1]
	v_pk_fma_f16 v16, v52, v18, v12 op_sel:[0,1,0]
	ds_load_2addr_b32 v[11:12], v49 offset0:192 offset1:224
	v_pk_fma_f16 v19, v52, v17, v19 op_sel_hi:[1,0,1]
	v_pk_fma_f16 v13, v52, v17, v13 op_sel:[0,1,0]
	v_pk_fma_f16 v49, v52, v18, v15 op_sel_hi:[1,0,1]
	v_add_nc_u32_e32 v73, 0x2000, v46
	s_waitcnt lgkmcnt(3)
	v_pk_fma_f16 v51, v56, v64, v16 op_sel:[0,1,0]
	ds_load_b128 v[15:18], v29 offset:18736
	v_pk_fma_f16 v19, v56, v63, v19 op_sel_hi:[1,0,1]
	v_pk_fma_f16 v13, v56, v63, v13 op_sel:[0,1,0]
	v_pk_fma_f16 v49, v56, v64, v49 op_sel_hi:[1,0,1]
	v_pk_fma_f16 v56, v57, v66, v51 op_sel:[0,1,0]
	ds_load_2addr_b32 v[51:52], v71 offset1:32
	v_pk_fma_f16 v19, v57, v65, v19 op_sel_hi:[1,0,1]
	v_pk_fma_f16 v13, v57, v65, v13 op_sel:[0,1,0]
	v_pk_fma_f16 v49, v57, v66, v49 op_sel_hi:[1,0,1]
	s_waitcnt lgkmcnt(3)
	v_pk_fma_f16 v56, v47, v68, v56 op_sel:[0,1,0]
	ds_load_b128 v[63:66], v29 offset:18752
	v_pk_fma_f16 v19, v47, v67, v19 op_sel_hi:[1,0,1]
	v_pk_fma_f16 v13, v47, v67, v13 op_sel:[0,1,0]
	v_pk_fma_f16 v47, v47, v68, v49 op_sel_hi:[1,0,1]
	v_pk_fma_f16 v49, v48, v70, v56 op_sel:[0,1,0]
	ds_load_2addr_b32 v[56:57], v71 offset0:64 offset1:96
	v_pk_fma_f16 v19, v48, v69, v19 op_sel_hi:[1,0,1]
	v_pk_fma_f16 v13, v48, v69, v13 op_sel:[0,1,0]
	v_pk_fma_f16 v47, v48, v70, v47 op_sel_hi:[1,0,1]
	ds_load_b128 v[67:70], v29 offset:18768
	s_waitcnt lgkmcnt(4)
	v_pk_fma_f16 v48, v11, v16, v49 op_sel:[0,1,0]
	v_pk_fma_f16 v19, v11, v15, v19 op_sel_hi:[1,0,1]
	v_pk_fma_f16 v13, v11, v15, v13 op_sel:[0,1,0]
	v_pk_fma_f16 v11, v11, v16, v47 op_sel_hi:[1,0,1]
	v_add_nc_u32_e32 v74, 0x2400, v46
	v_pk_fma_f16 v15, v12, v18, v48 op_sel:[0,1,0]
	v_pk_fma_f16 v19, v12, v17, v19 op_sel_hi:[1,0,1]
	v_pk_fma_f16 v13, v12, v17, v13 op_sel:[0,1,0]
	v_pk_fma_f16 v11, v12, v18, v11 op_sel_hi:[1,0,1]
	ds_load_2addr_b32 v[47:48], v71 offset0:128 offset1:160
	s_waitcnt lgkmcnt(3)
	v_pk_fma_f16 v12, v51, v64, v15 op_sel:[0,1,0]
	ds_load_b128 v[15:18], v29 offset:18784
	v_pk_fma_f16 v19, v51, v63, v19 op_sel_hi:[1,0,1]
	v_pk_fma_f16 v13, v51, v63, v13 op_sel:[0,1,0]
	v_pk_fma_f16 v49, v51, v64, v11 op_sel_hi:[1,0,1]
	v_pk_fma_f16 v51, v52, v66, v12 op_sel:[0,1,0]
	ds_load_2addr_b32 v[11:12], v71 offset0:192 offset1:224
	v_pk_fma_f16 v19, v52, v65, v19 op_sel_hi:[1,0,1]
	v_pk_fma_f16 v13, v52, v65, v13 op_sel:[0,1,0]
	v_pk_fma_f16 v49, v52, v66, v49 op_sel_hi:[1,0,1]
	ds_load_b128 v[63:66], v29 offset:18800
	s_waitcnt lgkmcnt(4)
	v_pk_fma_f16 v51, v56, v68, v51 op_sel:[0,1,0]
	v_pk_fma_f16 v19, v56, v67, v19 op_sel_hi:[1,0,1]
	v_pk_fma_f16 v13, v56, v67, v13 op_sel:[0,1,0]
	v_pk_fma_f16 v49, v56, v68, v49 op_sel_hi:[1,0,1]
	v_add_nc_u32_e32 v75, 0x2800, v46
	v_pk_fma_f16 v56, v57, v70, v51 op_sel:[0,1,0]
	v_pk_fma_f16 v19, v57, v69, v19 op_sel_hi:[1,0,1]
	v_pk_fma_f16 v13, v57, v69, v13 op_sel:[0,1,0]
	v_pk_fma_f16 v49, v57, v70, v49 op_sel_hi:[1,0,1]
	ds_load_2addr_b32 v[51:52], v72 offset1:32
	s_waitcnt lgkmcnt(3)
	v_pk_fma_f16 v56, v47, v16, v56 op_sel:[0,1,0]
	ds_load_b128 v[67:70], v29 offset:18816
	v_pk_fma_f16 v19, v47, v15, v19 op_sel_hi:[1,0,1]
	v_pk_fma_f16 v13, v47, v15, v13 op_sel:[0,1,0]
	v_pk_fma_f16 v15, v47, v16, v49 op_sel_hi:[1,0,1]
	v_pk_fma_f16 v16, v48, v18, v56 op_sel:[0,1,0]
	ds_load_2addr_b32 v[56:57], v72 offset0:64 offset1:96
	v_pk_fma_f16 v19, v48, v17, v19 op_sel_hi:[1,0,1]
	v_pk_fma_f16 v13, v48, v17, v13 op_sel:[0,1,0]
	v_pk_fma_f16 v47, v48, v18, v15 op_sel_hi:[1,0,1]
	s_waitcnt lgkmcnt(3)
	v_pk_fma_f16 v48, v11, v64, v16 op_sel:[0,1,0]
	ds_load_b128 v[15:18], v29 offset:18832
	v_pk_fma_f16 v19, v11, v63, v19 op_sel_hi:[1,0,1]
	v_pk_fma_f16 v13, v11, v63, v13 op_sel:[0,1,0]
	v_pk_fma_f16 v11, v11, v64, v47 op_sel_hi:[1,0,1]
	v_pk_fma_f16 v49, v12, v66, v48 op_sel:[0,1,0]
	ds_load_2addr_b32 v[47:48], v72 offset0:128 offset1:160
	v_pk_fma_f16 v19, v12, v65, v19 op_sel_hi:[1,0,1]
	v_pk_fma_f16 v13, v12, v65, v13 op_sel:[0,1,0]
	v_pk_fma_f16 v11, v12, v66, v11 op_sel_hi:[1,0,1]
	ds_load_b128 v[63:66], v29 offset:18848
	s_waitcnt lgkmcnt(4)
	v_pk_fma_f16 v12, v51, v68, v49 op_sel:[0,1,0]
	v_pk_fma_f16 v19, v51, v67, v19 op_sel_hi:[1,0,1]
	v_pk_fma_f16 v13, v51, v67, v13 op_sel:[0,1,0]
	v_pk_fma_f16 v49, v51, v68, v11 op_sel_hi:[1,0,1]
	v_add_nc_u32_e32 v76, 0x2c00, v46
	v_pk_fma_f16 v51, v52, v70, v12 op_sel:[0,1,0]
	v_pk_fma_f16 v19, v52, v69, v19 op_sel_hi:[1,0,1]
	v_pk_fma_f16 v13, v52, v69, v13 op_sel:[0,1,0]
	v_pk_fma_f16 v49, v52, v70, v49 op_sel_hi:[1,0,1]
	ds_load_b128 v[67:70], v29 offset:18864
	ds_load_2addr_b32 v[11:12], v72 offset0:192 offset1:224
	s_waitcnt lgkmcnt(4)
	v_pk_fma_f16 v51, v56, v16, v51 op_sel:[0,1,0]
	v_pk_fma_f16 v19, v56, v15, v19 op_sel_hi:[1,0,1]
	v_pk_fma_f16 v13, v56, v15, v13 op_sel:[0,1,0]
	v_pk_fma_f16 v15, v56, v16, v49 op_sel_hi:[1,0,1]
	v_add_nc_u32_e32 v77, 0x3000, v46
	v_pk_fma_f16 v16, v57, v18, v51 op_sel:[0,1,0]
	v_pk_fma_f16 v19, v57, v17, v19 op_sel_hi:[1,0,1]
	v_pk_fma_f16 v13, v57, v17, v13 op_sel:[0,1,0]
	v_pk_fma_f16 v49, v57, v18, v15 op_sel_hi:[1,0,1]
	ds_load_2addr_b32 v[51:52], v3 offset1:32
	s_waitcnt lgkmcnt(3)
	v_pk_fma_f16 v56, v47, v64, v16 op_sel:[0,1,0]
	ds_load_b128 v[15:18], v29 offset:18880
	v_add_nc_u32_e32 v71, 0x3400, v46
	v_add_nc_u32_e32 v72, 0x3c00, v46
	v_pk_fma_f16 v19, v47, v63, v19 op_sel_hi:[1,0,1]
	v_pk_fma_f16 v13, v47, v63, v13 op_sel:[0,1,0]
	v_pk_fma_f16 v46, v47, v64, v49 op_sel_hi:[1,0,1]
	v_pk_fma_f16 v47, v48, v66, v56 op_sel:[0,1,0]
	ds_load_2addr_b32 v[56:57], v3 offset0:64 offset1:96
	v_pk_fma_f16 v19, v48, v65, v19 op_sel_hi:[1,0,1]
	v_pk_fma_f16 v13, v48, v65, v13 op_sel:[0,1,0]
	v_pk_fma_f16 v63, v48, v66, v46 op_sel_hi:[1,0,1]
	s_waitcnt lgkmcnt(3)
	v_pk_fma_f16 v64, v11, v68, v47 op_sel:[0,1,0]
	ds_load_b128 v[46:49], v29 offset:18896
	v_pk_fma_f16 v19, v11, v67, v19 op_sel_hi:[1,0,1]
	v_pk_fma_f16 v13, v11, v67, v13 op_sel:[0,1,0]
	v_pk_fma_f16 v11, v11, v68, v63 op_sel_hi:[1,0,1]
	v_pk_fma_f16 v63, v12, v70, v64 op_sel:[0,1,0]
	ds_load_2addr_b32 v[67:68], v3 offset0:128 offset1:160
	v_pk_fma_f16 v19, v12, v69, v19 op_sel_hi:[1,0,1]
	v_pk_fma_f16 v13, v12, v69, v13 op_sel:[0,1,0]
	v_pk_fma_f16 v11, v12, v70, v11 op_sel_hi:[1,0,1]
	s_waitcnt lgkmcnt(3)
	v_pk_fma_f16 v12, v51, v16, v63 op_sel:[0,1,0]
	ds_load_b128 v[63:66], v29 offset:18912
	v_pk_fma_f16 v19, v51, v15, v19 op_sel_hi:[1,0,1]
	v_pk_fma_f16 v13, v51, v15, v13 op_sel:[0,1,0]
	v_pk_fma_f16 v15, v51, v16, v11 op_sel_hi:[1,0,1]
	v_pk_fma_f16 v16, v52, v18, v12 op_sel:[0,1,0]
	ds_load_2addr_b32 v[11:12], v3 offset0:192 offset1:224
	v_pk_fma_f16 v3, v52, v17, v19 op_sel_hi:[1,0,1]
	v_pk_fma_f16 v13, v52, v17, v13 op_sel:[0,1,0]
	v_pk_fma_f16 v19, v52, v18, v15 op_sel_hi:[1,0,1]
	ds_load_2addr_b32 v[69:70], v73 offset1:32
	s_waitcnt lgkmcnt(4)
	v_pk_fma_f16 v51, v56, v47, v16 op_sel:[0,1,0]
	ds_load_b128 v[15:18], v29 offset:18928
	v_pk_fma_f16 v3, v56, v46, v3 op_sel_hi:[1,0,1]
	v_pk_fma_f16 v13, v56, v46, v13 op_sel:[0,1,0]
	v_pk_fma_f16 v19, v56, v47, v19 op_sel_hi:[1,0,1]
	v_pk_fma_f16 v46, v57, v49, v51 op_sel:[0,1,0]
	s_delay_alu instid0(VALU_DEP_4) | instskip(NEXT) | instid1(VALU_DEP_4)
	v_pk_fma_f16 v3, v57, v48, v3 op_sel_hi:[1,0,1]
	v_pk_fma_f16 v13, v57, v48, v13 op_sel:[0,1,0]
	s_delay_alu instid0(VALU_DEP_4)
	v_pk_fma_f16 v19, v57, v49, v19 op_sel_hi:[1,0,1]
	s_waitcnt lgkmcnt(3)
	v_pk_fma_f16 v51, v67, v64, v46 op_sel:[0,1,0]
	ds_load_b128 v[46:49], v29 offset:18944
	v_pk_fma_f16 v3, v67, v63, v3 op_sel_hi:[1,0,1]
	v_pk_fma_f16 v13, v67, v63, v13 op_sel:[0,1,0]
	v_pk_fma_f16 v19, v67, v64, v19 op_sel_hi:[1,0,1]
	v_pk_fma_f16 v50, v68, v66, v51 op_sel:[0,1,0]
	ds_load_2addr_b32 v[56:57], v73 offset0:64 offset1:96
	v_pk_fma_f16 v3, v68, v65, v3 op_sel_hi:[1,0,1]
	v_pk_fma_f16 v13, v68, v65, v13 op_sel:[0,1,0]
	v_pk_fma_f16 v19, v68, v66, v19 op_sel_hi:[1,0,1]
	ds_load_2addr_b32 v[65:66], v74 offset1:32
	s_waitcnt lgkmcnt(3)
	v_pk_fma_f16 v63, v11, v16, v50 op_sel:[0,1,0]
	ds_load_b128 v[50:53], v29 offset:18960
	v_pk_fma_f16 v3, v11, v15, v3 op_sel_hi:[1,0,1]
	v_pk_fma_f16 v13, v11, v15, v13 op_sel:[0,1,0]
	v_pk_fma_f16 v11, v11, v16, v19 op_sel_hi:[1,0,1]
	v_pk_fma_f16 v15, v12, v18, v63 op_sel:[0,1,0]
	ds_load_2addr_b32 v[63:64], v73 offset0:128 offset1:160
	v_pk_fma_f16 v3, v12, v17, v3 op_sel_hi:[1,0,1]
	v_pk_fma_f16 v13, v12, v17, v13 op_sel:[0,1,0]
	v_pk_fma_f16 v11, v12, v18, v11 op_sel_hi:[1,0,1]
	s_waitcnt lgkmcnt(4)
	v_pk_fma_f16 v12, v69, v47, v15 op_sel:[0,1,0]
	ds_load_b128 v[15:18], v29 offset:18976
	v_add_f32_e32 v19, v32, v62
	v_pk_fma_f16 v3, v69, v46, v3 op_sel_hi:[1,0,1]
	v_pk_fma_f16 v13, v69, v46, v13 op_sel:[0,1,0]
	v_pk_fma_f16 v32, v69, v47, v11 op_sel_hi:[1,0,1]
	v_pk_fma_f16 v46, v70, v49, v12 op_sel:[0,1,0]
	ds_load_2addr_b32 v[11:12], v73 offset0:192 offset1:224
	v_pk_fma_f16 v3, v70, v48, v3 op_sel_hi:[1,0,1]
	v_pk_fma_f16 v13, v70, v48, v13 op_sel:[0,1,0]
	v_pk_fma_f16 v32, v70, v49, v32 op_sel_hi:[1,0,1]
	s_waitcnt lgkmcnt(3)
	v_pk_fma_f16 v62, v56, v51, v46 op_sel:[0,1,0]
	ds_load_b128 v[46:49], v29 offset:18992
	v_pk_fma_f16 v3, v56, v50, v3 op_sel_hi:[1,0,1]
	v_pk_fma_f16 v13, v56, v50, v13 op_sel:[0,1,0]
	v_pk_fma_f16 v32, v56, v51, v32 op_sel_hi:[1,0,1]
	v_pk_fma_f16 v50, v57, v53, v62 op_sel:[0,1,0]
	v_add_f32_e32 v19, v31, v19
	v_pk_fma_f16 v3, v57, v52, v3 op_sel_hi:[1,0,1]
	v_pk_fma_f16 v13, v57, v52, v13 op_sel:[0,1,0]
	v_pk_fma_f16 v32, v57, v53, v32 op_sel_hi:[1,0,1]
	s_waitcnt lgkmcnt(2)
	v_pk_fma_f16 v56, v63, v16, v50 op_sel:[0,1,0]
	ds_load_b128 v[50:53], v29 offset:19008
	v_pk_fma_f16 v3, v63, v15, v3 op_sel_hi:[1,0,1]
	v_pk_fma_f16 v13, v63, v15, v13 op_sel:[0,1,0]
	v_pk_fma_f16 v15, v63, v16, v32 op_sel_hi:[1,0,1]
	v_pk_fma_f16 v16, v64, v18, v56 op_sel:[0,1,0]
	ds_load_2addr_b32 v[56:57], v74 offset0:64 offset1:96
	v_pk_fma_f16 v3, v64, v17, v3 op_sel_hi:[1,0,1]
	v_pk_fma_f16 v13, v64, v17, v13 op_sel:[0,1,0]
	v_pk_fma_f16 v32, v64, v18, v15 op_sel_hi:[1,0,1]
	ds_load_2addr_b32 v[62:63], v74 offset0:128 offset1:160
	s_waitcnt lgkmcnt(3)
	v_pk_fma_f16 v33, v11, v47, v16 op_sel:[0,1,0]
	ds_load_b128 v[15:18], v29 offset:19024
	v_pk_fma_f16 v3, v11, v46, v3 op_sel_hi:[1,0,1]
	v_pk_fma_f16 v13, v11, v46, v13 op_sel:[0,1,0]
	v_pk_fma_f16 v11, v11, v47, v32 op_sel_hi:[1,0,1]
	v_pk_fma_f16 v32, v12, v49, v33 op_sel:[0,1,0]
	v_add_f32_e32 v64, v34, v35
	v_pk_fma_f16 v3, v12, v48, v3 op_sel_hi:[1,0,1]
	v_pk_fma_f16 v13, v12, v48, v13 op_sel:[0,1,0]
	v_pk_fma_f16 v11, v12, v49, v11 op_sel_hi:[1,0,1]
	s_waitcnt lgkmcnt(3)
	v_pk_fma_f16 v12, v65, v51, v32 op_sel:[0,1,0]
	ds_load_b128 v[46:49], v29 offset:19040
	v_pk_fma_f16 v3, v65, v50, v3 op_sel_hi:[1,0,1]
	v_pk_fma_f16 v13, v65, v50, v13 op_sel:[0,1,0]
	v_pk_fma_f16 v32, v65, v51, v11 op_sel_hi:[1,0,1]
	v_pk_fma_f16 v33, v66, v53, v12 op_sel:[0,1,0]
	ds_load_2addr_b32 v[11:12], v74 offset0:192 offset1:224
	v_pk_fma_f16 v3, v66, v52, v3 op_sel_hi:[1,0,1]
	v_pk_fma_f16 v13, v66, v52, v13 op_sel:[0,1,0]
	v_pk_fma_f16 v50, v66, v53, v32 op_sel_hi:[1,0,1]
	v_add_f32_e32 v54, v30, v64
	s_waitcnt lgkmcnt(2)
	v_pk_fma_f16 v51, v56, v16, v33 op_sel:[0,1,0]
	ds_load_b128 v[32:35], v29 offset:19056
	v_pk_fma_f16 v3, v56, v15, v3 op_sel_hi:[1,0,1]
	v_pk_fma_f16 v13, v56, v15, v13 op_sel:[0,1,0]
	v_pk_fma_f16 v15, v56, v16, v50 op_sel_hi:[1,0,1]
	v_pk_fma_f16 v16, v57, v18, v51 op_sel:[0,1,0]
	ds_load_2addr_b32 v[50:51], v75 offset1:32
	v_pk_fma_f16 v3, v57, v17, v3 op_sel_hi:[1,0,1]
	v_pk_fma_f16 v13, v57, v17, v13 op_sel:[0,1,0]
	v_pk_fma_f16 v52, v57, v18, v15 op_sel_hi:[1,0,1]
	s_waitcnt lgkmcnt(3)
	v_pk_fma_f16 v53, v62, v47, v16 op_sel:[0,1,0]
	ds_load_b128 v[15:18], v29 offset:19072
	v_pk_fma_f16 v3, v62, v46, v3 op_sel_hi:[1,0,1]
	v_pk_fma_f16 v13, v62, v46, v13 op_sel:[0,1,0]
	v_pk_fma_f16 v31, v62, v47, v52 op_sel_hi:[1,0,1]
	v_pk_fma_f16 v46, v63, v49, v53 op_sel:[0,1,0]
	ds_load_2addr_b32 v[52:53], v75 offset0:64 offset1:96
	v_pk_fma_f16 v3, v63, v48, v3 op_sel_hi:[1,0,1]
	v_pk_fma_f16 v13, v63, v48, v13 op_sel:[0,1,0]
	v_pk_fma_f16 v31, v63, v49, v31 op_sel_hi:[1,0,1]
	v_add_f32_e32 v19, v55, v19
	s_waitcnt lgkmcnt(3)
	v_pk_fma_f16 v56, v11, v33, v46 op_sel:[0,1,0]
	ds_load_b128 v[46:49], v29 offset:19088
	v_pk_fma_f16 v3, v11, v32, v3 op_sel_hi:[1,0,1]
	v_pk_fma_f16 v13, v11, v32, v13 op_sel:[0,1,0]
	v_pk_fma_f16 v11, v11, v33, v31 op_sel_hi:[1,0,1]
	v_pk_fma_f16 v31, v12, v35, v56 op_sel:[0,1,0]
	ds_load_2addr_b32 v[56:57], v75 offset0:128 offset1:160
	v_pk_fma_f16 v3, v12, v34, v3 op_sel_hi:[1,0,1]
	v_pk_fma_f16 v13, v12, v34, v13 op_sel:[0,1,0]
	v_pk_fma_f16 v11, v12, v35, v11 op_sel_hi:[1,0,1]
	s_waitcnt lgkmcnt(3)
	v_pk_fma_f16 v12, v50, v16, v31 op_sel:[0,1,0]
	ds_load_b128 v[31:34], v29 offset:19104
	v_pk_fma_f16 v3, v50, v15, v3 op_sel_hi:[1,0,1]
	v_pk_fma_f16 v13, v50, v15, v13 op_sel:[0,1,0]
	v_pk_fma_f16 v15, v50, v16, v11 op_sel_hi:[1,0,1]
	v_pk_fma_f16 v16, v51, v18, v12 op_sel:[0,1,0]
	ds_load_2addr_b32 v[11:12], v75 offset0:192 offset1:224
	v_pk_fma_f16 v3, v51, v17, v3 op_sel_hi:[1,0,1]
	v_pk_fma_f16 v13, v51, v17, v13 op_sel:[0,1,0]
	v_pk_fma_f16 v35, v51, v18, v15 op_sel_hi:[1,0,1]
	v_fmac_f32_e32 v54, v60, v1
	s_waitcnt lgkmcnt(3)
	v_pk_fma_f16 v50, v52, v47, v16 op_sel:[0,1,0]
	ds_load_b128 v[15:18], v29 offset:19120
	v_pk_fma_f16 v3, v52, v46, v3 op_sel_hi:[1,0,1]
	v_pk_fma_f16 v13, v52, v46, v13 op_sel:[0,1,0]
	v_pk_fma_f16 v35, v52, v47, v35 op_sel_hi:[1,0,1]
	v_pk_fma_f16 v46, v53, v49, v50 op_sel:[0,1,0]
	ds_load_2addr_b32 v[50:51], v76 offset1:32
	v_pk_fma_f16 v3, v53, v48, v3 op_sel_hi:[1,0,1]
	v_pk_fma_f16 v13, v53, v48, v13 op_sel:[0,1,0]
	v_pk_fma_f16 v35, v53, v49, v35 op_sel_hi:[1,0,1]
	s_waitcnt lgkmcnt(3)
	v_pk_fma_f16 v52, v56, v32, v46 op_sel:[0,1,0]
	ds_load_b128 v[46:49], v29 offset:19136
	v_pk_fma_f16 v3, v56, v31, v3 op_sel_hi:[1,0,1]
	v_pk_fma_f16 v13, v56, v31, v13 op_sel:[0,1,0]
	v_pk_fma_f16 v30, v56, v32, v35 op_sel_hi:[1,0,1]
	v_pk_fma_f16 v31, v57, v34, v52 op_sel:[0,1,0]
	ds_load_2addr_b32 v[52:53], v76 offset0:64 offset1:96
	v_pk_fma_f16 v3, v57, v33, v3 op_sel_hi:[1,0,1]
	v_pk_fma_f16 v13, v57, v33, v13 op_sel:[0,1,0]
	v_pk_fma_f16 v34, v57, v34, v30 op_sel_hi:[1,0,1]
	v_fmac_f32_e32 v19, v61, v0
	s_waitcnt lgkmcnt(3)
	v_pk_fma_f16 v35, v11, v16, v31 op_sel:[0,1,0]
	ds_load_b128 v[30:33], v29 offset:19152
	v_pk_fma_f16 v3, v11, v15, v3 op_sel_hi:[1,0,1]
	v_pk_fma_f16 v13, v11, v15, v13 op_sel:[0,1,0]
	v_pk_fma_f16 v11, v11, v16, v34 op_sel_hi:[1,0,1]
	v_pk_fma_f16 v15, v12, v18, v35 op_sel:[0,1,0]
	ds_load_2addr_b32 v[34:35], v76 offset0:128 offset1:160
	v_pk_fma_f16 v3, v12, v17, v3 op_sel_hi:[1,0,1]
	v_pk_fma_f16 v13, v12, v17, v13 op_sel:[0,1,0]
	v_pk_fma_f16 v11, v12, v18, v11 op_sel_hi:[1,0,1]
	s_waitcnt lgkmcnt(3)
	v_pk_fma_f16 v12, v50, v47, v15 op_sel:[0,1,0]
	ds_load_b128 v[15:18], v29 offset:19168
	v_pk_fma_f16 v3, v50, v46, v3 op_sel_hi:[1,0,1]
	v_pk_fma_f16 v13, v50, v46, v13 op_sel:[0,1,0]
	v_pk_fma_f16 v46, v50, v47, v11 op_sel_hi:[1,0,1]
	v_pk_fma_f16 v47, v51, v49, v12 op_sel:[0,1,0]
	ds_load_2addr_b32 v[11:12], v76 offset0:192 offset1:224
	v_pk_fma_f16 v3, v51, v48, v3 op_sel_hi:[1,0,1]
	v_pk_fma_f16 v13, v51, v48, v13 op_sel:[0,1,0]
	v_pk_fma_f16 v50, v51, v49, v46 op_sel_hi:[1,0,1]
	v_mov_b32_e32 v61, v19
	s_waitcnt lgkmcnt(3)
	v_pk_fma_f16 v51, v52, v31, v47 op_sel:[0,1,0]
	ds_load_b128 v[46:49], v29 offset:19184
	v_pk_fma_f16 v3, v52, v30, v3 op_sel_hi:[1,0,1]
	v_pk_fma_f16 v13, v52, v30, v13 op_sel:[0,1,0]
	v_pk_fma_f16 v30, v52, v31, v50 op_sel_hi:[1,0,1]
	v_pk_fma_f16 v31, v53, v33, v51 op_sel:[0,1,0]
	ds_load_2addr_b32 v[50:51], v77 offset1:32
	v_pk_fma_f16 v3, v53, v32, v3 op_sel_hi:[1,0,1]
	v_pk_fma_f16 v13, v53, v32, v13 op_sel:[0,1,0]
	v_pk_fma_f16 v52, v53, v33, v30 op_sel_hi:[1,0,1]
	s_waitcnt lgkmcnt(3)
	v_pk_fma_f16 v53, v34, v16, v31 op_sel:[0,1,0]
	ds_load_b128 v[30:33], v29 offset:19200
	v_pk_fma_f16 v55, v34, v15, v3 op_sel_hi:[1,0,1]
	v_pk_fma_f16 v13, v34, v15, v13 op_sel:[0,1,0]
	v_pk_fma_f16 v15, v34, v16, v52 op_sel_hi:[1,0,1]
	v_pk_fma_f16 v16, v35, v18, v53 op_sel:[0,1,0]
	ds_load_2addr_b32 v[2:3], v77 offset0:64 offset1:96
	v_pk_fma_f16 v34, v35, v17, v55 op_sel_hi:[1,0,1]
	v_pk_fma_f16 v13, v35, v17, v13 op_sel:[0,1,0]
	v_pk_fma_f16 v35, v35, v18, v15 op_sel_hi:[1,0,1]
	v_mov_b32_e32 v60, v54
	s_waitcnt lgkmcnt(3)
	v_pk_fma_f16 v52, v11, v47, v16 op_sel:[0,1,0]
	ds_load_b128 v[15:18], v29 offset:19216
	v_pk_fma_f16 v53, v11, v46, v34 op_sel_hi:[1,0,1]
	v_pk_fma_f16 v13, v11, v46, v13 op_sel:[0,1,0]
	v_pk_fma_f16 v11, v11, v47, v35 op_sel_hi:[1,0,1]
	v_pk_fma_f16 v46, v12, v49, v52 op_sel:[0,1,0]
	ds_load_2addr_b32 v[34:35], v77 offset0:128 offset1:160
	v_pk_fma_f16 v52, v12, v48, v53 op_sel_hi:[1,0,1]
	v_pk_fma_f16 v13, v12, v48, v13 op_sel:[0,1,0]
	v_pk_fma_f16 v11, v12, v49, v11 op_sel_hi:[1,0,1]
	s_waitcnt lgkmcnt(3)
	v_pk_fma_f16 v12, v50, v31, v46 op_sel:[0,1,0]
	ds_load_b128 v[46:49], v29 offset:19232
	v_pk_fma_f16 v1, v50, v30, v52 op_sel_hi:[1,0,1]
	v_pk_fma_f16 v13, v50, v30, v13 op_sel:[0,1,0]
	v_pk_fma_f16 v30, v50, v31, v11 op_sel_hi:[1,0,1]
	v_pk_fma_f16 v31, v51, v33, v12 op_sel:[0,1,0]
	ds_load_2addr_b32 v[11:12], v77 offset0:192 offset1:224
	v_pk_fma_f16 v1, v51, v32, v1 op_sel_hi:[1,0,1]
	v_pk_fma_f16 v13, v51, v32, v13 op_sel:[0,1,0]
	v_pk_fma_f16 v50, v51, v33, v30 op_sel_hi:[1,0,1]
	ds_load_2addr_b32 v[52:53], v72 offset1:32
	s_waitcnt lgkmcnt(4)
	v_pk_fma_f16 v51, v2, v16, v31 op_sel:[0,1,0]
	ds_load_b128 v[30:33], v29 offset:19248
	v_pk_fma_f16 v1, v2, v15, v1 op_sel_hi:[1,0,1]
	v_pk_fma_f16 v13, v2, v15, v13 op_sel:[0,1,0]
	v_pk_fma_f16 v2, v2, v16, v50 op_sel_hi:[1,0,1]
	v_pk_fma_f16 v15, v3, v18, v51 op_sel:[0,1,0]
	ds_load_2addr_b32 v[50:51], v71 offset1:32
	v_pk_fma_f16 v1, v3, v17, v1 op_sel_hi:[1,0,1]
	v_pk_fma_f16 v13, v3, v17, v13 op_sel:[0,1,0]
	v_pk_fma_f16 v2, v3, v18, v2 op_sel_hi:[1,0,1]
	s_waitcnt lgkmcnt(4)
	v_pk_fma_f16 v3, v34, v47, v15 op_sel:[0,1,0]
	ds_load_b128 v[15:18], v29 offset:19264
	v_pk_fma_f16 v0, v34, v46, v1 op_sel_hi:[1,0,1]
	v_pk_fma_f16 v1, v34, v46, v13 op_sel:[0,1,0]
	v_pk_fma_f16 v2, v34, v47, v2 op_sel_hi:[1,0,1]
	v_pk_fma_f16 v3, v35, v49, v3 op_sel:[0,1,0]
	ds_load_2addr_b32 v[46:47], v71 offset0:64 offset1:96
	v_pk_fma_f16 v13, v35, v48, v0 op_sel_hi:[1,0,1]
	v_pk_fma_f16 v34, v35, v48, v1 op_sel:[0,1,0]
	v_pk_fma_f16 v35, v35, v49, v2 op_sel_hi:[1,0,1]
	s_waitcnt lgkmcnt(3)
	v_pk_fma_f16 v48, v11, v31, v3 op_sel:[0,1,0]
	ds_load_b128 v[0:3], v29 offset:19280
	v_pk_fma_f16 v13, v11, v30, v13 op_sel_hi:[1,0,1]
	v_pk_fma_f16 v30, v11, v30, v34 op_sel:[0,1,0]
	v_pk_fma_f16 v11, v11, v31, v35 op_sel_hi:[1,0,1]
	v_pk_fma_f16 v31, v12, v33, v48 op_sel:[0,1,0]
	ds_load_2addr_b32 v[34:35], v71 offset0:128 offset1:160
	;; [unrolled: 11-line block ×3, first 2 shown]
	v_pk_fma_f16 v13, v51, v17, v13 op_sel_hi:[1,0,1]
	v_pk_fma_f16 v48, v51, v17, v15 op_sel:[0,1,0]
	v_pk_fma_f16 v49, v51, v18, v16 op_sel_hi:[1,0,1]
	ds_load_b128 v[15:18], v29 offset:19312
	s_waitcnt lgkmcnt(4)
	v_pk_fma_f16 v19, v46, v1, v19 op_sel:[0,1,0]
	v_pk_fma_f16 v13, v46, v0, v13 op_sel_hi:[1,0,1]
	v_pk_fma_f16 v0, v46, v0, v48 op_sel:[0,1,0]
	v_pk_fma_f16 v1, v46, v1, v49 op_sel_hi:[1,0,1]
	ds_load_2addr_b32 v[48:49], v78 offset1:32
	v_pk_fma_f16 v19, v47, v3, v19 op_sel:[0,1,0]
	v_pk_fma_f16 v13, v47, v2, v13 op_sel_hi:[1,0,1]
	v_pk_fma_f16 v46, v47, v2, v0 op_sel:[0,1,0]
	v_pk_fma_f16 v47, v47, v3, v1 op_sel_hi:[1,0,1]
	ds_load_b128 v[0:3], v29 offset:19328
	s_waitcnt lgkmcnt(4)
	v_pk_fma_f16 v19, v34, v31, v19 op_sel:[0,1,0]
	v_pk_fma_f16 v13, v34, v30, v13 op_sel_hi:[1,0,1]
	v_pk_fma_f16 v30, v34, v30, v46 op_sel:[0,1,0]
	v_pk_fma_f16 v31, v34, v31, v47 op_sel_hi:[1,0,1]
	ds_load_2addr_b32 v[50:51], v78 offset0:64 offset1:96
	v_pk_fma_f16 v19, v35, v33, v19 op_sel:[0,1,0]
	v_pk_fma_f16 v13, v35, v32, v13 op_sel_hi:[1,0,1]
	v_pk_fma_f16 v34, v35, v32, v30 op_sel:[0,1,0]
	v_pk_fma_f16 v35, v35, v33, v31 op_sel_hi:[1,0,1]
	ds_load_b128 v[30:33], v29 offset:19344
	s_waitcnt lgkmcnt(4)
	v_pk_fma_f16 v19, v11, v16, v19 op_sel:[0,1,0]
	v_pk_fma_f16 v13, v11, v15, v13 op_sel_hi:[1,0,1]
	v_pk_fma_f16 v15, v11, v15, v34 op_sel:[0,1,0]
	v_pk_fma_f16 v11, v11, v16, v35 op_sel_hi:[1,0,1]
	ds_load_2addr_b32 v[34:35], v78 offset0:128 offset1:160
	v_pk_fma_f16 v16, v12, v18, v19 op_sel:[0,1,0]
	v_pk_fma_f16 v13, v12, v17, v13 op_sel_hi:[1,0,1]
	v_pk_fma_f16 v19, v12, v17, v15 op_sel:[0,1,0]
	v_pk_fma_f16 v11, v12, v18, v11 op_sel_hi:[1,0,1]
	s_waitcnt lgkmcnt(3)
	v_pk_fma_f16 v12, v48, v1, v16 op_sel:[0,1,0]
	ds_load_b128 v[15:18], v29 offset:19360
	v_pk_fma_f16 v8, v48, v0, v13 op_sel_hi:[1,0,1]
	v_pk_fma_f16 v0, v48, v0, v19 op_sel:[0,1,0]
	v_pk_fma_f16 v1, v48, v1, v11 op_sel_hi:[1,0,1]
	v_pk_fma_f16 v13, v49, v3, v12 op_sel:[0,1,0]
	ds_load_2addr_b32 v[11:12], v78 offset0:192 offset1:224
	v_pk_fma_f16 v8, v49, v2, v8 op_sel_hi:[1,0,1]
	v_pk_fma_f16 v0, v49, v2, v0 op_sel:[0,1,0]
	v_pk_fma_f16 v1, v49, v3, v1 op_sel_hi:[1,0,1]
	ds_load_b128 v[46:49], v29 offset:19376
	s_waitcnt lgkmcnt(4)
	v_pk_fma_f16 v2, v50, v31, v13 op_sel:[0,1,0]
	v_pk_fma_f16 v3, v50, v30, v8 op_sel_hi:[1,0,1]
	v_pk_fma_f16 v0, v50, v30, v0 op_sel:[0,1,0]
	v_pk_fma_f16 v1, v50, v31, v1 op_sel_hi:[1,0,1]
	s_delay_alu instid0(VALU_DEP_4) | instskip(NEXT) | instid1(VALU_DEP_4)
	v_pk_fma_f16 v2, v51, v33, v2 op_sel:[0,1,0]
	v_pk_fma_f16 v8, v51, v32, v3 op_sel_hi:[1,0,1]
	s_delay_alu instid0(VALU_DEP_4) | instskip(NEXT) | instid1(VALU_DEP_4)
	v_pk_fma_f16 v13, v51, v32, v0 op_sel:[0,1,0]
	v_pk_fma_f16 v19, v51, v33, v1 op_sel_hi:[1,0,1]
	ds_load_b128 v[30:33], v29 offset:19392
	s_waitcnt lgkmcnt(3)
	v_pk_fma_f16 v50, v34, v16, v2 op_sel:[0,1,0]
	v_dual_mov_b32 v0, v4 :: v_dual_mov_b32 v1, v5
	v_dual_mov_b32 v2, v6 :: v_dual_mov_b32 v3, v7
	v_pk_fma_f16 v4, v34, v15, v8 op_sel_hi:[1,0,1]
	v_pk_fma_f16 v5, v34, v15, v13 op_sel:[0,1,0]
	v_pk_fma_f16 v6, v34, v16, v19 op_sel_hi:[1,0,1]
	v_pk_fma_f16 v7, v35, v18, v50 op_sel:[0,1,0]
	ds_load_2addr_b32 v[50:51], v72 offset0:64 offset1:96
	v_pk_fma_f16 v8, v35, v17, v4 op_sel_hi:[1,0,1]
	v_pk_fma_f16 v13, v35, v17, v5 op_sel:[0,1,0]
	v_pk_fma_f16 v15, v35, v18, v6 op_sel_hi:[1,0,1]
	s_waitcnt lgkmcnt(2)
	v_pk_fma_f16 v16, v11, v47, v7 op_sel:[0,1,0]
	ds_load_b128 v[4:7], v29 offset:19408
	v_pk_fma_f16 v8, v11, v46, v8 op_sel_hi:[1,0,1]
	v_pk_fma_f16 v13, v11, v46, v13 op_sel:[0,1,0]
	v_pk_fma_f16 v11, v11, v47, v15 op_sel_hi:[1,0,1]
	v_pk_fma_f16 v15, v12, v49, v16 op_sel:[0,1,0]
	ds_load_2addr_b32 v[34:35], v72 offset0:128 offset1:160
	v_pk_fma_f16 v8, v12, v48, v8 op_sel_hi:[1,0,1]
	v_pk_fma_f16 v13, v12, v48, v13 op_sel:[0,1,0]
	v_pk_fma_f16 v11, v12, v49, v11 op_sel_hi:[1,0,1]
	s_waitcnt lgkmcnt(3)
	v_pk_fma_f16 v19, v52, v31, v15 op_sel:[0,1,0]
	ds_load_b128 v[15:18], v29 offset:19424
	v_pk_fma_f16 v8, v52, v30, v8 op_sel_hi:[1,0,1]
	v_pk_fma_f16 v13, v52, v30, v13 op_sel:[0,1,0]
	v_pk_fma_f16 v30, v52, v31, v11 op_sel_hi:[1,0,1]
	v_pk_fma_f16 v19, v53, v33, v19 op_sel:[0,1,0]
	ds_load_2addr_b32 v[11:12], v72 offset0:192 offset1:224
	v_pk_fma_f16 v8, v53, v32, v8 op_sel_hi:[1,0,1]
	v_pk_fma_f16 v13, v53, v32, v13 op_sel:[0,1,0]
	v_pk_fma_f16 v33, v53, v33, v30 op_sel_hi:[1,0,1]
	ds_load_b128 v[29:32], v29 offset:19440
	s_waitcnt lgkmcnt(4)
	v_pk_fma_f16 v19, v50, v5, v19 op_sel:[0,1,0]
	v_pk_fma_f16 v8, v50, v4, v8 op_sel_hi:[1,0,1]
	v_pk_fma_f16 v4, v50, v4, v13 op_sel:[0,1,0]
	v_pk_fma_f16 v5, v50, v5, v33 op_sel_hi:[1,0,1]
	v_add_f32_e32 v13, v27, v28
	v_pk_fma_f16 v19, v51, v7, v19 op_sel:[0,1,0]
	v_pk_fma_f16 v8, v51, v6, v8 op_sel_hi:[1,0,1]
	v_pk_fma_f16 v4, v51, v6, v4 op_sel:[0,1,0]
	v_pk_fma_f16 v5, v51, v7, v5 op_sel_hi:[1,0,1]
	v_add_f32_e32 v6, v20, v13
	s_waitcnt lgkmcnt(2)
	v_pk_fma_f16 v7, v34, v16, v19 op_sel:[0,1,0]
	v_pk_fma_f16 v8, v34, v15, v8 op_sel_hi:[1,0,1]
	v_pk_fma_f16 v4, v34, v15, v4 op_sel:[0,1,0]
	v_pk_fma_f16 v5, v34, v16, v5 op_sel_hi:[1,0,1]
	v_add_f32_e32 v6, v9, v6
	v_pk_fma_f16 v7, v35, v18, v7 op_sel:[0,1,0]
	v_pk_fma_f16 v8, v35, v17, v8 op_sel_hi:[1,0,1]
	v_pk_fma_f16 v4, v35, v17, v4 op_sel:[0,1,0]
	v_pk_fma_f16 v5, v35, v18, v5 op_sel_hi:[1,0,1]
	v_fmac_f32_e32 v6, v58, v10
	s_waitcnt lgkmcnt(0)
	v_pk_fma_f16 v7, v11, v30, v7 op_sel:[0,1,0]
	v_pk_fma_f16 v8, v11, v29, v8 op_sel_hi:[1,0,1]
	v_pk_fma_f16 v4, v11, v29, v4 op_sel:[0,1,0]
	v_pk_fma_f16 v5, v11, v30, v5 op_sel_hi:[1,0,1]
	v_mov_b32_e32 v58, v6
	v_pk_fma_f16 v48, v12, v32, v7 op_sel:[0,1,0]
	v_pk_fma_f16 v52, v12, v31, v8 op_sel_hi:[1,0,1]
	v_pk_fma_f16 v51, v12, v31, v4 op_sel:[0,1,0]
	v_pk_fma_f16 v49, v12, v32, v5 op_sel_hi:[1,0,1]
	v_mov_b32_e32 v4, v45
	s_barrier
	buffer_gl0_inv
.LBB59_128:
	v_cmp_lt_i32_e32 vcc_lo, v26, v25
	s_cmp_eq_u64 s[24:25], 0
	s_cselect_b32 s2, -1, 0
	s_cmp_lg_u32 s14, 0
	v_cndmask_b32_e32 v5, v4, v26, vcc_lo
	v_cmp_lt_i32_e32 vcc_lo, v24, v25
	s_cselect_b32 s3, -1, 0
	s_delay_alu instid0(SALU_CYCLE_1) | instskip(NEXT) | instid1(VALU_DEP_2)
	s_or_b32 s2, s3, s2
	v_lshlrev_b32_e32 v5, 2, v5
	ds_bpermute_b32 v6, v5, v59
	s_waitcnt lgkmcnt(0)
	v_add_f32_e32 v6, v59, v6
	ds_bpermute_b32 v8, v5, v61
	v_cndmask_b32_e32 v9, v4, v24, vcc_lo
	ds_bpermute_b32 v7, v5, v60
	ds_bpermute_b32 v5, v5, v58
	v_cmp_lt_i32_e32 vcc_lo, v23, v25
	v_cndmask_b32_e32 v13, v4, v23, vcc_lo
	v_cmp_lt_i32_e32 vcc_lo, v22, v25
	s_waitcnt lgkmcnt(2)
	s_delay_alu instid0(VALU_DEP_2)
	v_dual_add_f32 v8, v61, v8 :: v_dual_lshlrev_b32 v13, 2, v13
	v_lshlrev_b32_e32 v9, 2, v9
	ds_bpermute_b32 v12, v9, v8
	s_waitcnt lgkmcnt(0)
	v_add_f32_e32 v8, v8, v12
	ds_bpermute_b32 v10, v9, v6
	v_add_f32_e32 v5, v58, v5
	s_waitcnt lgkmcnt(0)
	v_dual_add_f32 v6, v6, v10 :: v_dual_add_f32 v7, v60, v7
	ds_bpermute_b32 v11, v9, v7
	ds_bpermute_b32 v9, v9, v5
	s_waitcnt lgkmcnt(0)
	v_add_f32_e32 v5, v5, v9
	ds_bpermute_b32 v9, v13, v6
	ds_bpermute_b32 v12, v13, v5
	s_waitcnt lgkmcnt(1)
	v_dual_add_f32 v6, v6, v9 :: v_dual_add_f32 v7, v7, v11
	ds_bpermute_b32 v11, v13, v8
	s_waitcnt lgkmcnt(1)
	v_add_f32_e32 v5, v5, v12
	ds_bpermute_b32 v10, v13, v7
	v_cndmask_b32_e32 v13, v4, v22, vcc_lo
	v_cmp_lt_i32_e32 vcc_lo, v21, v25
	s_delay_alu instid0(VALU_DEP_2)
	v_lshlrev_b32_e32 v13, 2, v13
	v_cndmask_b32_e32 v4, v4, v21, vcc_lo
	s_and_b32 vcc_lo, exec_lo, s2
	ds_bpermute_b32 v9, v13, v6
	ds_bpermute_b32 v12, v13, v5
	v_lshlrev_b32_e32 v4, 2, v4
	s_waitcnt lgkmcnt(3)
	v_add_f32_e32 v8, v8, v11
	ds_bpermute_b32 v11, v13, v8
	s_waitcnt lgkmcnt(1)
	v_dual_add_f32 v6, v6, v9 :: v_dual_add_f32 v9, v5, v12
	ds_bpermute_b32 v5, v4, v6
	v_add_f32_e32 v7, v7, v10
	ds_bpermute_b32 v12, v4, v9
	s_waitcnt lgkmcnt(2)
	v_add_f32_e32 v8, v8, v11
	ds_bpermute_b32 v10, v13, v7
	ds_bpermute_b32 v11, v4, v8
	s_waitcnt lgkmcnt(1)
	v_add_f32_e32 v7, v7, v10
	ds_bpermute_b32 v10, v4, v7
	v_add_f32_e32 v4, v6, v5
	s_waitcnt lgkmcnt(0)
	v_dual_add_f32 v6, v8, v11 :: v_dual_add_f32 v5, v7, v10
	v_add_f32_e32 v7, v9, v12
	s_cbranch_vccnz .LBB59_131
; %bb.129:
	s_lshl_b64 s[2:3], s[34:35], 2
	v_dual_mov_b32 v8, 0 :: v_dual_max_f32 v9, v0, v0
	s_add_u32 s2, s24, s2
	s_addc_u32 s3, s25, s3
	v_dual_max_f32 v12, v2, v2 :: v_dual_max_f32 v13, v3, v3
	global_load_b32 v8, v8, s[2:3]
	s_waitcnt vmcnt(0)
	v_dual_max_f32 v11, v1, v1 :: v_dual_max_f32 v10, v8, v8
	s_delay_alu instid0(VALU_DEP_1) | instskip(SKIP_3) | instid1(VALU_DEP_4)
	v_max_f32_e32 v16, v11, v10
	v_max_f32_e32 v15, v9, v10
	;; [unrolled: 1-line block ×4, first 2 shown]
	v_sub_f32_e32 v10, v8, v16
	s_delay_alu instid0(VALU_DEP_4) | instskip(NEXT) | instid1(VALU_DEP_4)
	v_sub_f32_e32 v9, v8, v15
	v_sub_f32_e32 v11, v8, v17
	v_dual_sub_f32 v0, v0, v15 :: v_dual_sub_f32 v1, v1, v16
	v_sub_f32_e32 v3, v3, v18
	s_delay_alu instid0(VALU_DEP_4) | instskip(NEXT) | instid1(VALU_DEP_3)
	v_dual_sub_f32 v12, v8, v18 :: v_dual_mul_f32 v13, 0x3fb8aa3b, v9
	v_mul_f32_e32 v8, 0x3fb8aa3b, v0
	v_sub_f32_e32 v2, v2, v17
	v_dual_mul_f32 v19, 0x3fb8aa3b, v1 :: v_dual_mul_f32 v20, 0x3fb8aa3b, v10
	s_delay_alu instid0(VALU_DEP_4) | instskip(NEXT) | instid1(VALU_DEP_3)
	v_dual_mul_f32 v23, 0x3fb8aa3b, v3 :: v_dual_mul_f32 v24, 0x3fb8aa3b, v12
	v_dual_mul_f32 v21, 0x3fb8aa3b, v2 :: v_dual_mul_f32 v22, 0x3fb8aa3b, v11
	v_fma_f32 v27, 0x3fb8aa3b, v9, -v13
	s_delay_alu instid0(VALU_DEP_4) | instskip(SKIP_1) | instid1(VALU_DEP_4)
	v_fma_f32 v31, 0x3fb8aa3b, v10, -v20
	v_rndne_f32_e32 v32, v20
	v_rndne_f32_e32 v34, v21
	;; [unrolled: 1-line block ×3, first 2 shown]
	v_fmac_f32_e32 v27, 0x32a5705f, v9
	s_delay_alu instid0(VALU_DEP_4)
	v_dual_fmac_f32 v31, 0x32a5705f, v10 :: v_dual_sub_f32 v20, v20, v32
	v_fma_f32 v25, 0x3fb8aa3b, v0, -v8
	v_rndne_f32_e32 v26, v8
	v_fma_f32 v33, 0x3fb8aa3b, v2, -v21
	v_fma_f32 v50, 0x3fb8aa3b, v12, -v24
	v_dual_sub_f32 v24, v24, v53 :: v_dual_sub_f32 v21, v21, v34
	v_add_f32_e32 v20, v20, v31
	v_rndne_f32_e32 v28, v13
	v_fma_f32 v29, 0x3fb8aa3b, v1, -v19
	v_rndne_f32_e32 v30, v19
	v_fma_f32 v35, 0x3fb8aa3b, v11, -v22
	v_rndne_f32_e32 v45, v22
	v_dual_fmac_f32 v25, 0x32a5705f, v0 :: v_dual_sub_f32 v8, v8, v26
	v_exp_f32_e32 v20, v20
	v_fma_f32 v46, 0x3fb8aa3b, v3, -v23
	s_delay_alu instid0(VALU_DEP_3) | instskip(SKIP_4) | instid1(VALU_DEP_3)
	v_dual_sub_f32 v13, v13, v28 :: v_dual_sub_f32 v22, v22, v45
	v_fmac_f32_e32 v29, 0x32a5705f, v1
	v_dual_sub_f32 v19, v19, v30 :: v_dual_fmac_f32 v50, 0x32a5705f, v12
	v_cvt_i32_f32_e32 v32, v32
	v_dual_fmac_f32 v33, 0x32a5705f, v2 :: v_dual_add_f32 v8, v8, v25
	v_dual_fmac_f32 v35, 0x32a5705f, v11 :: v_dual_add_f32 v24, v24, v50
	s_delay_alu instid0(VALU_DEP_4) | instskip(NEXT) | instid1(VALU_DEP_3)
	v_dual_fmac_f32 v46, 0x32a5705f, v3 :: v_dual_add_f32 v19, v19, v29
	v_exp_f32_e32 v8, v8
	s_delay_alu instid0(VALU_DEP_2)
	v_add_f32_e32 v22, v22, v35
	v_ldexp_f32 v20, v20, v32
	v_add_f32_e32 v13, v13, v27
	v_cvt_i32_f32_e32 v26, v26
	v_rndne_f32_e32 v47, v23
	v_exp_f32_e32 v22, v22
	v_cvt_i32_f32_e32 v28, v28
	v_exp_f32_e32 v13, v13
	v_cvt_i32_f32_e32 v45, v45
	v_exp_f32_e32 v19, v19
	v_ldexp_f32 v8, v8, v26
	v_cmp_ngt_f32_e32 vcc_lo, 0xc2ce8ed0, v0
	v_cvt_i32_f32_e32 v30, v30
	v_sub_f32_e32 v23, v23, v47
	v_exp_f32_e32 v24, v24
	v_ldexp_f32 v22, v22, v45
	v_dual_cndmask_b32 v8, 0, v8 :: v_dual_add_f32 v21, v21, v33
	v_ldexp_f32 v13, v13, v28
	v_cmp_ngt_f32_e32 vcc_lo, 0xc2ce8ed0, v9
	v_cvt_i32_f32_e32 v27, v53
	v_ldexp_f32 v19, v19, v30
	v_exp_f32_e32 v21, v21
	v_cvt_i32_f32_e32 v34, v34
	v_cndmask_b32_e32 v13, 0, v13, vcc_lo
	v_cmp_ngt_f32_e32 vcc_lo, 0xc2ce8ed0, v1
	v_ldexp_f32 v24, v24, v27
	v_add_f32_e32 v23, v23, v46
	v_cvt_i32_f32_e32 v25, v47
	v_cndmask_b32_e32 v19, 0, v19, vcc_lo
	v_cmp_ngt_f32_e32 vcc_lo, 0xc2ce8ed0, v10
	s_delay_alu instid0(VALU_DEP_4) | instskip(SKIP_3) | instid1(VALU_DEP_3)
	v_exp_f32_e32 v23, v23
	v_ldexp_f32 v21, v21, v34
	v_cndmask_b32_e32 v20, 0, v20, vcc_lo
	v_cmp_ngt_f32_e32 vcc_lo, 0xc2ce8ed0, v2
	v_cndmask_b32_e32 v21, 0, v21, vcc_lo
	v_cmp_ngt_f32_e32 vcc_lo, 0xc2ce8ed0, v11
	s_waitcnt_depctr 0xfff
	v_ldexp_f32 v23, v23, v25
	v_cndmask_b32_e32 v22, 0, v22, vcc_lo
	v_cmp_ngt_f32_e32 vcc_lo, 0xc2ce8ed0, v3
	s_delay_alu instid0(VALU_DEP_3)
	v_cndmask_b32_e32 v23, 0, v23, vcc_lo
	v_cmp_ngt_f32_e32 vcc_lo, 0xc2ce8ed0, v12
	v_cndmask_b32_e32 v24, 0, v24, vcc_lo
	v_cmp_nlt_f32_e32 vcc_lo, 0x42b17218, v0
	v_cndmask_b32_e32 v0, 0x7f800000, v8, vcc_lo
	v_cmp_nlt_f32_e32 vcc_lo, 0x42b17218, v9
	;; [unrolled: 2-line block ×5, first 2 shown]
	s_delay_alu instid0(VALU_DEP_2)
	v_fmac_f32_e32 v9, v5, v1
	v_cndmask_b32_e32 v2, 0x7f800000, v21, vcc_lo
	v_cmp_nlt_f32_e32 vcc_lo, 0x42b17218, v11
	v_cvt_f16_f32_e32 v1, v1
	v_cndmask_b32_e32 v10, 0x7f800000, v22, vcc_lo
	v_cmp_nlt_f32_e32 vcc_lo, 0x42b17218, v3
	s_delay_alu instid0(VALU_DEP_3) | instskip(NEXT) | instid1(VALU_DEP_3)
	v_pk_mul_f16 v51, v51, v1 op_sel_hi:[1,0]
	v_dual_fmac_f32 v10, v6, v2 :: v_dual_cndmask_b32 v3, 0x7f800000, v23
	v_cmp_nlt_f32_e32 vcc_lo, 0x42b17218, v12
	v_cndmask_b32_e32 v11, 0x7f800000, v24, vcc_lo
	s_delay_alu instid0(VALU_DEP_1) | instskip(SKIP_2) | instid1(VALU_DEP_2)
	v_dual_fmac_f32 v11, v7, v3 :: v_dual_fmac_f32 v8, v4, v0
	v_cvt_f16_f32_e32 v4, v3
	v_cvt_f16_f32_e32 v0, v0
	v_pk_mul_f16 v48, v48, v4 op_sel_hi:[1,0]
	s_delay_alu instid0(VALU_DEP_4) | instskip(SKIP_1) | instid1(VALU_DEP_4)
	v_dual_mov_b32 v4, v8 :: v_dual_mov_b32 v5, v9
	v_cvt_f16_f32_e32 v2, v2
	v_pk_mul_f16 v52, v52, v0 op_sel_hi:[1,0]
	v_dual_mov_b32 v6, v10 :: v_dual_mov_b32 v7, v11
	s_delay_alu instid0(VALU_DEP_3)
	v_pk_mul_f16 v49, v49, v2 op_sel_hi:[1,0]
	v_dual_mov_b32 v0, v15 :: v_dual_mov_b32 v1, v16
	v_dual_mov_b32 v2, v17 :: v_dual_mov_b32 v3, v18
	s_mov_b32 s2, exec_lo
	v_cmpx_gt_i32_e64 s38, v43
	s_cbranch_execnz .LBB59_132
.LBB59_130:
	s_nop 0
	s_sendmsg sendmsg(MSG_DEALLOC_VGPRS)
	s_endpgm
.LBB59_131:
	s_delay_alu instid0(VALU_DEP_2) | instskip(NEXT) | instid1(VALU_DEP_2)
	v_dual_mov_b32 v8, v4 :: v_dual_mov_b32 v9, v5
	v_dual_mov_b32 v10, v6 :: v_dual_mov_b32 v11, v7
	s_mov_b32 s2, exec_lo
	v_cmpx_gt_i32_e64 s38, v43
	s_cbranch_execz .LBB59_130
.LBB59_132:
	s_load_b32 s1, s[0:1], 0xd4
	v_mov_b32_e32 v15, 1.0
	s_waitcnt lgkmcnt(0)
	s_cmp_lg_u32 s1, 1
	s_cselect_b32 s4, -1, 0
	s_cmp_eq_u32 s1, 1
	s_cselect_b32 s3, -1, 0
	s_and_b32 vcc_lo, exec_lo, s4
	s_cbranch_vccnz .LBB59_134
; %bb.133:
	v_div_scale_f32 v12, null, v8, v8, 1.0
	s_delay_alu instid0(VALU_DEP_1) | instskip(SKIP_2) | instid1(VALU_DEP_1)
	v_rcp_f32_e32 v13, v12
	s_waitcnt_depctr 0xfff
	v_fma_f32 v15, -v12, v13, 1.0
	v_fmac_f32_e32 v13, v15, v13
	v_div_scale_f32 v15, vcc_lo, 1.0, v8, 1.0
	s_delay_alu instid0(VALU_DEP_1) | instskip(NEXT) | instid1(VALU_DEP_1)
	v_mul_f32_e32 v16, v15, v13
	v_fma_f32 v17, -v12, v16, v15
	s_delay_alu instid0(VALU_DEP_1) | instskip(NEXT) | instid1(VALU_DEP_1)
	v_fmac_f32_e32 v16, v17, v13
	v_fma_f32 v12, -v12, v16, v15
	s_delay_alu instid0(VALU_DEP_1) | instskip(NEXT) | instid1(VALU_DEP_1)
	v_div_fmas_f32 v12, v12, v13, v16
	v_div_fixup_f32 v15, v12, v8, 1.0
.LBB59_134:
	s_mul_i32 s2, s33, s38
	v_cmp_eq_u32_e32 vcc_lo, 0, v44
	s_add_i32 s2, s2, s15
	s_delay_alu instid0(SALU_CYCLE_1) | instskip(NEXT) | instid1(VALU_DEP_1)
	v_add_nc_u32_e32 v8, s2, v41
	v_mad_u64_u32 v[16:17], null, v8, s39, s[34:35]
	v_mov_b32_e32 v17, 0
	v_lshrrev_b32_e32 v8, 16, v52
	s_delay_alu instid0(VALU_DEP_1) | instskip(NEXT) | instid1(VALU_DEP_4)
	v_cvt_f32_f16_e32 v8, v8
	v_mad_u64_u32 v[12:13], null, s1, v16, s[14:15]
	v_cvt_f32_f16_e32 v13, v52
	s_delay_alu instid0(VALU_DEP_3) | instskip(NEXT) | instid1(VALU_DEP_2)
	v_mul_f32_e32 v19, v15, v8
	v_mul_f32_e32 v18, v15, v13
	s_delay_alu instid0(VALU_DEP_4) | instskip(NEXT) | instid1(VALU_DEP_1)
	v_lshl_add_u32 v16, v12, 6, v14
	v_lshlrev_b64 v[16:17], 2, v[16:17]
	s_delay_alu instid0(VALU_DEP_1) | instskip(NEXT) | instid1(VALU_DEP_1)
	v_add_co_u32 v15, s0, s28, v16
	v_add_co_ci_u32_e64 v16, s0, s29, v17, s0
	s_and_b32 s0, vcc_lo, s4
	global_store_b64 v[15:16], v[18:19], off
	s_and_saveexec_b32 s4, s0
	s_cbranch_execz .LBB59_136
; %bb.135:
	v_ashrrev_i32_e32 v13, 31, v12
	v_mov_b32_e32 v15, v0
	v_mov_b32_e32 v16, v4
	s_delay_alu instid0(VALU_DEP_3) | instskip(NEXT) | instid1(VALU_DEP_1)
	v_lshlrev_b64 v[12:13], 3, v[12:13]
	v_add_co_u32 v12, vcc_lo, s30, v12
	s_delay_alu instid0(VALU_DEP_2)
	v_add_co_ci_u32_e32 v13, vcc_lo, s31, v13, vcc_lo
	global_store_b64 v[12:13], v[15:16], off
.LBB59_136:
	s_or_b32 exec_lo, exec_lo, s4
	v_cmp_gt_i32_e32 vcc_lo, s38, v42
	s_and_b32 exec_lo, exec_lo, vcc_lo
	s_cbranch_execz .LBB59_130
; %bb.137:
	v_cndmask_b32_e64 v12, 0, 1, s3
	v_mov_b32_e32 v0, 1.0
	s_and_not1_b32 vcc_lo, exec_lo, s3
	s_cbranch_vccnz .LBB59_139
; %bb.138:
	v_div_scale_f32 v0, null, v9, v9, 1.0
	s_delay_alu instid0(VALU_DEP_1) | instskip(SKIP_2) | instid1(VALU_DEP_1)
	v_rcp_f32_e32 v4, v0
	s_waitcnt_depctr 0xfff
	v_fma_f32 v8, -v0, v4, 1.0
	v_fmac_f32_e32 v4, v8, v4
	v_div_scale_f32 v8, vcc_lo, 1.0, v9, 1.0
	s_delay_alu instid0(VALU_DEP_1) | instskip(NEXT) | instid1(VALU_DEP_1)
	v_mul_f32_e32 v13, v8, v4
	v_fma_f32 v15, -v0, v13, v8
	s_delay_alu instid0(VALU_DEP_1) | instskip(NEXT) | instid1(VALU_DEP_1)
	v_fmac_f32_e32 v13, v15, v4
	v_fma_f32 v0, -v0, v13, v8
	s_delay_alu instid0(VALU_DEP_1) | instskip(NEXT) | instid1(VALU_DEP_1)
	v_div_fmas_f32 v0, v0, v4, v13
	v_div_fixup_f32 v0, v0, v9, 1.0
.LBB59_139:
	v_add_nc_u32_e32 v4, s2, v39
	s_delay_alu instid0(VALU_DEP_1) | instskip(SKIP_2) | instid1(VALU_DEP_1)
	v_mad_u64_u32 v[15:16], null, v4, s39, s[34:35]
	v_mov_b32_e32 v16, 0
	v_lshrrev_b32_e32 v4, 16, v51
	v_cvt_f32_f16_e32 v4, v4
	s_delay_alu instid0(VALU_DEP_4) | instskip(SKIP_1) | instid1(VALU_DEP_3)
	v_mad_u64_u32 v[8:9], null, s1, v15, s[14:15]
	v_cvt_f32_f16_e32 v9, v51
	v_mul_f32_e32 v18, v0, v4
	s_delay_alu instid0(VALU_DEP_2) | instskip(NEXT) | instid1(VALU_DEP_4)
	v_mul_f32_e32 v17, v0, v9
	v_lshl_add_u32 v15, v8, 6, v14
	s_delay_alu instid0(VALU_DEP_1) | instskip(NEXT) | instid1(VALU_DEP_1)
	v_lshlrev_b64 v[15:16], 2, v[15:16]
	v_add_co_u32 v15, vcc_lo, s28, v15
	s_delay_alu instid0(VALU_DEP_2)
	v_add_co_ci_u32_e32 v16, vcc_lo, s29, v16, vcc_lo
	global_store_b64 v[15:16], v[17:18], off
	s_and_saveexec_b32 s3, s0
	s_cbranch_execz .LBB59_141
; %bb.140:
	v_ashrrev_i32_e32 v9, 31, v8
	v_mov_b32_e32 v4, v1
	s_delay_alu instid0(VALU_DEP_2) | instskip(NEXT) | instid1(VALU_DEP_1)
	v_lshlrev_b64 v[8:9], 3, v[8:9]
	v_add_co_u32 v8, vcc_lo, s30, v8
	s_delay_alu instid0(VALU_DEP_2)
	v_add_co_ci_u32_e32 v9, vcc_lo, s31, v9, vcc_lo
	global_store_b64 v[8:9], v[4:5], off
.LBB59_141:
	s_or_b32 exec_lo, exec_lo, s3
	v_cmp_gt_i32_e32 vcc_lo, s38, v40
	s_and_b32 exec_lo, exec_lo, vcc_lo
	s_cbranch_execz .LBB59_130
; %bb.142:
	v_cmp_ne_u32_e32 vcc_lo, 1, v12
	v_mov_b32_e32 v4, 1.0
	s_cbranch_vccnz .LBB59_144
; %bb.143:
	v_div_scale_f32 v0, null, v10, v10, 1.0
	s_delay_alu instid0(VALU_DEP_1) | instskip(SKIP_2) | instid1(VALU_DEP_1)
	v_rcp_f32_e32 v1, v0
	s_waitcnt_depctr 0xfff
	v_fma_f32 v4, -v0, v1, 1.0
	v_fmac_f32_e32 v1, v4, v1
	v_div_scale_f32 v4, vcc_lo, 1.0, v10, 1.0
	s_delay_alu instid0(VALU_DEP_1) | instskip(NEXT) | instid1(VALU_DEP_1)
	v_mul_f32_e32 v5, v4, v1
	v_fma_f32 v8, -v0, v5, v4
	s_delay_alu instid0(VALU_DEP_1) | instskip(NEXT) | instid1(VALU_DEP_1)
	v_fmac_f32_e32 v5, v8, v1
	v_fma_f32 v0, -v0, v5, v4
	s_delay_alu instid0(VALU_DEP_1) | instskip(NEXT) | instid1(VALU_DEP_1)
	v_div_fmas_f32 v0, v0, v1, v5
	v_div_fixup_f32 v4, v0, v10, 1.0
.LBB59_144:
	v_add_nc_u32_e32 v0, s2, v38
	v_cvt_f32_f16_e32 v5, v49
	s_delay_alu instid0(VALU_DEP_2) | instskip(SKIP_1) | instid1(VALU_DEP_3)
	v_mad_u64_u32 v[8:9], null, v0, s39, s[34:35]
	v_mov_b32_e32 v9, 0
	v_mul_f32_e32 v15, v4, v5
	s_delay_alu instid0(VALU_DEP_3) | instskip(SKIP_1) | instid1(VALU_DEP_1)
	v_mad_u64_u32 v[0:1], null, s1, v8, s[14:15]
	v_lshrrev_b32_e32 v1, 16, v49
	v_cvt_f32_f16_e32 v1, v1
	s_delay_alu instid0(VALU_DEP_3) | instskip(NEXT) | instid1(VALU_DEP_2)
	v_lshl_add_u32 v8, v0, 6, v14
	v_mul_f32_e32 v16, v4, v1
	s_delay_alu instid0(VALU_DEP_2) | instskip(NEXT) | instid1(VALU_DEP_1)
	v_lshlrev_b64 v[8:9], 2, v[8:9]
	v_add_co_u32 v4, vcc_lo, s28, v8
	s_delay_alu instid0(VALU_DEP_2)
	v_add_co_ci_u32_e32 v5, vcc_lo, s29, v9, vcc_lo
	global_store_b64 v[4:5], v[15:16], off
	s_and_saveexec_b32 s3, s0
	s_cbranch_execz .LBB59_146
; %bb.145:
	v_ashrrev_i32_e32 v1, 31, v0
	v_mov_b32_e32 v5, v2
	s_delay_alu instid0(VALU_DEP_2) | instskip(NEXT) | instid1(VALU_DEP_1)
	v_lshlrev_b64 v[0:1], 3, v[0:1]
	v_add_co_u32 v0, vcc_lo, s30, v0
	s_delay_alu instid0(VALU_DEP_2)
	v_add_co_ci_u32_e32 v1, vcc_lo, s31, v1, vcc_lo
	global_store_b64 v[0:1], v[5:6], off
.LBB59_146:
	s_or_b32 exec_lo, exec_lo, s3
	v_cmp_gt_i32_e32 vcc_lo, s38, v37
	s_and_b32 exec_lo, exec_lo, vcc_lo
	s_cbranch_execz .LBB59_130
; %bb.147:
	v_cmp_ne_u32_e32 vcc_lo, 1, v12
	v_mov_b32_e32 v2, 1.0
	s_cbranch_vccnz .LBB59_149
; %bb.148:
	v_div_scale_f32 v0, null, v11, v11, 1.0
	s_delay_alu instid0(VALU_DEP_1) | instskip(SKIP_2) | instid1(VALU_DEP_1)
	v_rcp_f32_e32 v1, v0
	s_waitcnt_depctr 0xfff
	v_fma_f32 v2, -v0, v1, 1.0
	v_fmac_f32_e32 v1, v2, v1
	v_div_scale_f32 v2, vcc_lo, 1.0, v11, 1.0
	s_delay_alu instid0(VALU_DEP_1) | instskip(NEXT) | instid1(VALU_DEP_1)
	v_mul_f32_e32 v4, v2, v1
	v_fma_f32 v5, -v0, v4, v2
	s_delay_alu instid0(VALU_DEP_1) | instskip(NEXT) | instid1(VALU_DEP_1)
	v_fmac_f32_e32 v4, v5, v1
	v_fma_f32 v0, -v0, v4, v2
	s_delay_alu instid0(VALU_DEP_1) | instskip(NEXT) | instid1(VALU_DEP_1)
	v_div_fmas_f32 v0, v0, v1, v4
	v_div_fixup_f32 v2, v0, v11, 1.0
.LBB59_149:
	v_add_nc_u32_e32 v0, s2, v36
	v_cvt_f32_f16_e32 v6, v48
	s_delay_alu instid0(VALU_DEP_2) | instskip(SKIP_1) | instid1(VALU_DEP_2)
	v_mad_u64_u32 v[4:5], null, v0, s39, s[34:35]
	v_mov_b32_e32 v5, 0
	v_mad_u64_u32 v[0:1], null, s1, v4, s[14:15]
	v_lshrrev_b32_e32 v1, 16, v48
	s_delay_alu instid0(VALU_DEP_1) | instskip(NEXT) | instid1(VALU_DEP_3)
	v_cvt_f32_f16_e32 v8, v1
	v_lshl_add_u32 v4, v0, 6, v14
	v_mul_f32_e32 v1, v2, v6
	s_delay_alu instid0(VALU_DEP_3) | instskip(NEXT) | instid1(VALU_DEP_3)
	v_mul_f32_e32 v2, v2, v8
	v_lshlrev_b64 v[4:5], 2, v[4:5]
	s_delay_alu instid0(VALU_DEP_1) | instskip(NEXT) | instid1(VALU_DEP_2)
	v_add_co_u32 v4, vcc_lo, s28, v4
	v_add_co_ci_u32_e32 v5, vcc_lo, s29, v5, vcc_lo
	global_store_b64 v[4:5], v[1:2], off
	s_and_b32 exec_lo, exec_lo, s0
	s_cbranch_execz .LBB59_130
; %bb.150:
	v_ashrrev_i32_e32 v1, 31, v0
	v_mov_b32_e32 v6, v3
	s_delay_alu instid0(VALU_DEP_2) | instskip(NEXT) | instid1(VALU_DEP_1)
	v_lshlrev_b64 v[0:1], 3, v[0:1]
	v_add_co_u32 v0, vcc_lo, s30, v0
	s_delay_alu instid0(VALU_DEP_2)
	v_add_co_ci_u32_e32 v1, vcc_lo, s31, v1, vcc_lo
	global_store_b64 v[0:1], v[6:7], off
	s_nop 0
	s_sendmsg sendmsg(MSG_DEALLOC_VGPRS)
	s_endpgm
	.section	.rodata,"a",@progbits
	.p2align	6, 0x0
	.amdhsa_kernel _ZL15flash_attn_tileILi64ELi64ELi16ELi1ELb0EEvPKcS1_S1_S1_S1_PKiPfP15HIP_vector_typeIfLj2EEffffjfiS5_IjLj3EEiiiiiiiiiiiliiliiiiil
		.amdhsa_group_segment_fixed_size 24576
		.amdhsa_private_segment_fixed_size 32
		.amdhsa_kernarg_size 464
		.amdhsa_user_sgpr_count 13
		.amdhsa_user_sgpr_dispatch_ptr 0
		.amdhsa_user_sgpr_queue_ptr 0
		.amdhsa_user_sgpr_kernarg_segment_ptr 1
		.amdhsa_user_sgpr_dispatch_id 0
		.amdhsa_user_sgpr_private_segment_size 0
		.amdhsa_wavefront_size32 1
		.amdhsa_uses_dynamic_stack 0
		.amdhsa_enable_private_segment 1
		.amdhsa_system_sgpr_workgroup_id_x 1
		.amdhsa_system_sgpr_workgroup_id_y 1
		.amdhsa_system_sgpr_workgroup_id_z 1
		.amdhsa_system_sgpr_workgroup_info 0
		.amdhsa_system_vgpr_workitem_id 1
		.amdhsa_next_free_vgpr 165
		.amdhsa_next_free_sgpr 48
		.amdhsa_reserve_vcc 1
		.amdhsa_float_round_mode_32 0
		.amdhsa_float_round_mode_16_64 0
		.amdhsa_float_denorm_mode_32 3
		.amdhsa_float_denorm_mode_16_64 3
		.amdhsa_dx10_clamp 1
		.amdhsa_ieee_mode 1
		.amdhsa_fp16_overflow 0
		.amdhsa_workgroup_processor_mode 1
		.amdhsa_memory_ordered 1
		.amdhsa_forward_progress 0
		.amdhsa_shared_vgpr_count 0
		.amdhsa_exception_fp_ieee_invalid_op 0
		.amdhsa_exception_fp_denorm_src 0
		.amdhsa_exception_fp_ieee_div_zero 0
		.amdhsa_exception_fp_ieee_overflow 0
		.amdhsa_exception_fp_ieee_underflow 0
		.amdhsa_exception_fp_ieee_inexact 0
		.amdhsa_exception_int_div_zero 0
	.end_amdhsa_kernel
	.section	.text._ZL15flash_attn_tileILi64ELi64ELi16ELi1ELb0EEvPKcS1_S1_S1_S1_PKiPfP15HIP_vector_typeIfLj2EEffffjfiS5_IjLj3EEiiiiiiiiiiiliiliiiiil,"axG",@progbits,_ZL15flash_attn_tileILi64ELi64ELi16ELi1ELb0EEvPKcS1_S1_S1_S1_PKiPfP15HIP_vector_typeIfLj2EEffffjfiS5_IjLj3EEiiiiiiiiiiiliiliiiiil,comdat
.Lfunc_end59:
	.size	_ZL15flash_attn_tileILi64ELi64ELi16ELi1ELb0EEvPKcS1_S1_S1_S1_PKiPfP15HIP_vector_typeIfLj2EEffffjfiS5_IjLj3EEiiiiiiiiiiiliiliiiiil, .Lfunc_end59-_ZL15flash_attn_tileILi64ELi64ELi16ELi1ELb0EEvPKcS1_S1_S1_S1_PKiPfP15HIP_vector_typeIfLj2EEffffjfiS5_IjLj3EEiiiiiiiiiiiliiliiiiil
                                        ; -- End function
	.section	.AMDGPU.csdata,"",@progbits
; Kernel info:
; codeLenInByte = 51816
; NumSgprs: 50
; NumVgprs: 165
; ScratchSize: 32
; MemoryBound: 0
; FloatMode: 240
; IeeeMode: 1
; LDSByteSize: 24576 bytes/workgroup (compile time only)
; SGPRBlocks: 6
; VGPRBlocks: 20
; NumSGPRsForWavesPerEU: 50
; NumVGPRsForWavesPerEU: 165
; Occupancy: 5
; WaveLimiterHint : 0
; COMPUTE_PGM_RSRC2:SCRATCH_EN: 1
; COMPUTE_PGM_RSRC2:USER_SGPR: 13
; COMPUTE_PGM_RSRC2:TRAP_HANDLER: 0
; COMPUTE_PGM_RSRC2:TGID_X_EN: 1
; COMPUTE_PGM_RSRC2:TGID_Y_EN: 1
; COMPUTE_PGM_RSRC2:TGID_Z_EN: 1
; COMPUTE_PGM_RSRC2:TIDIG_COMP_CNT: 1
	.section	.text._ZL33flash_attn_stream_k_fixup_uniformILi64ELi16ELi1EEvPfPK15HIP_vector_typeIfLj2EEiiiiiiS1_IjLj3EES5_S5_,"axG",@progbits,_ZL33flash_attn_stream_k_fixup_uniformILi64ELi16ELi1EEvPfPK15HIP_vector_typeIfLj2EEiiiiiiS1_IjLj3EES5_S5_,comdat
	.globl	_ZL33flash_attn_stream_k_fixup_uniformILi64ELi16ELi1EEvPfPK15HIP_vector_typeIfLj2EEiiiiiiS1_IjLj3EES5_S5_ ; -- Begin function _ZL33flash_attn_stream_k_fixup_uniformILi64ELi16ELi1EEvPfPK15HIP_vector_typeIfLj2EEiiiiiiS1_IjLj3EES5_S5_
	.p2align	8
	.type	_ZL33flash_attn_stream_k_fixup_uniformILi64ELi16ELi1EEvPfPK15HIP_vector_typeIfLj2EEiiiiiiS1_IjLj3EES5_S5_,@function
_ZL33flash_attn_stream_k_fixup_uniformILi64ELi16ELi1EEvPfPK15HIP_vector_typeIfLj2EEiiiiiiS1_IjLj3EES5_S5_: ; @_ZL33flash_attn_stream_k_fixup_uniformILi64ELi16ELi1EEvPfPK15HIP_vector_typeIfLj2EEiiiiiiS1_IjLj3EES5_S5_
; %bb.0:
	s_clause 0x1
	s_load_b256 s[4:11], s[0:1], 0x1c
	s_load_b128 s[16:19], s[0:1], 0x3c
	s_waitcnt lgkmcnt(0)
	s_mul_hi_u32 s2, s7, s13
	s_delay_alu instid0(SALU_CYCLE_1) | instskip(NEXT) | instid1(SALU_CYCLE_1)
	s_add_i32 s2, s13, s2
	s_lshr_b32 s2, s2, s8
	s_delay_alu instid0(SALU_CYCLE_1) | instskip(SKIP_2) | instid1(SALU_CYCLE_1)
	s_mul_i32 s3, s2, s9
	s_load_b64 s[8:9], s[0:1], 0x10
	s_sub_i32 s7, s13, s3
	s_mul_hi_u32 s3, s7, s10
	s_delay_alu instid0(SALU_CYCLE_1) | instskip(NEXT) | instid1(SALU_CYCLE_1)
	s_add_i32 s3, s7, s3
	s_lshr_b32 s3, s3, s11
	s_delay_alu instid0(SALU_CYCLE_1) | instskip(NEXT) | instid1(SALU_CYCLE_1)
	s_mul_i32 s10, s3, s16
	s_sub_i32 s10, s7, s10
	s_delay_alu instid0(SALU_CYCLE_1) | instskip(NEXT) | instid1(SALU_CYCLE_1)
	s_mul_hi_u32 s7, s10, s17
	s_add_i32 s7, s10, s7
	s_delay_alu instid0(SALU_CYCLE_1) | instskip(NEXT) | instid1(SALU_CYCLE_1)
	s_lshr_b32 s7, s7, s18
	s_mul_i32 s11, s7, s19
	s_delay_alu instid0(SALU_CYCLE_1) | instskip(NEXT) | instid1(SALU_CYCLE_1)
	s_sub_i32 s10, s10, s11
	s_lshl_b32 s11, s10, 4
	s_delay_alu instid0(SALU_CYCLE_1) | instskip(SKIP_4) | instid1(SALU_CYCLE_1)
	s_add_i32 s11, s11, s14
	s_waitcnt lgkmcnt(0)
	s_cmp_lt_i32 s11, s8
	s_cselect_b32 s11, -1, 0
	s_add_i32 s12, s7, s15
	s_cmp_lt_i32 s12, s5
	s_cselect_b32 s12, -1, 0
	s_delay_alu instid0(SALU_CYCLE_1) | instskip(NEXT) | instid1(SALU_CYCLE_1)
	s_and_b32 s11, s11, s12
	s_and_not1_b32 vcc_lo, exec_lo, s11
	s_cbranch_vccnz .LBB60_6
; %bb.1:
	s_mul_i32 s2, s2, s8
	s_mul_i32 s5, s3, s5
	s_add_i32 s2, s2, s14
	s_delay_alu instid0(SALU_CYCLE_1) | instskip(NEXT) | instid1(SALU_CYCLE_1)
	s_mul_i32 s2, s2, s9
	s_add_i32 s8, s2, s15
	s_load_b128 s[0:3], s[0:1], 0x0
	s_add_i32 s5, s8, s5
	s_mul_i32 s8, s9, s10
	s_add_i32 s5, s5, s7
	s_lshl_b32 s7, s8, 10
	s_lshl_b32 s5, s5, 6
	s_add_i32 s10, s14, s15
	s_add_i32 s7, s7, s5
	s_mul_i32 s5, s13, s6
	v_or_b32_e32 v1, s7, v0
	s_add_i32 s9, s5, s6
	s_delay_alu instid0(VALU_DEP_1) | instskip(NEXT) | instid1(VALU_DEP_1)
	v_ashrrev_i32_e32 v2, 31, v1
	v_lshlrev_b64 v[1:2], 2, v[1:2]
	s_waitcnt lgkmcnt(0)
	s_delay_alu instid0(VALU_DEP_1) | instskip(NEXT) | instid1(VALU_DEP_2)
	v_add_co_u32 v1, vcc_lo, s0, v1
	v_add_co_ci_u32_e32 v2, vcc_lo, s1, v2, vcc_lo
	s_lshl_b32 s0, s9, 4
	s_delay_alu instid0(SALU_CYCLE_1) | instskip(SKIP_2) | instid1(SALU_CYCLE_1)
	s_add_i32 s0, s10, s0
	global_load_b32 v5, v[1:2], off
	s_add_i32 s0, s0, -16
	s_ashr_i32 s1, s0, 31
	s_delay_alu instid0(SALU_CYCLE_1) | instskip(NEXT) | instid1(SALU_CYCLE_1)
	s_lshl_b64 s[0:1], s[0:1], 3
	s_add_u32 s0, s2, s0
	s_addc_u32 s1, s3, s1
	s_add_i32 s7, s9, -2
	s_load_b32 s11, s[0:1], 0x4
	s_cmp_lt_i32 s7, s5
	s_cbranch_scc1 .LBB60_4
; %bb.2:
	s_lshl_b32 s14, s4, 6
	s_load_b32 s12, s[0:1], 0x0
	s_ashr_i32 s15, s14, 31
	s_delay_alu instid0(SALU_CYCLE_1) | instskip(NEXT) | instid1(SALU_CYCLE_1)
	s_lshl_b64 s[0:1], s[14:15], 2
	s_add_u32 s7, s2, s0
	s_addc_u32 s8, s3, s1
	s_add_i32 s13, s13, 1
	s_lshl_b32 s1, s10, 6
	s_mul_i32 s0, s6, s13
	s_delay_alu instid0(SALU_CYCLE_1)
	s_lshl_b32 s6, s0, 10
	s_lshl_b32 s0, s0, 4
	s_add_i32 s1, s1, s6
	s_add_i32 s0, s10, s0
	v_or_b32_e32 v0, s1, v0
	s_lshl_b32 s1, s4, 4
	s_waitcnt lgkmcnt(0)
	v_mov_b32_e32 v6, s11
	s_add_i32 s0, s0, s1
	s_add_i32 s4, s9, -1
	v_dual_mov_b32 v0, s12 :: v_dual_add_nc_u32 v3, 0xfffff800, v0
	s_sub_i32 s0, s0, 32
.LBB60_3:                               ; =>This Inner Loop Header: Depth=1
	s_delay_alu instid0(VALU_DEP_1) | instskip(SKIP_1) | instid1(SALU_CYCLE_1)
	v_ashrrev_i32_e32 v4, 31, v3
	s_ashr_i32 s1, s0, 31
	s_lshl_b64 s[10:11], s[0:1], 3
	s_delay_alu instid0(SALU_CYCLE_1) | instskip(NEXT) | instid1(VALU_DEP_1)
	s_add_u32 s10, s2, s10
	v_lshlrev_b64 v[7:8], 2, v[3:4]
	s_addc_u32 s11, s3, s11
	s_add_i32 s4, s4, -1
	s_add_i32 s0, s0, -16
	s_cmp_le_i32 s4, s5
	s_load_b64 s[10:11], s[10:11], 0x0
	v_add_co_u32 v7, vcc_lo, s7, v7
	v_add_co_ci_u32_e32 v8, vcc_lo, s8, v8, vcc_lo
	global_load_b32 v4, v[7:8], off
	v_max_f32_e32 v7, v0, v0
	s_waitcnt lgkmcnt(0)
	v_max_f32_e64 v8, s10, s10
	s_delay_alu instid0(VALU_DEP_1) | instskip(NEXT) | instid1(VALU_DEP_1)
	v_max_f32_e32 v7, v7, v8
	v_sub_f32_e32 v8, s10, v7
	s_delay_alu instid0(VALU_DEP_1) | instskip(NEXT) | instid1(VALU_DEP_1)
	v_dual_sub_f32 v0, v0, v7 :: v_dual_mul_f32 v9, 0x3fb8aa3b, v8
	v_fma_f32 v10, 0x3fb8aa3b, v8, -v9
	v_rndne_f32_e32 v11, v9
	s_delay_alu instid0(VALU_DEP_3) | instskip(NEXT) | instid1(VALU_DEP_2)
	v_mul_f32_e32 v12, 0x3fb8aa3b, v0
	v_dual_fmac_f32 v10, 0x32a5705f, v8 :: v_dual_sub_f32 v9, v9, v11
	v_cvt_i32_f32_e32 v11, v11
	s_delay_alu instid0(VALU_DEP_3) | instskip(SKIP_1) | instid1(VALU_DEP_4)
	v_fma_f32 v13, 0x3fb8aa3b, v0, -v12
	v_rndne_f32_e32 v14, v12
	v_add_f32_e32 v9, v9, v10
	v_cmp_ngt_f32_e32 vcc_lo, 0xc2ce8ed0, v8
	s_delay_alu instid0(VALU_DEP_3) | instskip(NEXT) | instid1(VALU_DEP_3)
	v_sub_f32_e32 v10, v12, v14
	v_exp_f32_e32 v9, v9
	s_waitcnt_depctr 0xfff
	v_ldexp_f32 v9, v9, v11
	v_cvt_i32_f32_e32 v11, v14
	s_delay_alu instid0(VALU_DEP_2) | instskip(SKIP_1) | instid1(VALU_DEP_2)
	v_cndmask_b32_e32 v9, 0, v9, vcc_lo
	v_cmp_nlt_f32_e32 vcc_lo, 0x42b17218, v8
	v_cndmask_b32_e32 v9, 0x7f800000, v9, vcc_lo
	v_cmp_ngt_f32_e32 vcc_lo, 0xc2ce8ed0, v0
	v_fmac_f32_e32 v13, 0x32a5705f, v0
	s_delay_alu instid0(VALU_DEP_1) | instskip(NEXT) | instid1(VALU_DEP_1)
	v_add_f32_e32 v10, v10, v13
	v_exp_f32_e32 v10, v10
	s_waitcnt_depctr 0xfff
	v_ldexp_f32 v10, v10, v11
	s_delay_alu instid0(VALU_DEP_1)
	v_dual_mov_b32 v11, v6 :: v_dual_cndmask_b32 v10, 0, v10
	v_cmp_le_f32_e32 vcc_lo, 0xc1a00000, v8
	s_waitcnt vmcnt(1)
	v_dual_cndmask_b32 v8, 0, v9 :: v_dual_mov_b32 v9, v5
	v_cmp_nlt_f32_e32 vcc_lo, 0x42b17218, v0
	v_cndmask_b32_e32 v5, 0x7f800000, v10, vcc_lo
	s_delay_alu instid0(VALU_DEP_3) | instskip(SKIP_2) | instid1(VALU_DEP_3)
	v_mul_f32_e32 v10, s11, v8
	v_cmp_le_f32_e32 vcc_lo, 0xc1a00000, v0
	v_mov_b32_e32 v0, v7
	v_mov_b32_e32 v6, v10
	s_waitcnt vmcnt(0)
	v_dual_cndmask_b32 v12, 0, v5 :: v_dual_mul_f32 v5, v4, v8
	s_delay_alu instid0(VALU_DEP_1) | instskip(NEXT) | instid1(VALU_DEP_2)
	v_dual_fmac_f32 v6, v11, v12 :: v_dual_add_nc_u32 v3, 0xfffffc00, v3
	v_fmac_f32_e32 v5, v9, v12
	s_cbranch_scc0 .LBB60_3
	s_branch .LBB60_5
.LBB60_4:
	s_waitcnt lgkmcnt(0)
	v_mov_b32_e32 v6, s11
.LBB60_5:
	s_waitcnt vmcnt(0)
	s_delay_alu instid0(VALU_DEP_1) | instskip(NEXT) | instid1(VALU_DEP_1)
	v_div_scale_f32 v0, null, v6, v6, v5
	v_rcp_f32_e32 v3, v0
	s_waitcnt_depctr 0xfff
	v_fma_f32 v4, -v0, v3, 1.0
	s_delay_alu instid0(VALU_DEP_1) | instskip(SKIP_1) | instid1(VALU_DEP_1)
	v_fmac_f32_e32 v3, v4, v3
	v_div_scale_f32 v4, vcc_lo, v5, v6, v5
	v_mul_f32_e32 v7, v4, v3
	s_delay_alu instid0(VALU_DEP_1) | instskip(NEXT) | instid1(VALU_DEP_1)
	v_fma_f32 v8, -v0, v7, v4
	v_fmac_f32_e32 v7, v8, v3
	s_delay_alu instid0(VALU_DEP_1) | instskip(NEXT) | instid1(VALU_DEP_1)
	v_fma_f32 v0, -v0, v7, v4
	v_div_fmas_f32 v0, v0, v3, v7
	s_delay_alu instid0(VALU_DEP_1)
	v_div_fixup_f32 v0, v0, v6, v5
	global_store_b32 v[1:2], v0, off
.LBB60_6:
	s_nop 0
	s_sendmsg sendmsg(MSG_DEALLOC_VGPRS)
	s_endpgm
	.section	.rodata,"a",@progbits
	.p2align	6, 0x0
	.amdhsa_kernel _ZL33flash_attn_stream_k_fixup_uniformILi64ELi16ELi1EEvPfPK15HIP_vector_typeIfLj2EEiiiiiiS1_IjLj3EES5_S5_
		.amdhsa_group_segment_fixed_size 0
		.amdhsa_private_segment_fixed_size 0
		.amdhsa_kernarg_size 76
		.amdhsa_user_sgpr_count 13
		.amdhsa_user_sgpr_dispatch_ptr 0
		.amdhsa_user_sgpr_queue_ptr 0
		.amdhsa_user_sgpr_kernarg_segment_ptr 1
		.amdhsa_user_sgpr_dispatch_id 0
		.amdhsa_user_sgpr_private_segment_size 0
		.amdhsa_wavefront_size32 1
		.amdhsa_uses_dynamic_stack 0
		.amdhsa_enable_private_segment 0
		.amdhsa_system_sgpr_workgroup_id_x 1
		.amdhsa_system_sgpr_workgroup_id_y 1
		.amdhsa_system_sgpr_workgroup_id_z 1
		.amdhsa_system_sgpr_workgroup_info 0
		.amdhsa_system_vgpr_workitem_id 0
		.amdhsa_next_free_vgpr 15
		.amdhsa_next_free_sgpr 20
		.amdhsa_reserve_vcc 1
		.amdhsa_float_round_mode_32 0
		.amdhsa_float_round_mode_16_64 0
		.amdhsa_float_denorm_mode_32 3
		.amdhsa_float_denorm_mode_16_64 3
		.amdhsa_dx10_clamp 1
		.amdhsa_ieee_mode 1
		.amdhsa_fp16_overflow 0
		.amdhsa_workgroup_processor_mode 1
		.amdhsa_memory_ordered 1
		.amdhsa_forward_progress 0
		.amdhsa_shared_vgpr_count 0
		.amdhsa_exception_fp_ieee_invalid_op 0
		.amdhsa_exception_fp_denorm_src 0
		.amdhsa_exception_fp_ieee_div_zero 0
		.amdhsa_exception_fp_ieee_overflow 0
		.amdhsa_exception_fp_ieee_underflow 0
		.amdhsa_exception_fp_ieee_inexact 0
		.amdhsa_exception_int_div_zero 0
	.end_amdhsa_kernel
	.section	.text._ZL33flash_attn_stream_k_fixup_uniformILi64ELi16ELi1EEvPfPK15HIP_vector_typeIfLj2EEiiiiiiS1_IjLj3EES5_S5_,"axG",@progbits,_ZL33flash_attn_stream_k_fixup_uniformILi64ELi16ELi1EEvPfPK15HIP_vector_typeIfLj2EEiiiiiiS1_IjLj3EES5_S5_,comdat
.Lfunc_end60:
	.size	_ZL33flash_attn_stream_k_fixup_uniformILi64ELi16ELi1EEvPfPK15HIP_vector_typeIfLj2EEiiiiiiS1_IjLj3EES5_S5_, .Lfunc_end60-_ZL33flash_attn_stream_k_fixup_uniformILi64ELi16ELi1EEvPfPK15HIP_vector_typeIfLj2EEiiiiiiS1_IjLj3EES5_S5_
                                        ; -- End function
	.section	.AMDGPU.csdata,"",@progbits
; Kernel info:
; codeLenInByte = 976
; NumSgprs: 22
; NumVgprs: 15
; ScratchSize: 0
; MemoryBound: 0
; FloatMode: 240
; IeeeMode: 1
; LDSByteSize: 0 bytes/workgroup (compile time only)
; SGPRBlocks: 2
; VGPRBlocks: 1
; NumSGPRsForWavesPerEU: 22
; NumVGPRsForWavesPerEU: 15
; Occupancy: 16
; WaveLimiterHint : 0
; COMPUTE_PGM_RSRC2:SCRATCH_EN: 0
; COMPUTE_PGM_RSRC2:USER_SGPR: 13
; COMPUTE_PGM_RSRC2:TRAP_HANDLER: 0
; COMPUTE_PGM_RSRC2:TGID_X_EN: 1
; COMPUTE_PGM_RSRC2:TGID_Y_EN: 1
; COMPUTE_PGM_RSRC2:TGID_Z_EN: 1
; COMPUTE_PGM_RSRC2:TIDIG_COMP_CNT: 0
	.section	.text._ZL33flash_attn_stream_k_fixup_generalILi64ELi16ELi1EEvPfPK15HIP_vector_typeIfLj2EEiiiiS1_IjLj3EES5_S5_S5_,"axG",@progbits,_ZL33flash_attn_stream_k_fixup_generalILi64ELi16ELi1EEvPfPK15HIP_vector_typeIfLj2EEiiiiS1_IjLj3EES5_S5_S5_,comdat
	.globl	_ZL33flash_attn_stream_k_fixup_generalILi64ELi16ELi1EEvPfPK15HIP_vector_typeIfLj2EEiiiiS1_IjLj3EES5_S5_S5_ ; -- Begin function _ZL33flash_attn_stream_k_fixup_generalILi64ELi16ELi1EEvPfPK15HIP_vector_typeIfLj2EEiiiiS1_IjLj3EES5_S5_S5_
	.p2align	8
	.type	_ZL33flash_attn_stream_k_fixup_generalILi64ELi16ELi1EEvPfPK15HIP_vector_typeIfLj2EEiiiiS1_IjLj3EES5_S5_S5_,@function
_ZL33flash_attn_stream_k_fixup_generalILi64ELi16ELi1EEvPfPK15HIP_vector_typeIfLj2EEiiiiS1_IjLj3EES5_S5_S5_: ; @_ZL33flash_attn_stream_k_fixup_generalILi64ELi16ELi1EEvPfPK15HIP_vector_typeIfLj2EEiiiiS1_IjLj3EES5_S5_S5_
; %bb.0:
	s_clause 0x1
	s_load_b128 s[4:7], s[0:1], 0x10
	s_load_b32 s20, s[0:1], 0x50
	s_mov_b32 s2, 0
	s_waitcnt lgkmcnt(0)
	s_mul_hi_i32 s3, s7, s13
	s_mul_i32 s12, s7, s13
	s_cmp_lg_u64 s[2:3], 0
	s_cbranch_scc0 .LBB61_21
; %bb.1:
	v_cvt_f32_ubyte0_e32 v1, 0
	v_cvt_f32_u32_e32 v2, s20
	s_sub_u32 s10, 0, s20
	s_subb_u32 s11, 0, 0
	s_delay_alu instid0(VALU_DEP_1) | instskip(NEXT) | instid1(VALU_DEP_1)
	v_fmamk_f32 v1, v1, 0x4f800000, v2
	v_rcp_f32_e32 v1, v1
	s_waitcnt_depctr 0xfff
	v_mul_f32_e32 v1, 0x5f7ffffc, v1
	s_delay_alu instid0(VALU_DEP_1) | instskip(NEXT) | instid1(VALU_DEP_1)
	v_mul_f32_e32 v2, 0x2f800000, v1
	v_trunc_f32_e32 v2, v2
	s_delay_alu instid0(VALU_DEP_1) | instskip(SKIP_1) | instid1(VALU_DEP_2)
	v_fmamk_f32 v1, v2, 0xcf800000, v1
	v_cvt_u32_f32_e32 v2, v2
	v_cvt_u32_f32_e32 v1, v1
	s_delay_alu instid0(VALU_DEP_2) | instskip(NEXT) | instid1(VALU_DEP_2)
	v_readfirstlane_b32 s8, v2
	v_readfirstlane_b32 s9, v1
	s_delay_alu instid0(VALU_DEP_2) | instskip(NEXT) | instid1(VALU_DEP_1)
	s_mul_i32 s16, s10, s8
	s_mul_hi_u32 s18, s10, s9
	s_mul_i32 s17, s11, s9
	s_add_i32 s16, s18, s16
	s_mul_i32 s19, s10, s9
	s_add_i32 s16, s16, s17
	s_mul_hi_u32 s18, s9, s19
	s_mul_hi_u32 s21, s8, s19
	s_mul_i32 s17, s8, s19
	s_mul_hi_u32 s19, s9, s16
	s_mul_i32 s9, s9, s16
	s_mul_hi_u32 s22, s8, s16
	s_add_u32 s9, s18, s9
	s_addc_u32 s18, 0, s19
	s_add_u32 s9, s9, s17
	s_mul_i32 s16, s8, s16
	s_addc_u32 s9, s18, s21
	s_addc_u32 s17, s22, 0
	s_add_u32 s9, s9, s16
	s_addc_u32 s16, 0, s17
	v_add_co_u32 v1, s9, v1, s9
	s_delay_alu instid0(VALU_DEP_1) | instskip(SKIP_1) | instid1(VALU_DEP_1)
	s_cmp_lg_u32 s9, 0
	s_addc_u32 s8, s8, s16
	v_readfirstlane_b32 s9, v1
	s_mul_i32 s16, s10, s8
	s_delay_alu instid0(VALU_DEP_1)
	s_mul_hi_u32 s17, s10, s9
	s_mul_i32 s11, s11, s9
	s_add_i32 s16, s17, s16
	s_mul_i32 s10, s10, s9
	s_add_i32 s16, s16, s11
	s_mul_hi_u32 s17, s8, s10
	s_mul_i32 s18, s8, s10
	s_mul_hi_u32 s10, s9, s10
	s_mul_hi_u32 s19, s9, s16
	s_mul_i32 s9, s9, s16
	s_mul_hi_u32 s11, s8, s16
	s_add_u32 s9, s10, s9
	s_addc_u32 s10, 0, s19
	s_add_u32 s9, s9, s18
	s_mul_i32 s16, s8, s16
	s_addc_u32 s9, s10, s17
	s_addc_u32 s10, s11, 0
	s_add_u32 s9, s9, s16
	s_addc_u32 s10, 0, s10
	v_add_co_u32 v1, s9, v1, s9
	s_delay_alu instid0(VALU_DEP_1) | instskip(SKIP_2) | instid1(SALU_CYCLE_1)
	s_cmp_lg_u32 s9, 0
	s_addc_u32 s16, s8, s10
	s_ashr_i32 s8, s3, 31
	s_add_u32 s10, s12, s8
	s_addc_u32 s11, s3, s8
	v_readfirstlane_b32 s3, v1
	s_mov_b32 s9, s8
	s_delay_alu instid0(SALU_CYCLE_1) | instskip(NEXT) | instid1(SALU_CYCLE_1)
	s_xor_b64 s[10:11], s[10:11], s[8:9]
	s_mul_i32 s18, s10, s16
	s_delay_alu instid0(VALU_DEP_1)
	s_mul_hi_u32 s19, s10, s3
	s_mul_hi_u32 s17, s10, s16
	;; [unrolled: 1-line block ×3, first 2 shown]
	s_mul_i32 s3, s11, s3
	s_add_u32 s18, s19, s18
	s_addc_u32 s17, 0, s17
	s_mul_hi_u32 s21, s11, s16
	s_add_u32 s3, s18, s3
	s_mul_i32 s16, s11, s16
	s_addc_u32 s3, s17, s22
	s_addc_u32 s17, s21, 0
	s_add_u32 s3, s3, s16
	s_addc_u32 s16, 0, s17
	s_mul_i32 s18, s20, s3
	s_add_u32 s17, s3, 1
	v_sub_co_u32 v1, s10, s10, s18
	s_mul_hi_u32 s18, s20, s3
	s_addc_u32 s19, s16, 0
	s_mul_i32 s21, s20, s16
	s_delay_alu instid0(VALU_DEP_1)
	v_sub_co_u32 v2, s22, v1, s20
	s_add_u32 s23, s3, 2
	s_addc_u32 s24, s16, 0
	s_add_i32 s18, s18, s21
	s_cmp_lg_u32 s10, 0
	v_readfirstlane_b32 s10, v2
	s_subb_u32 s11, s11, s18
	s_cmp_lg_u32 s22, 0
	s_subb_u32 s18, s11, 0
	s_delay_alu instid0(VALU_DEP_1) | instskip(SKIP_4) | instid1(SALU_CYCLE_1)
	s_cmp_ge_u32 s10, s20
	s_cselect_b32 s10, -1, 0
	s_cmp_eq_u32 s18, 0
	v_readfirstlane_b32 s18, v1
	s_cselect_b32 s10, s10, -1
	s_cmp_lg_u32 s10, 0
	s_cselect_b32 s10, s23, s17
	s_cselect_b32 s17, s24, s19
	s_cmp_ge_u32 s18, s20
	s_cselect_b32 s18, -1, 0
	s_cmp_eq_u32 s11, 0
	s_cselect_b32 s11, s18, -1
	s_delay_alu instid0(SALU_CYCLE_1) | instskip(SKIP_2) | instid1(SALU_CYCLE_1)
	s_cmp_lg_u32 s11, 0
	s_cselect_b32 s11, s17, s16
	s_cselect_b32 s10, s10, s3
	s_xor_b64 s[10:11], s[10:11], s[8:9]
	s_delay_alu instid0(SALU_CYCLE_1)
	s_sub_u32 s16, s10, s8
	s_load_b128 s[8:11], s[0:1], 0x44
	s_and_not1_b32 vcc_lo, exec_lo, s2
	s_cbranch_vccnz .LBB61_3
.LBB61_2:
	v_cvt_f32_u32_e32 v1, s20
	s_sub_i32 s3, 0, s20
	s_delay_alu instid0(VALU_DEP_1) | instskip(SKIP_2) | instid1(VALU_DEP_1)
	v_rcp_iflag_f32_e32 v1, v1
	s_waitcnt_depctr 0xfff
	v_mul_f32_e32 v1, 0x4f7ffffe, v1
	v_cvt_u32_f32_e32 v1, v1
	s_delay_alu instid0(VALU_DEP_1) | instskip(NEXT) | instid1(VALU_DEP_1)
	v_readfirstlane_b32 s2, v1
	s_mul_i32 s3, s3, s2
	s_delay_alu instid0(SALU_CYCLE_1) | instskip(NEXT) | instid1(SALU_CYCLE_1)
	s_mul_hi_u32 s3, s2, s3
	s_add_i32 s2, s2, s3
	s_delay_alu instid0(SALU_CYCLE_1) | instskip(NEXT) | instid1(SALU_CYCLE_1)
	s_mul_hi_u32 s2, s12, s2
	s_mul_i32 s3, s2, s20
	s_waitcnt lgkmcnt(0)
	s_add_i32 s11, s2, 1
	s_sub_i32 s3, s12, s3
	s_delay_alu instid0(SALU_CYCLE_1)
	s_sub_i32 s12, s3, s20
	s_cmp_ge_u32 s3, s20
	s_cselect_b32 s2, s11, s2
	s_cselect_b32 s3, s12, s3
	s_add_i32 s11, s2, 1
	s_cmp_ge_u32 s3, s20
	s_cselect_b32 s16, s11, s2
.LBB61_3:
	s_waitcnt lgkmcnt(0)
	s_add_i32 s11, s13, 1
	s_mov_b32 s2, 0
	s_mul_hi_i32 s3, s7, s11
	s_mul_i32 s11, s7, s11
	s_cmp_lg_u64 s[2:3], 0
	s_cbranch_scc0 .LBB61_22
; %bb.4:
	v_cvt_f32_ubyte0_e32 v1, 0
	v_cvt_f32_u32_e32 v2, s20
	s_sub_u32 s18, 0, s20
	s_subb_u32 s19, 0, 0
	s_delay_alu instid0(VALU_DEP_1) | instskip(NEXT) | instid1(VALU_DEP_1)
	v_fmamk_f32 v1, v1, 0x4f800000, v2
	v_rcp_f32_e32 v1, v1
	s_waitcnt_depctr 0xfff
	v_mul_f32_e32 v1, 0x5f7ffffc, v1
	s_delay_alu instid0(VALU_DEP_1) | instskip(NEXT) | instid1(VALU_DEP_1)
	v_mul_f32_e32 v2, 0x2f800000, v1
	v_trunc_f32_e32 v2, v2
	s_delay_alu instid0(VALU_DEP_1) | instskip(SKIP_1) | instid1(VALU_DEP_2)
	v_fmamk_f32 v1, v2, 0xcf800000, v1
	v_cvt_u32_f32_e32 v2, v2
	v_cvt_u32_f32_e32 v1, v1
	s_delay_alu instid0(VALU_DEP_2) | instskip(NEXT) | instid1(VALU_DEP_2)
	v_readfirstlane_b32 s12, v2
	v_readfirstlane_b32 s17, v1
	s_delay_alu instid0(VALU_DEP_2) | instskip(NEXT) | instid1(VALU_DEP_1)
	s_mul_i32 s21, s18, s12
	s_mul_hi_u32 s23, s18, s17
	s_mul_i32 s22, s19, s17
	s_add_i32 s21, s23, s21
	s_mul_i32 s24, s18, s17
	s_add_i32 s21, s21, s22
	s_mul_hi_u32 s23, s17, s24
	s_mul_hi_u32 s25, s12, s24
	s_mul_i32 s22, s12, s24
	s_mul_hi_u32 s24, s17, s21
	s_mul_i32 s17, s17, s21
	s_mul_hi_u32 s26, s12, s21
	s_add_u32 s17, s23, s17
	s_addc_u32 s23, 0, s24
	s_add_u32 s17, s17, s22
	s_mul_i32 s21, s12, s21
	s_addc_u32 s17, s23, s25
	s_addc_u32 s22, s26, 0
	s_add_u32 s17, s17, s21
	s_addc_u32 s21, 0, s22
	v_add_co_u32 v1, s17, v1, s17
	s_delay_alu instid0(VALU_DEP_1) | instskip(SKIP_1) | instid1(VALU_DEP_1)
	s_cmp_lg_u32 s17, 0
	s_addc_u32 s12, s12, s21
	v_readfirstlane_b32 s17, v1
	s_mul_i32 s21, s18, s12
	s_delay_alu instid0(VALU_DEP_1)
	s_mul_hi_u32 s22, s18, s17
	s_mul_i32 s19, s19, s17
	s_add_i32 s21, s22, s21
	s_mul_i32 s18, s18, s17
	s_add_i32 s21, s21, s19
	s_mul_hi_u32 s22, s12, s18
	s_mul_i32 s23, s12, s18
	s_mul_hi_u32 s18, s17, s18
	s_mul_hi_u32 s24, s17, s21
	s_mul_i32 s17, s17, s21
	s_mul_hi_u32 s19, s12, s21
	s_add_u32 s17, s18, s17
	s_addc_u32 s18, 0, s24
	s_add_u32 s17, s17, s23
	s_mul_i32 s21, s12, s21
	s_addc_u32 s17, s18, s22
	s_addc_u32 s18, s19, 0
	s_add_u32 s17, s17, s21
	s_addc_u32 s18, 0, s18
	v_add_co_u32 v1, s17, v1, s17
	s_delay_alu instid0(VALU_DEP_1) | instskip(SKIP_2) | instid1(SALU_CYCLE_1)
	s_cmp_lg_u32 s17, 0
	s_addc_u32 s12, s12, s18
	s_ashr_i32 s18, s3, 31
	s_add_u32 s22, s11, s18
	s_addc_u32 s23, s3, s18
	v_readfirstlane_b32 s3, v1
	s_mov_b32 s19, s18
	s_delay_alu instid0(SALU_CYCLE_1) | instskip(NEXT) | instid1(SALU_CYCLE_1)
	s_xor_b64 s[22:23], s[22:23], s[18:19]
	s_mul_i32 s21, s22, s12
	s_delay_alu instid0(VALU_DEP_1)
	s_mul_hi_u32 s24, s22, s3
	s_mul_hi_u32 s17, s22, s12
	;; [unrolled: 1-line block ×3, first 2 shown]
	s_mul_i32 s3, s23, s3
	s_add_u32 s21, s24, s21
	s_addc_u32 s17, 0, s17
	s_mul_hi_u32 s25, s23, s12
	s_add_u32 s3, s21, s3
	s_mul_i32 s12, s23, s12
	s_addc_u32 s3, s17, s26
	s_addc_u32 s17, s25, 0
	s_add_u32 s3, s3, s12
	s_addc_u32 s12, 0, s17
	s_mul_i32 s21, s20, s3
	s_add_u32 s17, s3, 1
	v_sub_co_u32 v1, s21, s22, s21
	s_mul_hi_u32 s22, s20, s3
	s_addc_u32 s24, s12, 0
	s_mul_i32 s25, s20, s12
	s_delay_alu instid0(VALU_DEP_1)
	v_sub_co_u32 v2, s26, v1, s20
	s_add_u32 s27, s3, 2
	s_addc_u32 s28, s12, 0
	s_add_i32 s22, s22, s25
	s_cmp_lg_u32 s21, 0
	v_readfirstlane_b32 s21, v2
	s_subb_u32 s22, s23, s22
	s_cmp_lg_u32 s26, 0
	s_subb_u32 s23, s22, 0
	s_delay_alu instid0(VALU_DEP_1) | instskip(SKIP_4) | instid1(SALU_CYCLE_1)
	s_cmp_ge_u32 s21, s20
	s_cselect_b32 s21, -1, 0
	s_cmp_eq_u32 s23, 0
	v_readfirstlane_b32 s23, v1
	s_cselect_b32 s21, s21, -1
	s_cmp_lg_u32 s21, 0
	s_cselect_b32 s17, s27, s17
	s_cselect_b32 s21, s28, s24
	s_cmp_ge_u32 s23, s20
	s_cselect_b32 s23, -1, 0
	s_cmp_eq_u32 s22, 0
	s_cselect_b32 s22, s23, -1
	s_delay_alu instid0(SALU_CYCLE_1) | instskip(SKIP_2) | instid1(SALU_CYCLE_1)
	s_cmp_lg_u32 s22, 0
	s_cselect_b32 s23, s21, s12
	s_cselect_b32 s22, s17, s3
	s_xor_b64 s[22:23], s[22:23], s[18:19]
	s_delay_alu instid0(SALU_CYCLE_1)
	s_sub_u32 s18, s22, s18
	s_and_not1_b32 vcc_lo, exec_lo, s2
	s_cbranch_vccnz .LBB61_6
.LBB61_5:
	v_cvt_f32_u32_e32 v1, s20
	s_sub_i32 s3, 0, s20
	s_delay_alu instid0(VALU_DEP_1) | instskip(SKIP_2) | instid1(VALU_DEP_1)
	v_rcp_iflag_f32_e32 v1, v1
	s_waitcnt_depctr 0xfff
	v_mul_f32_e32 v1, 0x4f7ffffe, v1
	v_cvt_u32_f32_e32 v1, v1
	s_delay_alu instid0(VALU_DEP_1) | instskip(NEXT) | instid1(VALU_DEP_1)
	v_readfirstlane_b32 s2, v1
	s_mul_i32 s3, s3, s2
	s_delay_alu instid0(SALU_CYCLE_1) | instskip(NEXT) | instid1(SALU_CYCLE_1)
	s_mul_hi_u32 s3, s2, s3
	s_add_i32 s2, s2, s3
	s_delay_alu instid0(SALU_CYCLE_1) | instskip(NEXT) | instid1(SALU_CYCLE_1)
	s_mul_hi_u32 s2, s11, s2
	s_mul_i32 s3, s2, s20
	s_delay_alu instid0(SALU_CYCLE_1)
	s_sub_i32 s3, s11, s3
	s_add_i32 s11, s2, 1
	s_sub_i32 s12, s3, s20
	s_cmp_ge_u32 s3, s20
	s_cselect_b32 s2, s11, s2
	s_cselect_b32 s3, s12, s3
	s_add_i32 s11, s2, 1
	s_cmp_ge_u32 s3, s20
	s_cselect_b32 s18, s11, s2
.LBB61_6:
	s_delay_alu instid0(SALU_CYCLE_1) | instskip(SKIP_3) | instid1(SALU_CYCLE_1)
	s_cmp_eq_u32 s16, s18
	s_mul_hi_u32 s2, s16, s8
	s_cselect_b32 s3, -1, 0
	s_add_i32 s2, s2, s16
	s_lshr_b32 s11, s2, s9
	s_delay_alu instid0(SALU_CYCLE_1) | instskip(NEXT) | instid1(SALU_CYCLE_1)
	s_mul_i32 s2, s11, s10
	s_cmp_eq_u32 s2, s16
	s_mul_hi_u32 s2, s18, s8
	s_cselect_b32 s12, -1, 0
	s_add_i32 s2, s2, s18
	s_delay_alu instid0(SALU_CYCLE_1) | instskip(NEXT) | instid1(SALU_CYCLE_1)
	s_lshr_b32 s2, s2, s9
	s_cmp_eq_u32 s11, s2
	s_mul_i32 s2, s2, s10
	s_cselect_b32 s17, -1, 0
	s_cmp_lg_u32 s2, s18
	s_cselect_b32 s2, -1, 0
	s_or_b32 s3, s3, s12
	s_and_b32 s2, s17, s2
	s_delay_alu instid0(SALU_CYCLE_1) | instskip(NEXT) | instid1(SALU_CYCLE_1)
	s_or_b32 s2, s3, s2
	s_and_b32 vcc_lo, exec_lo, s2
	s_cbranch_vccnz .LBB61_24
; %bb.7:
	s_load_b256 s[24:31], s[0:1], 0x20
	s_waitcnt lgkmcnt(0)
	s_mul_hi_u32 s2, s16, s24
	s_delay_alu instid0(SALU_CYCLE_1) | instskip(NEXT) | instid1(SALU_CYCLE_1)
	s_add_i32 s2, s2, s16
	s_lshr_b32 s18, s2, s25
	s_load_b32 s2, s[0:1], 0x40
	s_mul_i32 s3, s18, s26
	s_delay_alu instid0(SALU_CYCLE_1) | instskip(NEXT) | instid1(SALU_CYCLE_1)
	s_sub_i32 s3, s16, s3
	s_mul_hi_u32 s12, s3, s27
	s_delay_alu instid0(SALU_CYCLE_1) | instskip(NEXT) | instid1(SALU_CYCLE_1)
	s_add_i32 s12, s3, s12
	s_lshr_b32 s21, s12, s28
	s_delay_alu instid0(SALU_CYCLE_1) | instskip(NEXT) | instid1(SALU_CYCLE_1)
	s_mul_i32 s12, s21, s29
	s_sub_i32 s3, s3, s12
	s_delay_alu instid0(SALU_CYCLE_1) | instskip(NEXT) | instid1(SALU_CYCLE_1)
	s_mul_hi_u32 s12, s3, s30
	s_add_i32 s12, s3, s12
	s_delay_alu instid0(SALU_CYCLE_1) | instskip(SKIP_3) | instid1(SALU_CYCLE_1)
	s_lshr_b32 s22, s12, s31
	s_mov_b32 s12, 0
	s_waitcnt lgkmcnt(0)
	s_mul_i32 s2, s22, s2
	s_sub_i32 s2, s3, s2
	s_delay_alu instid0(SALU_CYCLE_1) | instskip(NEXT) | instid1(SALU_CYCLE_1)
	s_mul_hi_u32 s3, s2, s8
	s_add_i32 s2, s2, s3
	s_delay_alu instid0(SALU_CYCLE_1) | instskip(NEXT) | instid1(SALU_CYCLE_1)
	s_lshr_b32 s23, s2, s9
	s_lshl_b32 s2, s23, 4
	s_delay_alu instid0(SALU_CYCLE_1) | instskip(NEXT) | instid1(SALU_CYCLE_1)
	s_add_i32 s2, s2, s14
	s_cmp_lt_i32 s2, s4
	s_cselect_b32 s2, -1, 0
	s_add_i32 s3, s22, s15
	s_delay_alu instid0(SALU_CYCLE_1) | instskip(SKIP_1) | instid1(SALU_CYCLE_1)
	s_cmp_lt_i32 s3, s6
	s_cselect_b32 s3, -1, 0
	s_and_b32 s2, s2, s3
	s_delay_alu instid0(SALU_CYCLE_1)
	s_and_not1_b32 vcc_lo, exec_lo, s2
	s_cbranch_vccnz .LBB61_24
; %bb.8:
	s_load_b128 s[0:3], s[0:1], 0x0
	s_lshl_b32 s24, s20, 6
	s_mov_b32 s25, s12
	s_add_i32 s17, s14, s15
	s_lshl_b64 s[24:25], s[24:25], 2
	s_mul_i32 s4, s18, s4
	s_mul_i32 s21, s21, s6
	v_cvt_f32_ubyte0_e32 v4, 0
	v_cvt_f32_u32_e32 v5, s20
	s_waitcnt lgkmcnt(0)
	s_add_u32 s18, s2, s24
	s_addc_u32 s19, s3, s25
	s_add_i32 s4, s4, s14
	s_delay_alu instid0(SALU_CYCLE_1) | instskip(SKIP_4) | instid1(SALU_CYCLE_1)
	s_mul_i32 s4, s4, s5
	s_mul_i32 s5, s5, s23
	s_add_i32 s4, s4, s15
	s_lshl_b32 s5, s5, 10
	s_add_i32 s4, s4, s21
	s_add_i32 s4, s4, s22
	s_delay_alu instid0(SALU_CYCLE_1) | instskip(NEXT) | instid1(SALU_CYCLE_1)
	s_lshl_b32 s4, s4, 6
	s_add_i32 s5, s5, s4
	s_delay_alu instid0(SALU_CYCLE_1) | instskip(SKIP_1) | instid1(VALU_DEP_2)
	v_or_b32_e32 v1, s5, v0
	v_lshl_or_b32 v0, s17, 6, v0
	v_ashrrev_i32_e32 v2, 31, v1
	s_delay_alu instid0(VALU_DEP_1) | instskip(NEXT) | instid1(VALU_DEP_1)
	v_lshlrev_b64 v[1:2], 2, v[1:2]
	v_add_co_u32 v1, vcc_lo, s0, v1
	s_delay_alu instid0(VALU_DEP_2) | instskip(SKIP_1) | instid1(SALU_CYCLE_1)
	v_add_co_ci_u32_e32 v2, vcc_lo, s1, v2, vcc_lo
	s_lshl_b32 s0, s13, 4
	s_add_i32 s0, s0, s17
	global_load_b32 v3, v[1:2], off
	s_ashr_i32 s1, s0, 31
	s_delay_alu instid0(SALU_CYCLE_1) | instskip(NEXT) | instid1(SALU_CYCLE_1)
	s_lshl_b64 s[0:1], s[0:1], 3
	s_add_u32 s0, s2, s0
	s_addc_u32 s1, s3, s1
	s_add_i32 s14, s13, -1
	s_load_b64 s[0:1], s[0:1], 0x0
	v_fmac_f32_e32 v5, 0x4f800000, v4
	s_sub_i32 s6, 0, s20
	s_waitcnt lgkmcnt(0)
	v_mov_b32_e32 v8, s0
	s_delay_alu instid0(VALU_DEP_2) | instskip(SKIP_2) | instid1(VALU_DEP_2)
	v_rcp_f32_e32 v4, v5
	v_cvt_f32_u32_e32 v5, s20
	v_mov_b32_e32 v7, s1
	v_rcp_iflag_f32_e32 v5, v5
	s_waitcnt_depctr 0xfff
	v_mul_f32_e32 v4, 0x5f7ffffc, v4
	s_delay_alu instid0(VALU_DEP_1) | instskip(SKIP_1) | instid1(VALU_DEP_2)
	v_mul_f32_e32 v6, 0x2f800000, v4
	v_mul_f32_e32 v9, 0x4f7ffffe, v5
	v_trunc_f32_e32 v6, v6
	s_delay_alu instid0(VALU_DEP_1) | instskip(SKIP_1) | instid1(VALU_DEP_4)
	v_fmac_f32_e32 v4, 0xcf800000, v6
	v_cvt_u32_f32_e32 v5, v6
	v_cvt_u32_f32_e32 v6, v9
	s_delay_alu instid0(VALU_DEP_3)
	v_cvt_u32_f32_e32 v4, v4
.LBB61_9:                               ; =>This Inner Loop Header: Depth=1
	s_mul_hi_i32 s13, s14, s7
	s_mul_i32 s4, s14, s7
	s_cmp_lg_u64 s[12:13], 0
	s_mov_b32 s5, -1
                                        ; implicit-def: $sgpr0_sgpr1
	s_cbranch_scc0 .LBB61_11
; %bb.10:                               ;   in Loop: Header=BB61_9 Depth=1
	v_readfirstlane_b32 s0, v4
	v_readfirstlane_b32 s1, v5
	s_sub_u32 s5, 0, s20
	s_subb_u32 s15, 0, 0
	s_delay_alu instid0(VALU_DEP_2) | instskip(NEXT) | instid1(VALU_DEP_1)
	s_mul_hi_u32 s21, s5, s0
	s_mul_i32 s22, s5, s1
	s_mul_i32 s23, s15, s0
	s_add_i32 s21, s21, s22
	s_mul_i32 s22, s5, s0
	s_add_i32 s21, s21, s23
	s_mul_hi_u32 s23, s0, s22
	s_mul_i32 s24, s0, s21
	s_mul_hi_u32 s0, s0, s21
	s_add_u32 s23, s23, s24
	s_mul_i32 s25, s1, s22
	s_addc_u32 s0, 0, s0
	s_mul_hi_u32 s22, s1, s22
	s_mul_hi_u32 s24, s1, s21
	s_add_u32 s23, s23, s25
	s_addc_u32 s0, s0, s22
	s_mul_i32 s21, s1, s21
	s_addc_u32 s22, s24, 0
	s_add_u32 s0, s0, s21
	s_addc_u32 s21, 0, s22
	v_add_co_u32 v9, s0, v4, s0
	s_delay_alu instid0(VALU_DEP_1) | instskip(SKIP_1) | instid1(VALU_DEP_1)
	s_cmp_lg_u32 s0, 0
	s_addc_u32 s1, s1, s21
	v_readfirstlane_b32 s0, v9
	s_mul_i32 s21, s5, s1
	s_delay_alu instid0(VALU_DEP_1)
	s_mul_hi_u32 s22, s5, s0
	s_mul_i32 s15, s15, s0
	s_add_i32 s21, s22, s21
	s_mul_i32 s5, s5, s0
	s_add_i32 s21, s21, s15
	s_mul_hi_u32 s15, s1, s5
	s_mul_i32 s23, s1, s5
	s_mul_i32 s24, s0, s21
	s_mul_hi_u32 s5, s0, s5
	s_mul_hi_u32 s0, s0, s21
	s_add_u32 s5, s5, s24
	s_addc_u32 s0, 0, s0
	s_mul_hi_u32 s22, s1, s21
	s_add_u32 s5, s5, s23
	s_addc_u32 s0, s0, s15
	s_mul_i32 s5, s1, s21
	s_addc_u32 s15, s22, 0
	s_add_u32 s0, s0, s5
	s_addc_u32 s5, 0, s15
	v_add_co_u32 v9, s0, v9, s0
	s_delay_alu instid0(VALU_DEP_1) | instskip(SKIP_2) | instid1(SALU_CYCLE_1)
	s_cmp_lg_u32 s0, 0
	s_addc_u32 s5, s1, s5
	s_ashr_i32 s0, s13, 31
	s_add_u32 s22, s4, s0
	s_addc_u32 s23, s13, s0
	v_readfirstlane_b32 s13, v9
	s_mov_b32 s1, s0
	s_delay_alu instid0(SALU_CYCLE_1) | instskip(NEXT) | instid1(SALU_CYCLE_1)
	s_xor_b64 s[22:23], s[22:23], s[0:1]
	s_mul_i32 s15, s22, s5
	s_delay_alu instid0(VALU_DEP_1)
	s_mul_hi_u32 s21, s22, s13
	s_mul_hi_u32 s24, s22, s5
	s_add_u32 s15, s21, s15
	s_mul_i32 s25, s23, s13
	s_addc_u32 s21, 0, s24
	s_mul_hi_u32 s13, s23, s13
	s_mul_hi_u32 s24, s23, s5
	s_add_u32 s15, s15, s25
	s_addc_u32 s13, s21, s13
	s_mul_i32 s5, s23, s5
	s_addc_u32 s15, s24, 0
	s_add_u32 s5, s13, s5
	s_addc_u32 s13, 0, s15
	s_mul_i32 s21, s20, s5
	s_add_u32 s15, s5, 1
	v_sub_co_u32 v9, s21, s22, s21
	s_addc_u32 s22, s13, 0
	s_mul_i32 s25, s20, s13
	s_mul_hi_u32 s27, s20, s5
	s_delay_alu instid0(VALU_DEP_1)
	v_sub_co_u32 v10, s26, v9, s20
	s_add_u32 s24, s5, 2
	s_addc_u32 s28, s13, 0
	s_add_i32 s27, s27, s25
	s_cmp_lg_u32 s21, 0
	v_readfirstlane_b32 s21, v10
	s_subb_u32 s23, s23, s27
	s_cmp_lg_u32 s26, 0
	s_subb_u32 s25, s23, 0
	s_delay_alu instid0(VALU_DEP_1) | instskip(SKIP_4) | instid1(SALU_CYCLE_1)
	s_cmp_ge_u32 s21, s20
	s_cselect_b32 s21, -1, 0
	s_cmp_eq_u32 s25, 0
	v_readfirstlane_b32 s25, v9
	s_cselect_b32 s21, s21, -1
	s_cmp_lg_u32 s21, 0
	s_cselect_b32 s15, s24, s15
	s_cselect_b32 s21, s28, s22
	s_cmp_ge_u32 s25, s20
	s_cselect_b32 s22, -1, 0
	s_cmp_eq_u32 s23, 0
	s_cselect_b32 s22, s22, -1
	s_delay_alu instid0(SALU_CYCLE_1) | instskip(SKIP_4) | instid1(SALU_CYCLE_1)
	s_cmp_lg_u32 s22, 0
	s_cselect_b32 s23, s21, s13
	s_cselect_b32 s22, s15, s5
	s_mov_b32 s5, 0
	s_xor_b64 s[22:23], s[22:23], s[0:1]
	s_sub_u32 s0, s22, s0
.LBB61_11:                              ;   in Loop: Header=BB61_9 Depth=1
	s_and_not1_b32 vcc_lo, exec_lo, s5
	s_cbranch_vccnz .LBB61_13
; %bb.12:                               ;   in Loop: Header=BB61_9 Depth=1
	v_readfirstlane_b32 s0, v6
	s_delay_alu instid0(VALU_DEP_1) | instskip(NEXT) | instid1(SALU_CYCLE_1)
	s_mul_i32 s1, s6, s0
	s_mul_hi_u32 s1, s0, s1
	s_delay_alu instid0(SALU_CYCLE_1) | instskip(NEXT) | instid1(SALU_CYCLE_1)
	s_add_i32 s0, s0, s1
	s_mul_hi_u32 s0, s4, s0
	s_delay_alu instid0(SALU_CYCLE_1) | instskip(NEXT) | instid1(SALU_CYCLE_1)
	s_mul_i32 s1, s0, s20
	s_sub_i32 s1, s4, s1
	s_add_i32 s4, s0, 1
	s_sub_i32 s5, s1, s20
	s_cmp_ge_u32 s1, s20
	s_cselect_b32 s0, s4, s0
	s_cselect_b32 s1, s5, s1
	s_add_i32 s4, s0, 1
	s_cmp_ge_u32 s1, s20
	s_cselect_b32 s0, s4, s0
.LBB61_13:                              ;   in Loop: Header=BB61_9 Depth=1
	s_delay_alu instid0(SALU_CYCLE_1)
	s_cmp_lg_u32 s16, s0
	s_cbranch_scc0 .LBB61_17
; %bb.14:                               ;   in Loop: Header=BB61_9 Depth=1
	s_add_i32 s1, s14, s20
	s_mov_b32 s5, s12
	s_lshl_b32 s1, s1, 4
	s_mov_b32 s15, s16
	s_add_i32 s4, s1, s17
	s_mul_hi_u32 s1, s0, s8
	s_lshl_b64 s[4:5], s[4:5], 3
	s_delay_alu instid0(SALU_CYCLE_1) | instskip(SKIP_2) | instid1(SALU_CYCLE_1)
	s_add_u32 s4, s2, s4
	s_addc_u32 s5, s3, s5
	s_add_i32 s1, s1, s0
	s_lshr_b32 s1, s1, s9
	s_delay_alu instid0(SALU_CYCLE_1) | instskip(NEXT) | instid1(SALU_CYCLE_1)
	s_mul_i32 s13, s1, s10
	s_cmp_eq_u32 s13, s0
	s_cselect_b32 s13, -1, 0
	s_cmp_lt_u32 s1, s11
	s_cselect_b32 s1, -1, 0
	s_delay_alu instid0(SALU_CYCLE_1)
	s_or_b32 s1, s1, s13
	s_mov_b32 s13, -1
	s_and_b32 vcc_lo, exec_lo, s1
	s_mov_b32 s1, s14
	s_cbranch_vccnz .LBB61_16
; %bb.15:                               ;   in Loop: Header=BB61_9 Depth=1
	s_add_i32 s1, s14, -1
	s_mov_b32 s13, 0
	s_mov_b32 s15, s0
.LBB61_16:                              ;   in Loop: Header=BB61_9 Depth=1
	v_lshl_add_u32 v9, s14, 10, v0
	s_load_b64 s[4:5], s[4:5], 0x0
	s_delay_alu instid0(VALU_DEP_1) | instskip(NEXT) | instid1(VALU_DEP_1)
	v_ashrrev_i32_e32 v10, 31, v9
	v_lshlrev_b64 v[9:10], 2, v[9:10]
	s_delay_alu instid0(VALU_DEP_1) | instskip(NEXT) | instid1(VALU_DEP_2)
	v_add_co_u32 v9, vcc_lo, s18, v9
	v_add_co_ci_u32_e32 v10, vcc_lo, s19, v10, vcc_lo
	s_waitcnt lgkmcnt(0)
	v_max_f32_e64 v11, s4, s4
	global_load_b32 v10, v[9:10], off
	v_max_f32_e32 v9, v8, v8
	s_delay_alu instid0(VALU_DEP_1) | instskip(NEXT) | instid1(VALU_DEP_1)
	v_max_f32_e32 v9, v9, v11
	v_sub_f32_e32 v12, v8, v9
	s_delay_alu instid0(VALU_DEP_1) | instskip(NEXT) | instid1(VALU_DEP_1)
	v_dual_mul_f32 v14, 0x3fb8aa3b, v12 :: v_dual_sub_f32 v11, s4, v9
	v_rndne_f32_e32 v18, v14
	s_delay_alu instid0(VALU_DEP_2) | instskip(SKIP_2) | instid1(VALU_DEP_4)
	v_mul_f32_e32 v13, 0x3fb8aa3b, v11
	v_fma_f32 v17, 0x3fb8aa3b, v12, -v14
	v_cmp_ngt_f32_e32 vcc_lo, 0xc2ce8ed0, v11
	v_sub_f32_e32 v14, v14, v18
	s_delay_alu instid0(VALU_DEP_4) | instskip(SKIP_2) | instid1(VALU_DEP_3)
	v_fma_f32 v15, 0x3fb8aa3b, v11, -v13
	v_rndne_f32_e32 v16, v13
	v_fmac_f32_e32 v17, 0x32a5705f, v12
	v_fmac_f32_e32 v15, 0x32a5705f, v11
	s_delay_alu instid0(VALU_DEP_2) | instskip(NEXT) | instid1(VALU_DEP_1)
	v_dual_sub_f32 v13, v13, v16 :: v_dual_add_f32 v14, v14, v17
	v_add_f32_e32 v13, v13, v15
	s_delay_alu instid0(VALU_DEP_2) | instskip(SKIP_2) | instid1(VALU_DEP_3)
	v_exp_f32_e32 v14, v14
	v_cvt_i32_f32_e32 v15, v16
	v_cvt_i32_f32_e32 v16, v18
	v_exp_f32_e32 v13, v13
	s_waitcnt_depctr 0xfff
	v_ldexp_f32 v14, v14, v16
	v_ldexp_f32 v13, v13, v15
	s_delay_alu instid0(VALU_DEP_1) | instskip(SKIP_1) | instid1(VALU_DEP_4)
	v_cndmask_b32_e32 v13, 0, v13, vcc_lo
	v_cmp_ngt_f32_e32 vcc_lo, 0xc2ce8ed0, v12
	v_cndmask_b32_e32 v14, 0, v14, vcc_lo
	v_cmp_nlt_f32_e32 vcc_lo, 0x42b17218, v11
	s_delay_alu instid0(VALU_DEP_4) | instskip(SKIP_1) | instid1(VALU_DEP_4)
	v_cndmask_b32_e32 v13, 0x7f800000, v13, vcc_lo
	v_cmp_nlt_f32_e32 vcc_lo, 0x42b17218, v12
	v_cndmask_b32_e32 v14, 0x7f800000, v14, vcc_lo
	v_cmp_le_f32_e32 vcc_lo, 0xc1a00000, v11
	s_delay_alu instid0(VALU_DEP_4) | instskip(SKIP_1) | instid1(VALU_DEP_4)
	v_cndmask_b32_e32 v11, 0, v13, vcc_lo
	v_cmp_le_f32_e32 vcc_lo, 0xc1a00000, v12
	v_cndmask_b32_e32 v12, 0, v14, vcc_lo
	s_waitcnt vmcnt(0)
	s_delay_alu instid0(VALU_DEP_3) | instskip(NEXT) | instid1(VALU_DEP_1)
	v_mul_f32_e32 v10, v10, v11
	v_dual_mul_f32 v11, s5, v11 :: v_dual_fmac_f32 v10, v3, v12
	s_delay_alu instid0(VALU_DEP_1)
	v_fmac_f32_e32 v11, v7, v12
	s_cbranch_execz .LBB61_18
	s_branch .LBB61_19
.LBB61_17:                              ;   in Loop: Header=BB61_9 Depth=1
                                        ; implicit-def: $sgpr13
                                        ; implicit-def: $vgpr10
                                        ; implicit-def: $vgpr9
                                        ; implicit-def: $vgpr11
                                        ; implicit-def: $sgpr1
                                        ; implicit-def: $sgpr15
.LBB61_18:                              ;   in Loop: Header=BB61_9 Depth=1
	v_mov_b32_e32 v11, v7
	s_waitcnt vmcnt(0)
	v_dual_mov_b32 v9, v8 :: v_dual_mov_b32 v10, v3
	s_add_i32 s1, s14, -1
	s_mov_b32 s13, 0
	s_mov_b32 s15, s16
.LBB61_19:                              ;   in Loop: Header=BB61_9 Depth=1
	s_and_not1_b32 vcc_lo, exec_lo, s13
	s_cbranch_vccz .LBB61_23
; %bb.20:                               ;   in Loop: Header=BB61_9 Depth=1
	v_dual_mov_b32 v7, v11 :: v_dual_mov_b32 v8, v9
	s_waitcnt vmcnt(0)
	v_mov_b32_e32 v3, v10
	s_mov_b32 s16, s15
	s_mov_b32 s14, s1
	s_branch .LBB61_9
.LBB61_21:
                                        ; implicit-def: $sgpr16_sgpr17
	s_load_b128 s[8:11], s[0:1], 0x44
	s_branch .LBB61_2
.LBB61_22:
                                        ; implicit-def: $sgpr18_sgpr19
	s_branch .LBB61_5
.LBB61_23:
	v_div_scale_f32 v0, null, v11, v11, v10
	s_waitcnt vmcnt(0)
	s_delay_alu instid0(VALU_DEP_1) | instskip(SKIP_2) | instid1(VALU_DEP_1)
	v_rcp_f32_e32 v3, v0
	s_waitcnt_depctr 0xfff
	v_fma_f32 v4, -v0, v3, 1.0
	v_fmac_f32_e32 v3, v4, v3
	v_div_scale_f32 v4, vcc_lo, v10, v11, v10
	s_delay_alu instid0(VALU_DEP_1) | instskip(NEXT) | instid1(VALU_DEP_1)
	v_mul_f32_e32 v5, v4, v3
	v_fma_f32 v6, -v0, v5, v4
	s_delay_alu instid0(VALU_DEP_1) | instskip(NEXT) | instid1(VALU_DEP_1)
	v_fmac_f32_e32 v5, v6, v3
	v_fma_f32 v0, -v0, v5, v4
	s_delay_alu instid0(VALU_DEP_1) | instskip(NEXT) | instid1(VALU_DEP_1)
	v_div_fmas_f32 v0, v0, v3, v5
	v_div_fixup_f32 v0, v0, v11, v10
	global_store_b32 v[1:2], v0, off
.LBB61_24:
	s_nop 0
	s_sendmsg sendmsg(MSG_DEALLOC_VGPRS)
	s_endpgm
	.section	.rodata,"a",@progbits
	.p2align	6, 0x0
	.amdhsa_kernel _ZL33flash_attn_stream_k_fixup_generalILi64ELi16ELi1EEvPfPK15HIP_vector_typeIfLj2EEiiiiS1_IjLj3EES5_S5_S5_
		.amdhsa_group_segment_fixed_size 0
		.amdhsa_private_segment_fixed_size 0
		.amdhsa_kernarg_size 336
		.amdhsa_user_sgpr_count 13
		.amdhsa_user_sgpr_dispatch_ptr 0
		.amdhsa_user_sgpr_queue_ptr 0
		.amdhsa_user_sgpr_kernarg_segment_ptr 1
		.amdhsa_user_sgpr_dispatch_id 0
		.amdhsa_user_sgpr_private_segment_size 0
		.amdhsa_wavefront_size32 1
		.amdhsa_uses_dynamic_stack 0
		.amdhsa_enable_private_segment 0
		.amdhsa_system_sgpr_workgroup_id_x 1
		.amdhsa_system_sgpr_workgroup_id_y 1
		.amdhsa_system_sgpr_workgroup_id_z 1
		.amdhsa_system_sgpr_workgroup_info 0
		.amdhsa_system_vgpr_workitem_id 0
		.amdhsa_next_free_vgpr 19
		.amdhsa_next_free_sgpr 32
		.amdhsa_reserve_vcc 1
		.amdhsa_float_round_mode_32 0
		.amdhsa_float_round_mode_16_64 0
		.amdhsa_float_denorm_mode_32 3
		.amdhsa_float_denorm_mode_16_64 3
		.amdhsa_dx10_clamp 1
		.amdhsa_ieee_mode 1
		.amdhsa_fp16_overflow 0
		.amdhsa_workgroup_processor_mode 1
		.amdhsa_memory_ordered 1
		.amdhsa_forward_progress 0
		.amdhsa_shared_vgpr_count 0
		.amdhsa_exception_fp_ieee_invalid_op 0
		.amdhsa_exception_fp_denorm_src 0
		.amdhsa_exception_fp_ieee_div_zero 0
		.amdhsa_exception_fp_ieee_overflow 0
		.amdhsa_exception_fp_ieee_underflow 0
		.amdhsa_exception_fp_ieee_inexact 0
		.amdhsa_exception_int_div_zero 0
	.end_amdhsa_kernel
	.section	.text._ZL33flash_attn_stream_k_fixup_generalILi64ELi16ELi1EEvPfPK15HIP_vector_typeIfLj2EEiiiiS1_IjLj3EES5_S5_S5_,"axG",@progbits,_ZL33flash_attn_stream_k_fixup_generalILi64ELi16ELi1EEvPfPK15HIP_vector_typeIfLj2EEiiiiS1_IjLj3EES5_S5_S5_,comdat
.Lfunc_end61:
	.size	_ZL33flash_attn_stream_k_fixup_generalILi64ELi16ELi1EEvPfPK15HIP_vector_typeIfLj2EEiiiiS1_IjLj3EES5_S5_S5_, .Lfunc_end61-_ZL33flash_attn_stream_k_fixup_generalILi64ELi16ELi1EEvPfPK15HIP_vector_typeIfLj2EEiiiiS1_IjLj3EES5_S5_S5_
                                        ; -- End function
	.section	.AMDGPU.csdata,"",@progbits
; Kernel info:
; codeLenInByte = 3220
; NumSgprs: 34
; NumVgprs: 19
; ScratchSize: 0
; MemoryBound: 0
; FloatMode: 240
; IeeeMode: 1
; LDSByteSize: 0 bytes/workgroup (compile time only)
; SGPRBlocks: 4
; VGPRBlocks: 2
; NumSGPRsForWavesPerEU: 34
; NumVGPRsForWavesPerEU: 19
; Occupancy: 16
; WaveLimiterHint : 0
; COMPUTE_PGM_RSRC2:SCRATCH_EN: 0
; COMPUTE_PGM_RSRC2:USER_SGPR: 13
; COMPUTE_PGM_RSRC2:TRAP_HANDLER: 0
; COMPUTE_PGM_RSRC2:TGID_X_EN: 1
; COMPUTE_PGM_RSRC2:TGID_Y_EN: 1
; COMPUTE_PGM_RSRC2:TGID_Z_EN: 1
; COMPUTE_PGM_RSRC2:TIDIG_COMP_CNT: 0
	.section	.text._ZL15flash_attn_tileILi64ELi64ELi8ELi1ELb0EEvPKcS1_S1_S1_S1_PKiPfP15HIP_vector_typeIfLj2EEffffjfiS5_IjLj3EEiiiiiiiiiiiliiliiiiil,"axG",@progbits,_ZL15flash_attn_tileILi64ELi64ELi8ELi1ELb0EEvPKcS1_S1_S1_S1_PKiPfP15HIP_vector_typeIfLj2EEffffjfiS5_IjLj3EEiiiiiiiiiiiliiliiiiil,comdat
	.globl	_ZL15flash_attn_tileILi64ELi64ELi8ELi1ELb0EEvPKcS1_S1_S1_S1_PKiPfP15HIP_vector_typeIfLj2EEffffjfiS5_IjLj3EEiiiiiiiiiiiliiliiiiil ; -- Begin function _ZL15flash_attn_tileILi64ELi64ELi8ELi1ELb0EEvPKcS1_S1_S1_S1_PKiPfP15HIP_vector_typeIfLj2EEffffjfiS5_IjLj3EEiiiiiiiiiiiliiliiiiil
	.p2align	8
	.type	_ZL15flash_attn_tileILi64ELi64ELi8ELi1ELb0EEvPKcS1_S1_S1_S1_PKiPfP15HIP_vector_typeIfLj2EEffffjfiS5_IjLj3EEiiiiiiiiiiiliiliiiiil,@function
_ZL15flash_attn_tileILi64ELi64ELi8ELi1ELb0EEvPKcS1_S1_S1_S1_PKiPfP15HIP_vector_typeIfLj2EEffffjfiS5_IjLj3EEiiiiiiiiiiiliiliiiiil: ; @_ZL15flash_attn_tileILi64ELi64ELi8ELi1ELb0EEvPKcS1_S1_S1_S1_PKiPfP15HIP_vector_typeIfLj2EEffffjfiS5_IjLj3EEiiiiiiiiiiiliiliiiiil
; %bb.0:
	s_clause 0x3
	s_load_b128 s[36:39], s[0:1], 0x5c
	s_load_b64 s[42:43], s[0:1], 0x80
	s_load_b512 s[16:31], s[0:1], 0x0
	s_load_b64 s[44:45], s[0:1], 0xb8
	s_mov_b64 s[40:41], 0
	s_waitcnt lgkmcnt(0)
	v_cvt_f32_u32_e32 v1, s39
	s_sub_i32 s3, 0, s39
	s_delay_alu instid0(VALU_DEP_1) | instskip(SKIP_2) | instid1(VALU_DEP_1)
	v_rcp_iflag_f32_e32 v1, v1
	s_waitcnt_depctr 0xfff
	v_mul_f32_e32 v1, 0x4f7ffffe, v1
	v_cvt_u32_f32_e32 v1, v1
	s_delay_alu instid0(VALU_DEP_1) | instskip(NEXT) | instid1(VALU_DEP_1)
	v_readfirstlane_b32 s2, v1
	s_mul_i32 s3, s3, s2
	s_delay_alu instid0(SALU_CYCLE_1) | instskip(NEXT) | instid1(SALU_CYCLE_1)
	s_mul_hi_u32 s3, s2, s3
	s_add_i32 s2, s2, s3
	s_delay_alu instid0(SALU_CYCLE_1) | instskip(NEXT) | instid1(SALU_CYCLE_1)
	s_mul_hi_u32 s2, s15, s2
	s_mul_i32 s3, s2, s39
	s_add_i32 s4, s2, 1
	s_sub_i32 s3, s15, s3
	s_delay_alu instid0(SALU_CYCLE_1)
	s_sub_i32 s5, s3, s39
	s_cmp_ge_u32 s3, s39
	s_cselect_b32 s2, s4, s2
	s_cselect_b32 s3, s5, s3
	s_add_i32 s4, s2, 1
	s_cmp_ge_u32 s3, s39
	s_cselect_b32 s33, s4, s2
	s_abs_i32 s2, s43
	s_abs_i32 s6, s39
	v_cvt_f32_u32_e32 v1, s2
	s_sub_i32 s4, 0, s2
	s_mul_i32 s5, s33, s39
	s_delay_alu instid0(SALU_CYCLE_1) | instskip(NEXT) | instid1(VALU_DEP_1)
	s_sub_i32 s34, s15, s5
	v_rcp_iflag_f32_e32 v1, v1
	s_waitcnt_depctr 0xfff
	v_mul_f32_e32 v1, 0x4f7ffffe, v1
	s_delay_alu instid0(VALU_DEP_1) | instskip(NEXT) | instid1(VALU_DEP_1)
	v_cvt_u32_f32_e32 v1, v1
	v_readfirstlane_b32 s3, v1
	s_delay_alu instid0(VALU_DEP_1) | instskip(NEXT) | instid1(SALU_CYCLE_1)
	s_mul_i32 s4, s4, s3
	s_mul_hi_u32 s4, s3, s4
	s_delay_alu instid0(SALU_CYCLE_1) | instskip(SKIP_4) | instid1(SALU_CYCLE_1)
	s_add_i32 s3, s3, s4
	s_xor_b32 s4, s39, s43
	s_mul_hi_u32 s3, s6, s3
	s_ashr_i32 s4, s4, 31
	s_mul_i32 s5, s3, s2
	s_sub_i32 s5, s6, s5
	s_add_i32 s6, s3, 1
	s_sub_i32 s7, s5, s2
	s_cmp_ge_u32 s5, s2
	s_cselect_b32 s3, s6, s3
	s_cselect_b32 s5, s7, s5
	s_add_i32 s6, s3, 1
	s_cmp_ge_u32 s5, s2
	s_cselect_b32 s2, s6, s3
	s_abs_i32 s43, s34
	s_xor_b32 s2, s2, s4
	s_delay_alu instid0(SALU_CYCLE_1) | instskip(NEXT) | instid1(SALU_CYCLE_1)
	s_sub_i32 s46, s2, s4
	s_abs_i32 s12, s46
	s_delay_alu instid0(SALU_CYCLE_1) | instskip(SKIP_1) | instid1(VALU_DEP_1)
	v_cvt_f32_u32_e32 v1, s12
	s_sub_i32 s3, 0, s12
	v_rcp_iflag_f32_e32 v1, v1
	s_waitcnt_depctr 0xfff
	v_mul_f32_e32 v1, 0x4f7ffffe, v1
	s_delay_alu instid0(VALU_DEP_1) | instskip(NEXT) | instid1(VALU_DEP_1)
	v_cvt_u32_f32_e32 v1, v1
	v_readfirstlane_b32 s2, v1
	s_delay_alu instid0(VALU_DEP_1) | instskip(NEXT) | instid1(SALU_CYCLE_1)
	s_mul_i32 s3, s3, s2
	s_mul_hi_u32 s3, s2, s3
	s_delay_alu instid0(SALU_CYCLE_1)
	s_add_i32 s2, s2, s3
	s_cmp_eq_u64 s[22:23], 0
	s_cbranch_scc1 .LBB62_2
; %bb.1:
	s_abs_i32 s3, s44
	s_abs_i32 s6, s33
	v_cvt_f32_u32_e32 v1, s3
	s_sub_i32 s5, 0, s3
	s_delay_alu instid0(VALU_DEP_1) | instskip(SKIP_2) | instid1(VALU_DEP_1)
	v_rcp_iflag_f32_e32 v1, v1
	s_waitcnt_depctr 0xfff
	v_mul_f32_e32 v1, 0x4f7ffffe, v1
	v_cvt_u32_f32_e32 v1, v1
	s_delay_alu instid0(VALU_DEP_1) | instskip(NEXT) | instid1(VALU_DEP_1)
	v_readfirstlane_b32 s4, v1
	s_mul_i32 s5, s5, s4
	s_delay_alu instid0(SALU_CYCLE_1) | instskip(NEXT) | instid1(SALU_CYCLE_1)
	s_mul_hi_u32 s5, s4, s5
	s_add_i32 s7, s4, s5
	s_load_b64 s[4:5], s[0:1], 0xc8
	s_mul_hi_u32 s7, s6, s7
	s_delay_alu instid0(SALU_CYCLE_1) | instskip(NEXT) | instid1(SALU_CYCLE_1)
	s_mul_i32 s7, s7, s3
	s_sub_i32 s6, s6, s7
	s_ashr_i32 s7, s33, 31
	s_sub_i32 s8, s6, s3
	s_cmp_ge_u32 s6, s3
	s_cselect_b32 s6, s8, s6
	s_delay_alu instid0(SALU_CYCLE_1) | instskip(SKIP_2) | instid1(SALU_CYCLE_1)
	s_sub_i32 s8, s6, s3
	s_cmp_ge_u32 s6, s3
	s_cselect_b32 s3, s8, s6
	s_xor_b32 s3, s3, s7
	s_delay_alu instid0(SALU_CYCLE_1)
	s_sub_i32 s3, s3, s7
	s_waitcnt lgkmcnt(0)
	s_mul_i32 s5, s3, s5
	s_mul_hi_u32 s6, s3, s4
	s_ashr_i32 s7, s3, 31
	s_add_i32 s5, s6, s5
	s_mul_i32 s7, s7, s4
	s_mul_i32 s3, s3, s4
	s_add_i32 s5, s5, s7
	s_add_u32 s40, s22, s3
	s_addc_u32 s41, s23, s5
.LBB62_2:
	s_clause 0x1
	s_load_b128 s[8:11], s[0:1], 0x40
	s_load_b32 s3, s[0:1], 0x50
	v_mov_b32_e32 v44, 1.0
	s_waitcnt lgkmcnt(0)
	v_cmp_le_f32_e64 s4, s9, 0
	s_mul_hi_u32 s9, s43, s2
	s_delay_alu instid0(VALU_DEP_1)
	s_and_b32 vcc_lo, exec_lo, s4
	s_cbranch_vccnz .LBB62_4
; %bb.3:
	s_sub_i32 s2, s34, s3
	s_add_i32 s4, s34, 1
	s_lshl_b32 s2, s2, 1
	v_mov_b32_e32 v1, s10
	s_or_b32 s2, s2, 1
	s_cmp_lt_u32 s34, s3
	s_cselect_b32 vcc_lo, -1, 0
	s_delay_alu instid0(VALU_DEP_1)
	v_cndmask_b32_e32 v3, s11, v1, vcc_lo
	s_and_b32 s3, vcc_lo, exec_lo
	s_cselect_b32 s2, s4, s2
	s_mov_b32 s3, 0x3e76c4e1
	v_cvt_f32_i32_e32 v1, s2
	v_cmp_neq_f32_e32 vcc_lo, 1.0, v3
	s_delay_alu instid0(VALU_DEP_2) | instskip(NEXT) | instid1(VALU_DEP_1)
	v_cndmask_b32_e32 v4, 1.0, v1, vcc_lo
	v_cmp_eq_f32_e32 vcc_lo, 0, v4
	v_cndmask_b32_e64 v5, |v3|, 1.0, vcc_lo
	s_delay_alu instid0(VALU_DEP_1) | instskip(NEXT) | instid1(VALU_DEP_1)
	v_frexp_mant_f32_e32 v1, v5
	v_cmp_gt_f32_e64 s2, 0x3f2aaaab, v1
	s_delay_alu instid0(VALU_DEP_1) | instskip(NEXT) | instid1(VALU_DEP_1)
	v_cndmask_b32_e64 v2, 1.0, 2.0, s2
	v_mul_f32_e32 v1, v1, v2
	s_delay_alu instid0(VALU_DEP_1) | instskip(SKIP_1) | instid1(VALU_DEP_2)
	v_add_f32_e32 v2, 1.0, v1
	v_add_f32_e32 v7, -1.0, v1
	v_rcp_f32_e32 v6, v2
	s_waitcnt_depctr 0xfff
	v_mul_f32_e32 v8, v7, v6
	s_delay_alu instid0(VALU_DEP_1) | instskip(NEXT) | instid1(VALU_DEP_1)
	v_dual_add_f32 v9, -1.0, v2 :: v_dual_mul_f32 v10, v2, v8
	v_sub_f32_e32 v1, v1, v9
	v_cndmask_b32_e64 v3, v3, 1.0, vcc_lo
	s_delay_alu instid0(VALU_DEP_3) | instskip(NEXT) | instid1(VALU_DEP_2)
	v_fma_f32 v2, v8, v2, -v10
	v_cmp_eq_f32_e64 s4, 0, v3
	s_delay_alu instid0(VALU_DEP_2) | instskip(NEXT) | instid1(VALU_DEP_1)
	v_fmac_f32_e32 v2, v8, v1
	v_add_f32_e32 v1, v10, v2
	s_delay_alu instid0(VALU_DEP_1) | instskip(NEXT) | instid1(VALU_DEP_1)
	v_dual_sub_f32 v10, v1, v10 :: v_dual_sub_f32 v9, v7, v1
	v_dual_sub_f32 v2, v10, v2 :: v_dual_sub_f32 v7, v7, v9
	s_delay_alu instid0(VALU_DEP_1) | instskip(NEXT) | instid1(VALU_DEP_1)
	v_sub_f32_e32 v1, v7, v1
	v_add_f32_e32 v1, v2, v1
	s_delay_alu instid0(VALU_DEP_1) | instskip(NEXT) | instid1(VALU_DEP_1)
	v_add_f32_e32 v1, v9, v1
	v_mul_f32_e32 v1, v6, v1
	s_delay_alu instid0(VALU_DEP_1) | instskip(NEXT) | instid1(VALU_DEP_1)
	v_add_f32_e32 v6, v8, v1
	v_sub_f32_e32 v2, v6, v8
	v_mul_f32_e32 v7, v6, v6
	s_delay_alu instid0(VALU_DEP_2) | instskip(NEXT) | instid1(VALU_DEP_2)
	v_sub_f32_e32 v8, v1, v2
	v_fma_f32 v9, v6, v6, -v7
	s_delay_alu instid0(VALU_DEP_2) | instskip(NEXT) | instid1(VALU_DEP_1)
	v_add_f32_e32 v1, v8, v8
	v_fmac_f32_e32 v9, v6, v1
	v_cvt_f64_f32_e32 v[1:2], v5
	s_delay_alu instid0(VALU_DEP_2) | instskip(NEXT) | instid1(VALU_DEP_1)
	v_add_f32_e32 v10, v7, v9
	v_fmaak_f32 v11, s3, v10, 0x3e91f4c4
	v_sub_f32_e32 v7, v10, v7
	v_mul_f32_e32 v14, v6, v10
	s_delay_alu instid0(VALU_DEP_3) | instskip(NEXT) | instid1(VALU_DEP_3)
	v_fmaak_f32 v11, v10, v11, 0x3ecccdef
	v_sub_f32_e32 v7, v9, v7
	s_delay_alu instid0(VALU_DEP_2) | instskip(NEXT) | instid1(VALU_DEP_1)
	v_mul_f32_e32 v12, v10, v11
	v_fma_f32 v9, v10, v11, -v12
	s_delay_alu instid0(VALU_DEP_1) | instskip(NEXT) | instid1(VALU_DEP_1)
	v_fmac_f32_e32 v9, v7, v11
	v_add_f32_e32 v11, v12, v9
	v_frexp_exp_i32_f64_e32 v1, v[1:2]
	s_delay_alu instid0(VALU_DEP_2) | instskip(NEXT) | instid1(VALU_DEP_1)
	v_sub_f32_e32 v12, v11, v12
	v_sub_f32_e32 v2, v9, v12
	v_fma_f32 v12, v10, v6, -v14
	s_delay_alu instid0(VALU_DEP_2) | instskip(NEXT) | instid1(VALU_DEP_2)
	v_add_f32_e32 v2, 0x31739010, v2
	v_dual_add_f32 v13, 0x3f2aaaaa, v11 :: v_dual_fmac_f32 v12, v10, v8
	v_ldexp_f32 v8, v8, 1
	s_delay_alu instid0(VALU_DEP_2) | instskip(NEXT) | instid1(VALU_DEP_1)
	v_dual_add_f32 v9, 0xbf2aaaaa, v13 :: v_dual_fmac_f32 v12, v7, v6
	v_sub_f32_e32 v9, v11, v9
	s_delay_alu instid0(VALU_DEP_1) | instskip(NEXT) | instid1(VALU_DEP_3)
	v_add_f32_e32 v2, v2, v9
	v_add_f32_e32 v9, v14, v12
	s_delay_alu instid0(VALU_DEP_2) | instskip(NEXT) | instid1(VALU_DEP_1)
	v_add_f32_e32 v7, v13, v2
	v_sub_f32_e32 v10, v13, v7
	s_delay_alu instid0(VALU_DEP_3) | instskip(SKIP_2) | instid1(VALU_DEP_4)
	v_mul_f32_e32 v11, v9, v7
	v_sub_f32_e32 v13, v9, v14
	v_subrev_co_ci_u32_e64 v1, s2, 0, v1, s2
	v_add_f32_e32 v2, v2, v10
	s_delay_alu instid0(VALU_DEP_4) | instskip(NEXT) | instid1(VALU_DEP_4)
	v_fma_f32 v10, v9, v7, -v11
	v_sub_f32_e32 v12, v12, v13
	s_delay_alu instid0(VALU_DEP_4) | instskip(NEXT) | instid1(VALU_DEP_3)
	v_cvt_f32_i32_e32 v1, v1
	v_fmac_f32_e32 v10, v9, v2
	v_ldexp_f32 v2, v6, 1
	s_delay_alu instid0(VALU_DEP_2) | instskip(NEXT) | instid1(VALU_DEP_1)
	v_fmac_f32_e32 v10, v12, v7
	v_add_f32_e32 v6, v11, v10
	s_delay_alu instid0(VALU_DEP_1) | instskip(NEXT) | instid1(VALU_DEP_1)
	v_add_f32_e32 v7, v2, v6
	v_dual_sub_f32 v2, v7, v2 :: v_dual_sub_f32 v9, v6, v11
	s_delay_alu instid0(VALU_DEP_1) | instskip(NEXT) | instid1(VALU_DEP_2)
	v_sub_f32_e32 v2, v6, v2
	v_sub_f32_e32 v9, v10, v9
	s_delay_alu instid0(VALU_DEP_1) | instskip(NEXT) | instid1(VALU_DEP_1)
	v_add_f32_e32 v6, v8, v9
	v_dual_mul_f32 v11, 0x3f317218, v1 :: v_dual_add_f32 v2, v6, v2
	s_delay_alu instid0(VALU_DEP_1) | instskip(NEXT) | instid1(VALU_DEP_2)
	v_fma_f32 v10, 0x3f317218, v1, -v11
	v_add_f32_e32 v8, v7, v2
	s_delay_alu instid0(VALU_DEP_1) | instskip(NEXT) | instid1(VALU_DEP_1)
	v_sub_f32_e32 v7, v8, v7
	v_dual_fmamk_f32 v1, v1, 0xb102e308, v10 :: v_dual_sub_f32 v2, v2, v7
	s_delay_alu instid0(VALU_DEP_1) | instskip(NEXT) | instid1(VALU_DEP_1)
	v_add_f32_e32 v6, v11, v1
	v_add_f32_e32 v9, v6, v8
	s_delay_alu instid0(VALU_DEP_1) | instskip(NEXT) | instid1(VALU_DEP_1)
	v_dual_sub_f32 v11, v6, v11 :: v_dual_sub_f32 v10, v9, v6
	v_sub_f32_e32 v12, v9, v10
	s_delay_alu instid0(VALU_DEP_2) | instskip(NEXT) | instid1(VALU_DEP_2)
	v_sub_f32_e32 v1, v1, v11
	v_dual_sub_f32 v7, v8, v10 :: v_dual_sub_f32 v6, v6, v12
	s_delay_alu instid0(VALU_DEP_2) | instskip(NEXT) | instid1(VALU_DEP_2)
	v_add_f32_e32 v8, v1, v2
	v_add_f32_e32 v6, v7, v6
	s_delay_alu instid0(VALU_DEP_1) | instskip(NEXT) | instid1(VALU_DEP_1)
	v_add_f32_e32 v6, v8, v6
	v_dual_sub_f32 v7, v8, v1 :: v_dual_add_f32 v10, v9, v6
	s_delay_alu instid0(VALU_DEP_1) | instskip(SKIP_1) | instid1(VALU_DEP_3)
	v_sub_f32_e32 v8, v8, v7
	v_sub_f32_e32 v2, v2, v7
	;; [unrolled: 1-line block ×3, first 2 shown]
	s_delay_alu instid0(VALU_DEP_3) | instskip(NEXT) | instid1(VALU_DEP_1)
	v_sub_f32_e32 v1, v1, v8
	v_add_f32_e32 v1, v2, v1
	s_delay_alu instid0(VALU_DEP_3) | instskip(NEXT) | instid1(VALU_DEP_1)
	v_sub_f32_e32 v2, v6, v7
	v_add_f32_e32 v1, v1, v2
	s_delay_alu instid0(VALU_DEP_1) | instskip(NEXT) | instid1(VALU_DEP_1)
	v_add_f32_e32 v2, v10, v1
	v_mul_f32_e32 v7, v4, v2
	v_sub_f32_e32 v6, v2, v10
	s_delay_alu instid0(VALU_DEP_2) | instskip(NEXT) | instid1(VALU_DEP_2)
	v_fma_f32 v2, v4, v2, -v7
	v_sub_f32_e32 v1, v1, v6
	v_cmp_class_f32_e64 s2, v7, 0x204
	s_delay_alu instid0(VALU_DEP_2) | instskip(NEXT) | instid1(VALU_DEP_1)
	v_fmac_f32_e32 v2, v4, v1
	v_add_f32_e32 v1, v7, v2
	s_delay_alu instid0(VALU_DEP_1) | instskip(NEXT) | instid1(VALU_DEP_1)
	v_cndmask_b32_e64 v6, v1, v7, s2
	v_cmp_eq_f32_e64 s2, 0x42b17218, v6
	s_delay_alu instid0(VALU_DEP_1) | instskip(SKIP_1) | instid1(VALU_DEP_2)
	v_cndmask_b32_e64 v8, 0, 0x37000000, s2
	v_cmp_neq_f32_e64 s2, 0x7f800000, |v6|
	v_sub_f32_e32 v9, v6, v8
	v_trunc_f32_e32 v6, v4
	s_delay_alu instid0(VALU_DEP_2) | instskip(NEXT) | instid1(VALU_DEP_1)
	v_mul_f32_e32 v10, 0x3fb8aa3b, v9
	v_fma_f32 v11, 0x3fb8aa3b, v9, -v10
	v_rndne_f32_e32 v12, v10
	s_delay_alu instid0(VALU_DEP_1) | instskip(NEXT) | instid1(VALU_DEP_1)
	v_dual_fmamk_f32 v11, v9, 0x32a5705f, v11 :: v_dual_sub_f32 v10, v10, v12
	v_add_f32_e32 v10, v10, v11
	v_sub_f32_e32 v1, v1, v7
	v_cvt_i32_f32_e32 v7, v12
	s_delay_alu instid0(VALU_DEP_3) | instskip(NEXT) | instid1(VALU_DEP_2)
	v_exp_f32_e32 v10, v10
	v_sub_f32_e32 v1, v2, v1
	s_delay_alu instid0(VALU_DEP_1)
	v_cndmask_b32_e64 v1, 0, v1, s2
	v_cmp_ngt_f32_e64 s2, 0xc2ce8ed0, v9
	s_waitcnt_depctr 0xfff
	v_ldexp_f32 v2, v10, v7
	v_mul_f32_e32 v7, 0.5, v4
	v_add_f32_e32 v1, v8, v1
	s_delay_alu instid0(VALU_DEP_3) | instskip(NEXT) | instid1(VALU_DEP_3)
	v_cndmask_b32_e64 v2, 0, v2, s2
	v_trunc_f32_e32 v10, v7
	v_cmp_nlt_f32_e64 s2, 0x42b17218, v9
	s_delay_alu instid0(VALU_DEP_2) | instskip(NEXT) | instid1(VALU_DEP_2)
	v_cmp_neq_f32_e64 s3, v10, v7
	v_cndmask_b32_e64 v2, 0x7f800000, v2, s2
	v_cmp_eq_f32_e64 s2, v6, v4
	s_delay_alu instid0(VALU_DEP_2) | instskip(NEXT) | instid1(VALU_DEP_2)
	v_fma_f32 v1, v2, v1, v2
	s_and_b32 vcc_lo, s2, s3
	v_cmp_class_f32_e64 s3, v2, 0x204
	v_cndmask_b32_e32 v6, 1.0, v3, vcc_lo
	s_delay_alu instid0(VALU_DEP_2) | instskip(SKIP_1) | instid1(VALU_DEP_2)
	v_cndmask_b32_e64 v1, v1, v2, s3
	v_cmp_gt_f32_e64 s3, 0, v4
	v_bfi_b32 v1, 0x7fffffff, v1, v6
	s_delay_alu instid0(VALU_DEP_2)
	s_xor_b32 s3, s3, s4
	v_cndmask_b32_e32 v6, 0, v3, vcc_lo
	v_cndmask_b32_e64 v2, 0x7f800000, 0, s3
	v_cmp_eq_f32_e32 vcc_lo, 0x7f800000, v5
	v_cndmask_b32_e64 v4, 0x7fc00000, v1, s2
	v_cmp_gt_f32_e64 s2, 0, v3
	s_delay_alu instid0(VALU_DEP_4) | instskip(SKIP_1) | instid1(VALU_DEP_2)
	v_bfi_b32 v2, 0x7fffffff, v2, v6
	s_or_b32 vcc_lo, vcc_lo, s4
	v_cndmask_b32_e64 v1, v1, v4, s2
	s_delay_alu instid0(VALU_DEP_1) | instskip(SKIP_1) | instid1(VALU_DEP_2)
	v_cndmask_b32_e32 v1, v1, v2, vcc_lo
	v_cmp_o_f32_e32 vcc_lo, v3, v3
	v_cndmask_b32_e32 v44, 0x7fc00000, v1, vcc_lo
.LBB62_4:
	v_bfe_u32 v42, v0, 10, 10
	s_lshl_b32 s15, s13, 3
	s_load_b128 s[4:7], s[0:1], 0x70
	s_ashr_i32 s35, s34, 31
	s_ashr_i32 s10, s46, 31
	v_lshlrev_b32_e32 v36, 1, v42
	s_delay_alu instid0(VALU_DEP_1) | instskip(SKIP_1) | instid1(VALU_DEP_2)
	v_or_b32_e32 v34, 1, v36
	v_add_nc_u32_e32 v38, s15, v36
	v_add_nc_u32_e32 v35, s15, v34
	s_delay_alu instid0(VALU_DEP_2) | instskip(NEXT) | instid1(VALU_DEP_2)
	v_mul_hi_u32 v1, v38, s36
	v_mul_hi_u32 v2, v35, s36
	s_waitcnt lgkmcnt(0)
	s_mul_i32 s2, s33, s6
	s_mul_i32 s3, s34, s5
	s_delay_alu instid0(VALU_DEP_2)
	v_add_nc_u32_e32 v1, v38, v1
	s_ashr_i32 s5, s2, 31
	s_add_u32 s2, s16, s2
	s_addc_u32 s5, s17, s5
	v_add_nc_u32_e32 v2, v35, v2
	v_lshrrev_b32_e32 v1, s37, v1
	s_ashr_i32 s6, s3, 31
	s_add_u32 s2, s2, s3
	s_addc_u32 s3, s5, s6
	v_lshrrev_b32_e32 v2, s37, v2
	v_mul_lo_u32 v1, v1, s38
	s_ashr_i32 s5, s4, 31
	s_delay_alu instid0(SALU_CYCLE_1) | instskip(NEXT) | instid1(VALU_DEP_3)
	v_alignbit_b32 v5, s5, s4, 2
	v_mul_lo_u32 v3, v2, s38
	s_lshr_b32 s4, s5, 2
	s_cmp_eq_u64 s[26:27], 0
	s_delay_alu instid0(VALU_DEP_3) | instskip(NEXT) | instid1(VALU_DEP_2)
	v_sub_nc_u32_e32 v46, v38, v1
	v_sub_nc_u32_e32 v8, v35, v3
	s_delay_alu instid0(VALU_DEP_2) | instskip(NEXT) | instid1(VALU_DEP_2)
	v_mad_u64_u32 v[1:2], null, v5, v46, 0
	v_mad_u64_u32 v[3:4], null, v5, v8, 0
	s_delay_alu instid0(VALU_DEP_1) | instskip(NEXT) | instid1(VALU_DEP_2)
	v_mad_u64_u32 v[5:6], null, s4, v46, v[2:3]
	v_mov_b32_e32 v2, v4
	s_delay_alu instid0(VALU_DEP_1) | instskip(NEXT) | instid1(VALU_DEP_3)
	v_mad_u64_u32 v[6:7], null, s4, v8, v[2:3]
	v_dual_mov_b32 v2, v5 :: v_dual_and_b32 v37, 0x3ff, v0
	s_delay_alu instid0(VALU_DEP_1) | instskip(NEXT) | instid1(VALU_DEP_2)
	v_lshlrev_b64 v[0:1], 2, v[1:2]
	v_dual_mov_b32 v4, v6 :: v_dual_lshlrev_b32 v5, 3, v37
	s_delay_alu instid0(VALU_DEP_1) | instskip(NEXT) | instid1(VALU_DEP_2)
	v_lshlrev_b64 v[2:3], 2, v[3:4]
	v_add_co_u32 v5, s2, s2, v5
	s_delay_alu instid0(VALU_DEP_1) | instskip(SKIP_1) | instid1(VALU_DEP_3)
	v_add_co_ci_u32_e64 v6, null, s3, 0, s2
	v_lshlrev_b32_e32 v4, 6, v42
	v_add_co_u32 v0, vcc_lo, v5, v0
	s_delay_alu instid0(VALU_DEP_3)
	v_add_co_ci_u32_e32 v1, vcc_lo, v6, v1, vcc_lo
	v_add_co_u32 v2, vcc_lo, v5, v2
	v_add_co_ci_u32_e32 v3, vcc_lo, v6, v3, vcc_lo
	s_clause 0x1
	global_load_b64 v[0:1], v[0:1], off
	global_load_b64 v[2:3], v[2:3], off
	v_lshlrev_b32_e32 v5, 5, v34
	v_add_lshl_u32 v4, v4, v37, 2
	s_mov_b32 s3, 0
	s_delay_alu instid0(VALU_DEP_2) | instskip(SKIP_4) | instid1(VALU_DEP_2)
	v_add_lshl_u32 v5, v5, v37, 2
	s_waitcnt vmcnt(1)
	v_fma_mixlo_f16 v0, v0, s8, 0
	s_waitcnt vmcnt(0)
	v_fma_mixlo_f16 v2, v2, s8, 0
	v_fma_mixhi_f16 v0, v1, s8, 0
	s_delay_alu instid0(VALU_DEP_2)
	v_fma_mixhi_f16 v2, v3, s8, 0
	ds_store_b32 v4, v0 offset:20480
	ds_store_b32 v5, v2 offset:20480
	s_waitcnt lgkmcnt(0)
	s_barrier
	buffer_gl0_inv
	s_cbranch_scc1 .LBB62_6
; %bb.5:
	s_load_b32 s2, s[0:1], 0xd0
	s_waitcnt lgkmcnt(0)
	s_mul_i32 s2, s2, s33
	s_delay_alu instid0(SALU_CYCLE_1) | instskip(NEXT) | instid1(SALU_CYCLE_1)
	s_add_i32 s2, s2, s13
	s_lshl_b64 s[2:3], s[2:3], 2
	s_delay_alu instid0(SALU_CYCLE_1)
	s_add_u32 s2, s26, s2
	s_addc_u32 s3, s27, s3
	s_load_b32 s42, s[2:3], 0x0
.LBB62_6:
	s_clause 0x2
	s_load_b64 s[2:3], s[0:1], 0x8c
	s_load_b128 s[4:7], s[0:1], 0x98
	s_load_b64 s[26:27], s[0:1], 0xa8
	s_ashr_i32 s11, s33, 31
	s_ashr_i32 s17, s45, 1
	s_mul_i32 s13, s9, s12
	v_dual_mov_b32 v48, 0 :: v_dual_mov_b32 v43, 0
	v_lshrrev_b32_e32 v50, 3, v37
	v_lshlrev_b32_e32 v40, 2, v37
	v_mul_u32_u24_e32 v47, 0x90, v37
	v_or_b32_e32 v45, 1, v38
	v_mbcnt_lo_u32_b32 v39, -1, 0
	s_mov_b32 s44, 0xfeffffff
	s_waitcnt lgkmcnt(0)
	s_ashr_i32 s8, s2, 2
	s_mul_i32 s2, s33, s5
	s_mul_hi_u32 s5, s33, s4
	s_ashr_i32 s22, s6, 2
	s_mul_i32 s6, s11, s4
	s_add_i32 s2, s5, s2
	s_mul_i32 s4, s33, s4
	s_add_i32 s2, s2, s6
	s_add_u32 s4, s18, s4
	s_addc_u32 s2, s19, s2
	s_sub_i32 s6, s43, s13
	s_xor_b32 s5, s35, s10
	s_add_i32 s10, s9, 1
	s_sub_i32 s13, s6, s12
	s_cmp_ge_u32 s6, s12
	s_mul_i32 s11, s11, s26
	s_cselect_b32 s9, s10, s9
	s_cselect_b32 s6, s13, s6
	s_add_i32 s10, s9, 1
	s_cmp_ge_u32 s6, s12
	s_mul_i32 s12, s33, s26
	s_cselect_b32 s6, s10, s9
	s_mul_i32 s9, s33, s27
	s_xor_b32 s6, s6, s5
	s_mul_hi_u32 s10, s33, s26
	s_sub_i32 s6, s6, s5
	s_delay_alu instid0(SALU_CYCLE_1)
	s_mul_i32 s3, s6, s3
	s_mul_i32 s6, s6, s7
	s_ashr_i32 s5, s3, 31
	s_add_u32 s4, s4, s3
	s_addc_u32 s5, s2, s5
	s_add_i32 s2, s10, s9
	s_delay_alu instid0(SALU_CYCLE_1)
	s_add_i32 s2, s2, s11
	s_add_u32 s3, s20, s12
	s_addc_u32 s2, s21, s2
	s_ashr_i32 s7, s6, 31
	s_add_u32 s19, s3, s6
	s_addc_u32 s18, s2, s7
	s_lshl_b32 s16, s14, 7
	s_add_i32 s6, s42, 0xffffff80
	s_delay_alu instid0(SALU_CYCLE_1)
	s_cmp_ge_i32 s16, s6
	s_cbranch_scc1 .LBB62_27
; %bb.7:
	v_lshl_add_u32 v1, v42, 2, v50
	s_lshl_b32 s2, s8, 4
	s_cmp_lg_u64 s[40:41], 0
	v_dual_mov_b32 v76, 0xfeffffff :: v_dual_and_b32 v43, 28, v40
	s_delay_alu instid0(VALU_DEP_2)
	v_mul_lo_u32 v0, s8, v1
	v_mul_lo_u32 v18, s22, v1
	s_cselect_b32 s7, -1, 0
	s_lshl_b32 s3, s22, 4
	v_mov_b32_e32 v41, 0
	v_mul_hi_u32 v2, s36, v45
	v_dual_mov_b32 v74, 0 :: v_dual_lshlrev_b32 v3, 2, v43
	v_add_nc_u32_e32 v4, s2, v0
	v_dual_mov_b32 v75, 0 :: v_dual_add_nc_u32 v20, s3, v18
	v_lshlrev_b32_e32 v71, 2, v43
	s_delay_alu instid0(VALU_DEP_3) | instskip(NEXT) | instid1(VALU_DEP_3)
	v_dual_mov_b32 v77, 0xfeffffff :: v_dual_add_nc_u32 v6, s2, v4
	v_dual_mov_b32 v43, 0 :: v_dual_add_nc_u32 v22, s3, v20
	v_add_nc_u32_e32 v2, v45, v2
	v_mad_u32_u24 v54, 0x90, v1, v3
	s_delay_alu instid0(VALU_DEP_4)
	v_add_nc_u32_e32 v8, s2, v6
	v_lshl_or_b32 v55, v1, 7, v3
	v_add_nc_u32_e32 v24, s3, v22
	v_lshrrev_b32_e32 v2, s37, v2
	v_ashrrev_i32_e32 v1, 31, v0
	v_add_nc_u32_e32 v10, s2, v8
	v_ashrrev_i32_e32 v19, 31, v18
	v_add_nc_u32_e32 v26, s3, v24
	v_mul_lo_u32 v2, v2, s38
	v_ashrrev_i32_e32 v5, 31, v4
	v_add_nc_u32_e32 v12, s2, v10
	v_ashrrev_i32_e32 v7, 31, v6
	v_add_nc_u32_e32 v28, s3, v26
	v_ashrrev_i32_e32 v9, 31, v8
	v_ashrrev_i32_e32 v11, 31, v10
	v_add_nc_u32_e32 v14, s2, v12
	v_sub_nc_u32_e32 v2, v45, v2
	v_add_nc_u32_e32 v30, s3, v28
	v_ashrrev_i32_e32 v13, 31, v12
	v_ashrrev_i32_e32 v21, 31, v20
	v_add_nc_u32_e32 v16, s2, v14
	v_ashrrev_i32_e32 v15, 31, v14
	v_add_nc_u32_e32 v32, s3, v30
	v_ashrrev_i32_e32 v23, 31, v22
	v_ashrrev_i32_e32 v25, 31, v24
	;; [unrolled: 1-line block ×7, first 2 shown]
	v_lshl_add_u32 v53, v42, 9, 0x4800
	s_add_u32 s2, s0, 0xd0
	v_mul_lo_u32 v52, v46, s17
	v_mul_lo_u32 v64, v2, s17
	s_addc_u32 s3, s1, 0
	s_add_u32 s9, s40, 64
	s_addc_u32 s10, s41, 0
	v_lshlrev_b64 v[2:3], 2, v[0:1]
	v_lshlrev_b64 v[4:5], 2, v[4:5]
	;; [unrolled: 1-line block ×16, first 2 shown]
	v_lshl_add_u32 v51, v42, 8, 0x5000
	v_add_nc_u32_e32 v56, 0x900, v54
	v_add_nc_u32_e32 v57, 0x1200, v54
	;; [unrolled: 1-line block ×14, first 2 shown]
	s_add_u32 s11, s40, 0x80
	v_add_nc_u32_e32 v72, v53, v40
	v_mbcnt_lo_u32_b32 v73, -1, 0
	s_addc_u32 s12, s41, 0
	s_add_u32 s13, s40, 0xc0
	s_addc_u32 s20, s41, 0
.LBB62_8:                               ; =>This Inner Loop Header: Depth=1
	s_mul_hi_i32 s27, s16, s8
	s_mul_i32 s26, s16, s8
	s_delay_alu instid0(SALU_CYCLE_1) | instskip(NEXT) | instid1(SALU_CYCLE_1)
	s_lshl_b64 s[26:27], s[26:27], 2
	s_add_u32 s21, s4, s26
	s_addc_u32 s23, s5, s27
	v_add_co_u32 v0, vcc_lo, s21, v2
	v_add_co_ci_u32_e32 v1, vcc_lo, s23, v3, vcc_lo
	v_add_co_u32 v48, vcc_lo, s21, v4
	v_add_co_ci_u32_e32 v49, vcc_lo, s23, v5, vcc_lo
	s_delay_alu instid0(VALU_DEP_4) | instskip(NEXT) | instid1(VALU_DEP_4)
	v_add_co_u32 v0, vcc_lo, v0, v71
	v_add_co_ci_u32_e32 v1, vcc_lo, 0, v1, vcc_lo
	s_delay_alu instid0(VALU_DEP_4) | instskip(NEXT) | instid1(VALU_DEP_4)
	v_add_co_u32 v48, vcc_lo, v48, v71
	v_add_co_ci_u32_e32 v49, vcc_lo, 0, v49, vcc_lo
	s_clause 0x1
	global_load_b128 v[78:81], v[0:1], off
	global_load_b128 v[82:85], v[48:49], off
	v_add_co_u32 v0, vcc_lo, s21, v6
	v_add_co_ci_u32_e32 v1, vcc_lo, s23, v7, vcc_lo
	v_add_co_u32 v48, vcc_lo, s21, v8
	v_add_co_ci_u32_e32 v49, vcc_lo, s23, v9, vcc_lo
	s_delay_alu instid0(VALU_DEP_4) | instskip(NEXT) | instid1(VALU_DEP_4)
	v_add_co_u32 v0, vcc_lo, v0, v71
	v_add_co_ci_u32_e32 v1, vcc_lo, 0, v1, vcc_lo
	s_delay_alu instid0(VALU_DEP_4) | instskip(NEXT) | instid1(VALU_DEP_4)
	v_add_co_u32 v48, vcc_lo, v48, v71
	v_add_co_ci_u32_e32 v49, vcc_lo, 0, v49, vcc_lo
	v_add_co_u32 v86, vcc_lo, s21, v10
	v_add_co_ci_u32_e32 v87, vcc_lo, s23, v11, vcc_lo
	v_add_co_u32 v88, vcc_lo, s21, v12
	v_add_co_ci_u32_e32 v89, vcc_lo, s23, v13, vcc_lo
	s_delay_alu instid0(VALU_DEP_4) | instskip(NEXT) | instid1(VALU_DEP_4)
	v_add_co_u32 v94, vcc_lo, v86, v71
	v_add_co_ci_u32_e32 v95, vcc_lo, 0, v87, vcc_lo
	s_delay_alu instid0(VALU_DEP_4) | instskip(NEXT) | instid1(VALU_DEP_4)
	v_add_co_u32 v98, vcc_lo, v88, v71
	v_add_co_ci_u32_e32 v99, vcc_lo, 0, v89, vcc_lo
	;; [unrolled: 10-line block ×3, first 2 shown]
	s_clause 0x5
	global_load_b128 v[86:89], v[0:1], off
	global_load_b128 v[90:93], v[48:49], off
	;; [unrolled: 1-line block ×6, first 2 shown]
	v_dual_mov_b32 v48, 0 :: v_dual_mov_b32 v49, 0
	s_and_not1_b32 vcc_lo, exec_lo, s7
	s_waitcnt vmcnt(7)
	ds_store_b128 v54, v[78:81]
	s_waitcnt vmcnt(6)
	ds_store_b128 v56, v[82:85]
	;; [unrolled: 2-line block ×8, first 2 shown]
	s_waitcnt lgkmcnt(0)
	s_barrier
	buffer_gl0_inv
	ds_load_b128 v[84:87], v47
	ds_load_b128 v[88:91], v51
	ds_load_b128 v[92:95], v51 offset:128
	ds_load_b128 v[96:99], v47 offset:4608
	v_dual_mov_b32 v80, 0 :: v_dual_mov_b32 v81, 0
	ds_load_b128 v[100:103], v47 offset:9216
	ds_load_b128 v[104:107], v47 offset:13824
	s_waitcnt lgkmcnt(4)
	;;#ASMSTART
	v_dot2_f32_f16 v80, v84, v88, v80
	;;#ASMEND
	;;#ASMSTART
	v_dot2_f32_f16 v80, v85, v89, v80
	;;#ASMEND
	;;#ASMSTART
	v_dot2_f32_f16 v80, v86, v90, v80
	;;#ASMEND
	;;#ASMSTART
	v_dot2_f32_f16 v80, v87, v91, v80
	;;#ASMEND
	s_waitcnt lgkmcnt(3)
	;;#ASMSTART
	v_dot2_f32_f16 v48, v84, v92, v48
	;;#ASMEND
	;;#ASMSTART
	v_dot2_f32_f16 v48, v85, v93, v48
	;;#ASMEND
	;;#ASMSTART
	v_dot2_f32_f16 v48, v86, v94, v48
	;;#ASMEND
	;;#ASMSTART
	v_dot2_f32_f16 v48, v87, v95, v48
	;;#ASMEND
	;; [unrolled: 13-line block ×3, first 2 shown]
	;;#ASMSTART
	v_dot2_f32_f16 v49, v96, v92, v49
	;;#ASMEND
	;;#ASMSTART
	v_dot2_f32_f16 v49, v97, v93, v49
	;;#ASMEND
	v_dual_mov_b32 v83, 0 :: v_dual_mov_b32 v78, 0
	;;#ASMSTART
	v_dot2_f32_f16 v49, v98, v94, v49
	;;#ASMEND
	;;#ASMSTART
	v_dot2_f32_f16 v49, v99, v95, v49
	;;#ASMEND
	s_waitcnt lgkmcnt(1)
	;;#ASMSTART
	v_dot2_f32_f16 v83, v100, v88, v83
	;;#ASMEND
	;;#ASMSTART
	v_dot2_f32_f16 v83, v101, v89, v83
	;;#ASMEND
	;; [unrolled: 3-line block ×6, first 2 shown]
	v_dual_mov_b32 v82, 0 :: v_dual_mov_b32 v79, 0
	;;#ASMSTART
	v_dot2_f32_f16 v78, v102, v94, v78
	;;#ASMEND
	;;#ASMSTART
	v_dot2_f32_f16 v78, v103, v95, v78
	;;#ASMEND
	s_waitcnt lgkmcnt(0)
	;;#ASMSTART
	v_dot2_f32_f16 v82, v104, v88, v82
	;;#ASMEND
	;;#ASMSTART
	v_dot2_f32_f16 v82, v105, v89, v82
	;;#ASMEND
	;; [unrolled: 3-line block ×8, first 2 shown]
	ds_load_b128 v[84:87], v47 offset:16
	ds_load_b128 v[88:91], v51 offset:16
	;; [unrolled: 1-line block ×6, first 2 shown]
	s_waitcnt lgkmcnt(4)
	;;#ASMSTART
	v_dot2_f32_f16 v80, v84, v88, v80
	;;#ASMEND
	;;#ASMSTART
	v_dot2_f32_f16 v80, v85, v89, v80
	;;#ASMEND
	;;#ASMSTART
	v_dot2_f32_f16 v80, v86, v90, v80
	;;#ASMEND
	;;#ASMSTART
	v_dot2_f32_f16 v80, v87, v91, v80
	;;#ASMEND
	s_waitcnt lgkmcnt(3)
	;;#ASMSTART
	v_dot2_f32_f16 v48, v84, v92, v48
	;;#ASMEND
	;;#ASMSTART
	v_dot2_f32_f16 v48, v85, v93, v48
	;;#ASMEND
	;;#ASMSTART
	v_dot2_f32_f16 v48, v86, v94, v48
	;;#ASMEND
	;;#ASMSTART
	v_dot2_f32_f16 v48, v87, v95, v48
	;;#ASMEND
	;; [unrolled: 13-line block ×3, first 2 shown]
	;;#ASMSTART
	v_dot2_f32_f16 v49, v96, v92, v49
	;;#ASMEND
	;;#ASMSTART
	v_dot2_f32_f16 v49, v97, v93, v49
	;;#ASMEND
	;; [unrolled: 3-line block ×4, first 2 shown]
	s_waitcnt lgkmcnt(1)
	;;#ASMSTART
	v_dot2_f32_f16 v83, v100, v88, v83
	;;#ASMEND
	;;#ASMSTART
	v_dot2_f32_f16 v83, v101, v89, v83
	;;#ASMEND
	;; [unrolled: 3-line block ×8, first 2 shown]
	s_waitcnt lgkmcnt(0)
	;;#ASMSTART
	v_dot2_f32_f16 v82, v104, v88, v82
	;;#ASMEND
	;;#ASMSTART
	v_dot2_f32_f16 v82, v105, v89, v82
	;;#ASMEND
	;;#ASMSTART
	v_dot2_f32_f16 v82, v106, v90, v82
	;;#ASMEND
	;;#ASMSTART
	v_dot2_f32_f16 v82, v107, v91, v82
	;;#ASMEND
	;;#ASMSTART
	v_dot2_f32_f16 v79, v104, v92, v79
	;;#ASMEND
	;;#ASMSTART
	v_dot2_f32_f16 v79, v105, v93, v79
	;;#ASMEND
	;;#ASMSTART
	v_dot2_f32_f16 v79, v106, v94, v79
	;;#ASMEND
	;;#ASMSTART
	v_dot2_f32_f16 v79, v107, v95, v79
	;;#ASMEND
	ds_load_b128 v[84:87], v47 offset:32
	ds_load_b128 v[88:91], v51 offset:32
	;; [unrolled: 1-line block ×6, first 2 shown]
	s_waitcnt lgkmcnt(4)
	;;#ASMSTART
	v_dot2_f32_f16 v80, v84, v88, v80
	;;#ASMEND
	;;#ASMSTART
	v_dot2_f32_f16 v80, v85, v89, v80
	;;#ASMEND
	;;#ASMSTART
	v_dot2_f32_f16 v80, v86, v90, v80
	;;#ASMEND
	;;#ASMSTART
	v_dot2_f32_f16 v80, v87, v91, v80
	;;#ASMEND
	s_waitcnt lgkmcnt(3)
	;;#ASMSTART
	v_dot2_f32_f16 v48, v84, v92, v48
	;;#ASMEND
	;;#ASMSTART
	v_dot2_f32_f16 v48, v85, v93, v48
	;;#ASMEND
	;;#ASMSTART
	v_dot2_f32_f16 v48, v86, v94, v48
	;;#ASMEND
	;;#ASMSTART
	v_dot2_f32_f16 v48, v87, v95, v48
	;;#ASMEND
	;; [unrolled: 13-line block ×3, first 2 shown]
	;;#ASMSTART
	v_dot2_f32_f16 v49, v96, v92, v49
	;;#ASMEND
	;;#ASMSTART
	v_dot2_f32_f16 v49, v97, v93, v49
	;;#ASMEND
	;; [unrolled: 3-line block ×4, first 2 shown]
	s_waitcnt lgkmcnt(1)
	;;#ASMSTART
	v_dot2_f32_f16 v83, v100, v88, v83
	;;#ASMEND
	;;#ASMSTART
	v_dot2_f32_f16 v83, v101, v89, v83
	;;#ASMEND
	;; [unrolled: 3-line block ×8, first 2 shown]
	s_waitcnt lgkmcnt(0)
	;;#ASMSTART
	v_dot2_f32_f16 v82, v104, v88, v82
	;;#ASMEND
	;;#ASMSTART
	v_dot2_f32_f16 v82, v105, v89, v82
	;;#ASMEND
	;; [unrolled: 3-line block ×8, first 2 shown]
	ds_load_b128 v[84:87], v47 offset:48
	ds_load_b128 v[88:91], v51 offset:48
	;; [unrolled: 1-line block ×6, first 2 shown]
	s_waitcnt lgkmcnt(4)
	;;#ASMSTART
	v_dot2_f32_f16 v80, v84, v88, v80
	;;#ASMEND
	;;#ASMSTART
	v_dot2_f32_f16 v80, v85, v89, v80
	;;#ASMEND
	;;#ASMSTART
	v_dot2_f32_f16 v80, v86, v90, v80
	;;#ASMEND
	;;#ASMSTART
	v_dot2_f32_f16 v80, v87, v91, v80
	;;#ASMEND
	s_waitcnt lgkmcnt(3)
	;;#ASMSTART
	v_dot2_f32_f16 v48, v84, v92, v48
	;;#ASMEND
	;;#ASMSTART
	v_dot2_f32_f16 v48, v85, v93, v48
	;;#ASMEND
	;;#ASMSTART
	v_dot2_f32_f16 v48, v86, v94, v48
	;;#ASMEND
	;;#ASMSTART
	v_dot2_f32_f16 v48, v87, v95, v48
	;;#ASMEND
	;; [unrolled: 13-line block ×3, first 2 shown]
	;;#ASMSTART
	v_dot2_f32_f16 v49, v96, v92, v49
	;;#ASMEND
	;;#ASMSTART
	v_dot2_f32_f16 v49, v97, v93, v49
	;;#ASMEND
	;; [unrolled: 3-line block ×4, first 2 shown]
	s_waitcnt lgkmcnt(1)
	;;#ASMSTART
	v_dot2_f32_f16 v83, v100, v88, v83
	;;#ASMEND
	;;#ASMSTART
	v_dot2_f32_f16 v83, v101, v89, v83
	;;#ASMEND
	;; [unrolled: 3-line block ×8, first 2 shown]
	s_waitcnt lgkmcnt(0)
	;;#ASMSTART
	v_dot2_f32_f16 v82, v104, v88, v82
	;;#ASMEND
	;;#ASMSTART
	v_dot2_f32_f16 v82, v105, v89, v82
	;;#ASMEND
	;; [unrolled: 3-line block ×8, first 2 shown]
	ds_load_b128 v[84:87], v47 offset:64
	ds_load_b128 v[88:91], v51 offset:64
	;; [unrolled: 1-line block ×6, first 2 shown]
	s_waitcnt lgkmcnt(4)
	;;#ASMSTART
	v_dot2_f32_f16 v80, v84, v88, v80
	;;#ASMEND
	;;#ASMSTART
	v_dot2_f32_f16 v80, v85, v89, v80
	;;#ASMEND
	;;#ASMSTART
	v_dot2_f32_f16 v80, v86, v90, v80
	;;#ASMEND
	;;#ASMSTART
	v_dot2_f32_f16 v80, v87, v91, v80
	;;#ASMEND
	s_waitcnt lgkmcnt(3)
	;;#ASMSTART
	v_dot2_f32_f16 v48, v84, v92, v48
	;;#ASMEND
	;;#ASMSTART
	v_dot2_f32_f16 v48, v85, v93, v48
	;;#ASMEND
	;;#ASMSTART
	v_dot2_f32_f16 v48, v86, v94, v48
	;;#ASMEND
	;;#ASMSTART
	v_dot2_f32_f16 v48, v87, v95, v48
	;;#ASMEND
	;; [unrolled: 13-line block ×3, first 2 shown]
	;;#ASMSTART
	v_dot2_f32_f16 v49, v96, v92, v49
	;;#ASMEND
	;;#ASMSTART
	v_dot2_f32_f16 v49, v97, v93, v49
	;;#ASMEND
	;; [unrolled: 3-line block ×4, first 2 shown]
	s_waitcnt lgkmcnt(1)
	;;#ASMSTART
	v_dot2_f32_f16 v83, v100, v88, v83
	;;#ASMEND
	;;#ASMSTART
	v_dot2_f32_f16 v83, v101, v89, v83
	;;#ASMEND
	;; [unrolled: 3-line block ×8, first 2 shown]
	s_waitcnt lgkmcnt(0)
	;;#ASMSTART
	v_dot2_f32_f16 v82, v104, v88, v82
	;;#ASMEND
	;;#ASMSTART
	v_dot2_f32_f16 v82, v105, v89, v82
	;;#ASMEND
	;; [unrolled: 3-line block ×8, first 2 shown]
	ds_load_b128 v[84:87], v47 offset:80
	ds_load_b128 v[88:91], v51 offset:80
	;; [unrolled: 1-line block ×6, first 2 shown]
	s_waitcnt lgkmcnt(4)
	;;#ASMSTART
	v_dot2_f32_f16 v80, v84, v88, v80
	;;#ASMEND
	;;#ASMSTART
	v_dot2_f32_f16 v80, v85, v89, v80
	;;#ASMEND
	;;#ASMSTART
	v_dot2_f32_f16 v80, v86, v90, v80
	;;#ASMEND
	;;#ASMSTART
	v_dot2_f32_f16 v80, v87, v91, v80
	;;#ASMEND
	s_waitcnt lgkmcnt(3)
	;;#ASMSTART
	v_dot2_f32_f16 v48, v84, v92, v48
	;;#ASMEND
	;;#ASMSTART
	v_dot2_f32_f16 v48, v85, v93, v48
	;;#ASMEND
	;;#ASMSTART
	v_dot2_f32_f16 v48, v86, v94, v48
	;;#ASMEND
	;;#ASMSTART
	v_dot2_f32_f16 v48, v87, v95, v48
	;;#ASMEND
	;; [unrolled: 13-line block ×3, first 2 shown]
	;;#ASMSTART
	v_dot2_f32_f16 v49, v96, v92, v49
	;;#ASMEND
	;;#ASMSTART
	v_dot2_f32_f16 v49, v97, v93, v49
	;;#ASMEND
	;; [unrolled: 3-line block ×4, first 2 shown]
	s_waitcnt lgkmcnt(1)
	;;#ASMSTART
	v_dot2_f32_f16 v83, v100, v88, v83
	;;#ASMEND
	;;#ASMSTART
	v_dot2_f32_f16 v83, v101, v89, v83
	;;#ASMEND
	;; [unrolled: 3-line block ×8, first 2 shown]
	s_waitcnt lgkmcnt(0)
	;;#ASMSTART
	v_dot2_f32_f16 v82, v104, v88, v82
	;;#ASMEND
	;;#ASMSTART
	v_dot2_f32_f16 v82, v105, v89, v82
	;;#ASMEND
	;; [unrolled: 3-line block ×8, first 2 shown]
	ds_load_b128 v[84:87], v47 offset:96
	ds_load_b128 v[88:91], v51 offset:96
	;; [unrolled: 1-line block ×6, first 2 shown]
	s_waitcnt lgkmcnt(4)
	;;#ASMSTART
	v_dot2_f32_f16 v80, v84, v88, v80
	;;#ASMEND
	;;#ASMSTART
	v_dot2_f32_f16 v80, v85, v89, v80
	;;#ASMEND
	;;#ASMSTART
	v_dot2_f32_f16 v80, v86, v90, v80
	;;#ASMEND
	;;#ASMSTART
	v_dot2_f32_f16 v80, v87, v91, v80
	;;#ASMEND
	s_waitcnt lgkmcnt(3)
	;;#ASMSTART
	v_dot2_f32_f16 v48, v84, v92, v48
	;;#ASMEND
	;;#ASMSTART
	v_dot2_f32_f16 v48, v85, v93, v48
	;;#ASMEND
	;;#ASMSTART
	v_dot2_f32_f16 v48, v86, v94, v48
	;;#ASMEND
	;;#ASMSTART
	v_dot2_f32_f16 v48, v87, v95, v48
	;;#ASMEND
	;; [unrolled: 13-line block ×3, first 2 shown]
	;;#ASMSTART
	v_dot2_f32_f16 v49, v96, v92, v49
	;;#ASMEND
	;;#ASMSTART
	v_dot2_f32_f16 v49, v97, v93, v49
	;;#ASMEND
	;; [unrolled: 3-line block ×4, first 2 shown]
	s_waitcnt lgkmcnt(1)
	;;#ASMSTART
	v_dot2_f32_f16 v83, v100, v88, v83
	;;#ASMEND
	;;#ASMSTART
	v_dot2_f32_f16 v83, v101, v89, v83
	;;#ASMEND
	;;#ASMSTART
	v_dot2_f32_f16 v83, v102, v90, v83
	;;#ASMEND
	;;#ASMSTART
	v_dot2_f32_f16 v83, v103, v91, v83
	;;#ASMEND
	;;#ASMSTART
	v_dot2_f32_f16 v78, v100, v92, v78
	;;#ASMEND
	;;#ASMSTART
	v_dot2_f32_f16 v78, v101, v93, v78
	;;#ASMEND
	;;#ASMSTART
	v_dot2_f32_f16 v78, v102, v94, v78
	;;#ASMEND
	;;#ASMSTART
	v_dot2_f32_f16 v78, v103, v95, v78
	;;#ASMEND
	s_waitcnt lgkmcnt(0)
	;;#ASMSTART
	v_dot2_f32_f16 v82, v104, v88, v82
	;;#ASMEND
	;;#ASMSTART
	v_dot2_f32_f16 v82, v105, v89, v82
	;;#ASMEND
	;; [unrolled: 3-line block ×8, first 2 shown]
	ds_load_b128 v[86:89], v47 offset:112
	ds_load_b128 v[93:96], v51 offset:112
	;; [unrolled: 1-line block ×6, first 2 shown]
	s_waitcnt lgkmcnt(4)
	;;#ASMSTART
	v_dot2_f32_f16 v80, v86, v93, v80
	;;#ASMEND
	;;#ASMSTART
	v_dot2_f32_f16 v80, v87, v94, v80
	;;#ASMEND
	;; [unrolled: 3-line block ×4, first 2 shown]
	s_waitcnt lgkmcnt(3)
	;;#ASMSTART
	v_dot2_f32_f16 v48, v86, v97, v48
	;;#ASMEND
	;;#ASMSTART
	v_dot2_f32_f16 v48, v87, v98, v48
	;;#ASMEND
	;; [unrolled: 3-line block ×4, first 2 shown]
	s_waitcnt lgkmcnt(2)
	;;#ASMSTART
	v_dot2_f32_f16 v81, v101, v93, v81
	;;#ASMEND
	;;#ASMSTART
	v_dot2_f32_f16 v81, v102, v94, v81
	;;#ASMEND
	;; [unrolled: 3-line block ×3, first 2 shown]
	v_dual_mov_b32 v85, 0 :: v_dual_add_nc_u32 v92, s16, v37
	;;#ASMSTART
	v_dot2_f32_f16 v81, v104, v96, v81
	;;#ASMEND
	;;#ASMSTART
	v_dot2_f32_f16 v49, v101, v97, v49
	;;#ASMEND
	;; [unrolled: 3-line block ×5, first 2 shown]
	s_waitcnt lgkmcnt(1)
	;;#ASMSTART
	v_dot2_f32_f16 v83, v105, v93, v83
	;;#ASMEND
	;;#ASMSTART
	v_dot2_f32_f16 v83, v106, v94, v83
	;;#ASMEND
	v_add_nc_u32_e32 v0, v92, v52
	;;#ASMSTART
	v_dot2_f32_f16 v83, v107, v95, v83
	;;#ASMEND
	;;#ASMSTART
	v_dot2_f32_f16 v83, v108, v96, v83
	;;#ASMEND
	;; [unrolled: 3-line block ×6, first 2 shown]
	s_waitcnt lgkmcnt(0)
	;;#ASMSTART
	v_dot2_f32_f16 v82, v109, v93, v82
	;;#ASMEND
	v_ashrrev_i32_e32 v1, 31, v0
	;;#ASMSTART
	v_dot2_f32_f16 v82, v110, v94, v82
	;;#ASMEND
	;;#ASMSTART
	v_dot2_f32_f16 v82, v111, v95, v82
	;;#ASMEND
	;; [unrolled: 3-line block ×7, first 2 shown]
	s_cbranch_vccnz .LBB62_10
; %bb.9:                                ;   in Loop: Header=BB62_8 Depth=1
	v_lshlrev_b64 v[84:85], 1, v[0:1]
	s_delay_alu instid0(VALU_DEP_1) | instskip(NEXT) | instid1(VALU_DEP_2)
	v_add_co_u32 v84, vcc_lo, s40, v84
	v_add_co_ci_u32_e32 v85, vcc_lo, s41, v85, vcc_lo
	flat_load_u16 v84, v[84:85]
	s_waitcnt vmcnt(0) lgkmcnt(0)
	v_cvt_f32_f16_e32 v84, v84
	s_delay_alu instid0(VALU_DEP_1)
	v_mul_f32_e32 v85, v44, v84
.LBB62_10:                              ;   in Loop: Header=BB62_8 Depth=1
	v_dual_mov_b32 v86, 0 :: v_dual_mov_b32 v87, 0
	s_and_not1_b32 vcc_lo, exec_lo, s7
	s_cbranch_vccnz .LBB62_12
; %bb.11:                               ;   in Loop: Header=BB62_8 Depth=1
	v_lshlrev_b64 v[87:88], 1, v[0:1]
	s_delay_alu instid0(VALU_DEP_1) | instskip(NEXT) | instid1(VALU_DEP_2)
	v_add_co_u32 v87, vcc_lo, s9, v87
	v_add_co_ci_u32_e32 v88, vcc_lo, s10, v88, vcc_lo
	flat_load_u16 v84, v[87:88]
	s_waitcnt vmcnt(0) lgkmcnt(0)
	v_cvt_f32_f16_e32 v84, v84
	s_delay_alu instid0(VALU_DEP_1)
	v_mul_f32_e32 v87, v44, v84
.LBB62_12:                              ;   in Loop: Header=BB62_8 Depth=1
	s_and_not1_b32 vcc_lo, exec_lo, s7
	s_cbranch_vccnz .LBB62_14
; %bb.13:                               ;   in Loop: Header=BB62_8 Depth=1
	v_lshlrev_b64 v[88:89], 1, v[0:1]
	s_delay_alu instid0(VALU_DEP_1) | instskip(NEXT) | instid1(VALU_DEP_2)
	v_add_co_u32 v88, vcc_lo, s11, v88
	v_add_co_ci_u32_e32 v89, vcc_lo, s12, v89, vcc_lo
	flat_load_u16 v84, v[88:89]
	s_waitcnt vmcnt(0) lgkmcnt(0)
	v_cvt_f32_f16_e32 v84, v84
	s_delay_alu instid0(VALU_DEP_1)
	v_mul_f32_e32 v86, v44, v84
.LBB62_14:                              ;   in Loop: Header=BB62_8 Depth=1
	v_mov_b32_e32 v84, 0
	v_mov_b32_e32 v88, 0
	s_and_not1_b32 vcc_lo, exec_lo, s7
	s_cbranch_vccnz .LBB62_16
; %bb.15:                               ;   in Loop: Header=BB62_8 Depth=1
	v_lshlrev_b64 v[0:1], 1, v[0:1]
	s_delay_alu instid0(VALU_DEP_1) | instskip(NEXT) | instid1(VALU_DEP_2)
	v_add_co_u32 v0, vcc_lo, s13, v0
	v_add_co_ci_u32_e32 v1, vcc_lo, s20, v1, vcc_lo
	flat_load_u16 v0, v[0:1]
	s_waitcnt vmcnt(0) lgkmcnt(0)
	v_cvt_f32_f16_e32 v0, v0
	s_delay_alu instid0(VALU_DEP_1)
	v_mul_f32_e32 v88, v44, v0
.LBB62_16:                              ;   in Loop: Header=BB62_8 Depth=1
	v_dual_add_f32 v80, v80, v85 :: v_dual_add_f32 v81, v81, v87
	v_xor_b32_e32 v0, 16, v73
	v_add_f32_e32 v83, v83, v86
	s_delay_alu instid0(VALU_DEP_3) | instskip(NEXT) | instid1(VALU_DEP_2)
	v_dual_add_f32 v85, v82, v88 :: v_dual_add_f32 v86, 0x40051340, v81
	v_dual_add_f32 v1, 0x40051340, v80 :: v_dual_add_f32 v82, 0x40051340, v83
	s_delay_alu instid0(VALU_DEP_4) | instskip(NEXT) | instid1(VALU_DEP_2)
	v_cmp_gt_i32_e32 vcc_lo, 32, v0
	v_max3_f32 v1, v77, v1, v86
	v_cndmask_b32_e32 v0, v73, v0, vcc_lo
	s_delay_alu instid0(VALU_DEP_1) | instskip(NEXT) | instid1(VALU_DEP_1)
	v_dual_add_f32 v86, 0x40051340, v85 :: v_dual_lshlrev_b32 v87, 2, v0
	v_max3_f32 v0, v1, v82, v86
	v_xor_b32_e32 v82, 8, v73
	ds_bpermute_b32 v1, v87, v0
	v_cmp_gt_i32_e32 vcc_lo, 32, v82
	v_cndmask_b32_e32 v82, v73, v82, vcc_lo
	s_delay_alu instid0(VALU_DEP_1) | instskip(SKIP_1) | instid1(VALU_DEP_1)
	v_lshlrev_b32_e32 v88, 2, v82
	v_xor_b32_e32 v82, 4, v73
	v_cmp_gt_i32_e32 vcc_lo, 32, v82
	s_waitcnt lgkmcnt(0)
	v_max_f32_e32 v1, v1, v1
	v_cndmask_b32_e32 v82, v73, v82, vcc_lo
	s_delay_alu instid0(VALU_DEP_1) | instskip(SKIP_4) | instid1(VALU_DEP_1)
	v_dual_max_f32 v0, v0, v1 :: v_dual_lshlrev_b32 v89, 2, v82
	v_xor_b32_e32 v82, 2, v73
	ds_bpermute_b32 v1, v88, v0
	v_cmp_gt_i32_e32 vcc_lo, 32, v82
	v_cndmask_b32_e32 v82, v73, v82, vcc_lo
	v_lshlrev_b32_e32 v86, 2, v82
	v_xor_b32_e32 v82, 1, v73
	s_delay_alu instid0(VALU_DEP_1) | instskip(SKIP_3) | instid1(VALU_DEP_2)
	v_cmp_gt_i32_e32 vcc_lo, 32, v82
	s_waitcnt lgkmcnt(0)
	v_max_f32_e32 v1, v1, v1
	v_cndmask_b32_e32 v82, v73, v82, vcc_lo
	v_max_f32_e32 v0, v0, v1
	s_and_not1_b32 vcc_lo, exec_lo, s7
	s_delay_alu instid0(VALU_DEP_2) | instskip(SKIP_3) | instid1(VALU_DEP_1)
	v_lshlrev_b32_e32 v82, 2, v82
	ds_bpermute_b32 v1, v89, v0
	s_waitcnt lgkmcnt(0)
	v_max_f32_e32 v1, v1, v1
	v_max_f32_e32 v0, v0, v1
	ds_bpermute_b32 v1, v86, v0
	s_waitcnt lgkmcnt(0)
	v_max_f32_e32 v1, v1, v1
	s_delay_alu instid0(VALU_DEP_1)
	v_max_f32_e32 v90, v0, v1
	v_add_nc_u32_e32 v0, v92, v64
	ds_bpermute_b32 v91, v82, v90
	v_ashrrev_i32_e32 v1, 31, v0
	s_cbranch_vccnz .LBB62_18
; %bb.17:                               ;   in Loop: Header=BB62_8 Depth=1
	s_delay_alu instid0(VALU_DEP_1) | instskip(NEXT) | instid1(VALU_DEP_1)
	v_lshlrev_b64 v[92:93], 1, v[0:1]
	v_add_co_u32 v92, vcc_lo, s40, v92
	s_delay_alu instid0(VALU_DEP_2) | instskip(SKIP_3) | instid1(VALU_DEP_1)
	v_add_co_ci_u32_e32 v93, vcc_lo, s41, v93, vcc_lo
	flat_load_u16 v84, v[92:93]
	s_waitcnt vmcnt(0) lgkmcnt(0)
	v_cvt_f32_f16_e32 v84, v84
	v_mul_f32_e32 v84, v44, v84
.LBB62_18:                              ;   in Loop: Header=BB62_8 Depth=1
	v_dual_mov_b32 v92, 0 :: v_dual_mov_b32 v93, 0
	s_and_not1_b32 vcc_lo, exec_lo, s7
	s_cbranch_vccnz .LBB62_20
; %bb.19:                               ;   in Loop: Header=BB62_8 Depth=1
	v_lshlrev_b64 v[93:94], 1, v[0:1]
	s_delay_alu instid0(VALU_DEP_1) | instskip(NEXT) | instid1(VALU_DEP_2)
	v_add_co_u32 v93, vcc_lo, s9, v93
	v_add_co_ci_u32_e32 v94, vcc_lo, s10, v94, vcc_lo
	flat_load_u16 v93, v[93:94]
	s_waitcnt vmcnt(0) lgkmcnt(0)
	v_cvt_f32_f16_e32 v93, v93
	s_delay_alu instid0(VALU_DEP_1)
	v_mul_f32_e32 v93, v44, v93
.LBB62_20:                              ;   in Loop: Header=BB62_8 Depth=1
	s_and_not1_b32 vcc_lo, exec_lo, s7
	s_cbranch_vccnz .LBB62_22
; %bb.21:                               ;   in Loop: Header=BB62_8 Depth=1
	v_lshlrev_b64 v[94:95], 1, v[0:1]
	s_delay_alu instid0(VALU_DEP_1) | instskip(NEXT) | instid1(VALU_DEP_2)
	v_add_co_u32 v94, vcc_lo, s11, v94
	v_add_co_ci_u32_e32 v95, vcc_lo, s12, v95, vcc_lo
	flat_load_u16 v92, v[94:95]
	s_waitcnt vmcnt(0) lgkmcnt(0)
	v_cvt_f32_f16_e32 v92, v92
	s_delay_alu instid0(VALU_DEP_1)
	v_mul_f32_e32 v92, v44, v92
.LBB62_22:                              ;   in Loop: Header=BB62_8 Depth=1
	s_and_not1_b32 vcc_lo, exec_lo, s7
	s_cbranch_vccnz .LBB62_24
; %bb.23:                               ;   in Loop: Header=BB62_8 Depth=1
	v_lshlrev_b64 v[0:1], 1, v[0:1]
	s_delay_alu instid0(VALU_DEP_1) | instskip(NEXT) | instid1(VALU_DEP_2)
	v_add_co_u32 v0, vcc_lo, s13, v0
	v_add_co_ci_u32_e32 v1, vcc_lo, s20, v1, vcc_lo
	flat_load_u16 v0, v[0:1]
	s_waitcnt vmcnt(0) lgkmcnt(0)
	v_cvt_f32_f16_e32 v0, v0
	s_delay_alu instid0(VALU_DEP_1)
	v_mul_f32_e32 v0, v44, v0
	s_branch .LBB62_25
.LBB62_24:                              ;   in Loop: Header=BB62_8 Depth=1
	v_mov_b32_e32 v0, 0
.LBB62_25:                              ;   in Loop: Header=BB62_8 Depth=1
	s_mul_hi_i32 s27, s16, s22
	s_mul_i32 s26, s16, s22
	v_dual_add_f32 v84, v48, v84 :: v_dual_add_f32 v93, v49, v93
	s_lshl_b64 s[26:27], s[26:27], 2
	v_add_f32_e32 v92, v78, v92
	s_add_u32 s21, s19, s26
	s_addc_u32 s23, s18, s27
	v_add_co_u32 v1, vcc_lo, s21, v18
	v_add_co_ci_u32_e32 v95, vcc_lo, s23, v19, vcc_lo
	v_add_co_u32 v96, vcc_lo, s21, v20
	v_add_co_ci_u32_e32 v97, vcc_lo, s23, v21, vcc_lo
	s_delay_alu instid0(VALU_DEP_4) | instskip(NEXT) | instid1(VALU_DEP_4)
	v_add_co_u32 v94, vcc_lo, v1, v71
	v_add_co_ci_u32_e32 v95, vcc_lo, 0, v95, vcc_lo
	s_delay_alu instid0(VALU_DEP_4) | instskip(NEXT) | instid1(VALU_DEP_4)
	v_add_co_u32 v98, vcc_lo, v96, v71
	v_add_co_ci_u32_e32 v99, vcc_lo, 0, v97, vcc_lo
	v_add_co_u32 v1, vcc_lo, s21, v22
	v_add_co_ci_u32_e32 v103, vcc_lo, s23, v23, vcc_lo
	v_add_co_u32 v104, vcc_lo, s21, v24
	v_add_co_ci_u32_e32 v105, vcc_lo, s23, v25, vcc_lo
	s_delay_alu instid0(VALU_DEP_4) | instskip(NEXT) | instid1(VALU_DEP_4)
	v_add_co_u32 v102, vcc_lo, v1, v71
	v_add_co_ci_u32_e32 v103, vcc_lo, 0, v103, vcc_lo
	s_delay_alu instid0(VALU_DEP_4) | instskip(NEXT) | instid1(VALU_DEP_4)
	v_add_co_u32 v106, vcc_lo, v104, v71
	v_add_co_ci_u32_e32 v107, vcc_lo, 0, v105, vcc_lo
	;; [unrolled: 10-line block ×3, first 2 shown]
	v_add_co_u32 v1, vcc_lo, s21, v30
	v_add_co_ci_u32_e32 v104, vcc_lo, s23, v31, vcc_lo
	v_add_co_u32 v105, vcc_lo, s21, v32
	v_add_co_ci_u32_e32 v108, vcc_lo, s23, v33, vcc_lo
	s_delay_alu instid0(VALU_DEP_4)
	v_add_co_u32 v118, vcc_lo, v1, v71
	v_add_f32_e32 v1, 0x40051340, v93
	v_add_f32_e32 v79, v79, v0
	;; [unrolled: 1-line block ×4, first 2 shown]
	v_add_co_ci_u32_e32 v119, vcc_lo, 0, v104, vcc_lo
	s_delay_alu instid0(VALU_DEP_4) | instskip(NEXT) | instid1(VALU_DEP_4)
	v_add_f32_e32 v49, 0x40051340, v79
	v_max3_f32 v0, v76, v0, v1
	v_add_co_u32 v122, vcc_lo, v105, v71
	v_add_co_ci_u32_e32 v123, vcc_lo, 0, v108, vcc_lo
	s_delay_alu instid0(VALU_DEP_3)
	v_max3_f32 v0, v0, v48, v49
	s_waitcnt lgkmcnt(0)
	s_barrier
	buffer_gl0_inv
	s_clause 0x1
	global_load_b128 v[94:97], v[94:95], off
	global_load_b128 v[98:101], v[98:99], off
	ds_bpermute_b32 v1, v87, v0
	s_clause 0x5
	global_load_b128 v[102:105], v[102:103], off
	global_load_b128 v[106:109], v[106:107], off
	;; [unrolled: 1-line block ×6, first 2 shown]
	v_max_f32_e32 v49, v90, v90
	s_waitcnt lgkmcnt(0)
	v_max_f32_e32 v1, v1, v1
	s_delay_alu instid0(VALU_DEP_1) | instskip(SKIP_3) | instid1(VALU_DEP_1)
	v_max_f32_e32 v0, v0, v1
	ds_bpermute_b32 v1, v88, v0
	s_waitcnt lgkmcnt(0)
	v_max_f32_e32 v1, v1, v1
	v_dual_max_f32 v1, v0, v1 :: v_dual_max_f32 v0, v91, v91
	s_delay_alu instid0(VALU_DEP_1) | instskip(SKIP_4) | instid1(VALU_DEP_1)
	v_max_f32_e32 v0, v49, v0
	ds_bpermute_b32 v48, v89, v1
	v_sub_f32_e32 v88, v77, v0
	s_waitcnt lgkmcnt(0)
	v_max_f32_e32 v48, v48, v48
	v_max_f32_e32 v1, v1, v48
	ds_bpermute_b32 v86, v86, v1
	v_sub_f32_e32 v49, v81, v0
	v_sub_f32_e32 v81, v85, v0
	s_delay_alu instid0(VALU_DEP_1) | instskip(NEXT) | instid1(VALU_DEP_1)
	v_mul_f32_e32 v85, 0x3fb8aa3b, v81
	v_rndne_f32_e32 v130, v85
	s_waitcnt lgkmcnt(0)
	v_max_f32_e32 v86, v86, v86
	v_dual_sub_f32 v78, v80, v0 :: v_dual_mul_f32 v77, 0x3fb8aa3b, v49
	v_sub_f32_e32 v80, v83, v0
	v_cmp_ngt_f32_e32 vcc_lo, 0xc2ce8ed0, v49
	s_delay_alu instid0(VALU_DEP_4) | instskip(NEXT) | instid1(VALU_DEP_4)
	v_max_f32_e32 v1, v1, v86
	v_mul_f32_e32 v83, 0x3fb8aa3b, v78
	v_fma_f32 v89, 0x3fb8aa3b, v49, -v77
	v_rndne_f32_e32 v90, v77
	v_mul_f32_e32 v48, 0x3fb8aa3b, v80
	ds_bpermute_b32 v82, v82, v1
	v_fma_f32 v91, 0x3fb8aa3b, v78, -v83
	v_rndne_f32_e32 v126, v83
	v_sub_f32_e32 v77, v77, v90
	v_rndne_f32_e32 v128, v48
	v_fmac_f32_e32 v89, 0x32a5705f, v49
	v_fma_f32 v127, 0x3fb8aa3b, v80, -v48
	v_cvt_i32_f32_e32 v86, v90
	s_delay_alu instid0(VALU_DEP_4) | instskip(NEXT) | instid1(VALU_DEP_4)
	v_dual_sub_f32 v83, v83, v126 :: v_dual_sub_f32 v48, v48, v128
	v_add_f32_e32 v77, v77, v89
	v_cvt_i32_f32_e32 v90, v128
	v_cvt_i32_f32_e32 v89, v126
	s_delay_alu instid0(VALU_DEP_3) | instskip(SKIP_2) | instid1(VALU_DEP_1)
	v_exp_f32_e32 v77, v77
	s_waitcnt lgkmcnt(0)
	v_max_f32_e32 v82, v82, v82
	v_max_f32_e32 v1, v1, v82
	v_fmac_f32_e32 v127, 0x32a5705f, v80
	s_waitcnt_depctr 0xfff
	v_ldexp_f32 v77, v77, v86
	v_dual_mul_f32 v87, 0x3fb8aa3b, v88 :: v_dual_sub_f32 v86, v92, v1
	v_add_f32_e32 v48, v48, v127
	v_fma_f32 v129, 0x3fb8aa3b, v81, -v85
	s_delay_alu instid0(VALU_DEP_4) | instskip(SKIP_1) | instid1(VALU_DEP_4)
	v_cndmask_b32_e32 v77, 0, v77, vcc_lo
	v_cmp_ngt_f32_e32 vcc_lo, 0xc2ce8ed0, v78
	v_exp_f32_e32 v48, v48
	s_delay_alu instid0(VALU_DEP_3) | instskip(SKIP_3) | instid1(VALU_DEP_1)
	v_fmac_f32_e32 v129, 0x32a5705f, v81
	s_waitcnt_depctr 0xfff
	v_ldexp_f32 v48, v48, v90
	v_dual_fmac_f32 v91, 0x32a5705f, v78 :: v_dual_sub_f32 v90, v76, v1
	v_add_f32_e32 v83, v83, v91
	v_cvt_i32_f32_e32 v91, v130
	s_delay_alu instid0(VALU_DEP_3) | instskip(NEXT) | instid1(VALU_DEP_3)
	v_mul_f32_e32 v134, 0x3fb8aa3b, v90
	v_exp_f32_e32 v83, v83
	s_waitcnt_depctr 0xfff
	v_ldexp_f32 v83, v83, v89
	v_sub_f32_e32 v89, v79, v1
	s_delay_alu instid0(VALU_DEP_2) | instskip(SKIP_2) | instid1(VALU_DEP_4)
	v_cndmask_b32_e32 v83, 0, v83, vcc_lo
	v_sub_f32_e32 v85, v85, v130
	v_cmp_ngt_f32_e32 vcc_lo, 0xc2ce8ed0, v80
	v_mul_f32_e32 v92, 0x3fb8aa3b, v89
	s_delay_alu instid0(VALU_DEP_3) | instskip(SKIP_1) | instid1(VALU_DEP_3)
	v_dual_add_f32 v85, v85, v129 :: v_dual_cndmask_b32 v48, 0, v48
	v_cmp_ngt_f32_e32 vcc_lo, 0xc2ce8ed0, v81
	v_rndne_f32_e32 v133, v92
	s_delay_alu instid0(VALU_DEP_3) | instskip(SKIP_3) | instid1(VALU_DEP_2)
	v_exp_f32_e32 v85, v85
	s_waitcnt_depctr 0xfff
	v_ldexp_f32 v85, v85, v91
	v_mul_f32_e32 v91, 0x3fb8aa3b, v86
	v_cndmask_b32_e32 v85, 0, v85, vcc_lo
	v_cmp_nlt_f32_e32 vcc_lo, 0x42b17218, v49
	s_delay_alu instid0(VALU_DEP_3)
	v_fma_f32 v129, 0x3fb8aa3b, v86, -v91
	v_rndne_f32_e32 v130, v91
	v_cndmask_b32_e32 v77, 0x7f800000, v77, vcc_lo
	v_cmp_nlt_f32_e32 vcc_lo, 0x42b17218, v80
	v_sub_f32_e32 v80, v84, v1
	v_fma_f32 v131, 0x3fb8aa3b, v88, -v87
	v_rndne_f32_e32 v132, v87
	v_fmac_f32_e32 v129, 0x32a5705f, v86
	v_cndmask_b32_e32 v49, 0x7f800000, v48, vcc_lo
	v_cmp_nlt_f32_e32 vcc_lo, 0x42b17218, v81
	v_sub_f32_e32 v81, v93, v1
	v_mul_f32_e32 v79, 0x3fb8aa3b, v80
	v_fmac_f32_e32 v131, 0x32a5705f, v88
	v_dual_sub_f32 v87, v87, v132 :: v_dual_cndmask_b32 v48, 0x7f800000, v85
	s_delay_alu instid0(VALU_DEP_4) | instskip(NEXT) | instid1(VALU_DEP_4)
	v_mul_f32_e32 v76, 0x3fb8aa3b, v81
	v_fma_f32 v93, 0x3fb8aa3b, v80, -v79
	v_rndne_f32_e32 v126, v79
	v_cmp_nlt_f32_e32 vcc_lo, 0x42b17218, v78
	v_sub_f32_e32 v91, v91, v130
	v_fma_f32 v127, 0x3fb8aa3b, v81, -v76
	v_rndne_f32_e32 v128, v76
	v_fmac_f32_e32 v93, 0x32a5705f, v80
	v_sub_f32_e32 v79, v79, v126
	v_cvt_i32_f32_e32 v126, v126
	s_delay_alu instid0(VALU_DEP_4) | instskip(NEXT) | instid1(VALU_DEP_3)
	v_dual_fmac_f32 v127, 0x32a5705f, v81 :: v_dual_sub_f32 v76, v76, v128
	v_dual_cndmask_b32 v78, 0x7f800000, v83 :: v_dual_add_f32 v79, v79, v93
	v_cvt_i32_f32_e32 v128, v128
	v_cmp_ngt_f32_e32 vcc_lo, 0xc2ce8ed0, v80
	s_delay_alu instid0(VALU_DEP_4) | instskip(NEXT) | instid1(VALU_DEP_4)
	v_dual_add_f32 v76, v76, v127 :: v_dual_add_f32 v91, v91, v129
	v_exp_f32_e32 v79, v79
	v_cvt_i32_f32_e32 v129, v130
	v_cvt_i32_f32_e32 v130, v133
	s_delay_alu instid0(VALU_DEP_3)
	v_exp_f32_e32 v76, v76
	v_exp_f32_e32 v91, v91
	v_fma_f32 v93, 0x3fb8aa3b, v90, -v134
	v_rndne_f32_e32 v127, v134
	v_cvt_f16_f32_e32 v82, v77
	v_cvt_f16_f32_e32 v85, v48
	;; [unrolled: 1-line block ×3, first 2 shown]
	v_ldexp_f32 v79, v79, v126
	v_fmac_f32_e32 v93, 0x32a5705f, v90
	v_add_f32_e32 v77, v78, v77
	v_ldexp_f32 v76, v76, v128
	v_ldexp_f32 v91, v91, v129
	v_cndmask_b32_e32 v79, 0, v79, vcc_lo
	v_cmp_ngt_f32_e32 vcc_lo, 0xc2ce8ed0, v81
	v_add_f32_e32 v87, v87, v131
	v_fma_f32 v131, 0x3fb8aa3b, v89, -v92
	v_sub_f32_e32 v92, v92, v133
	v_cndmask_b32_e32 v76, 0, v76, vcc_lo
	v_cmp_ngt_f32_e32 vcc_lo, 0xc2ce8ed0, v86
	s_delay_alu instid0(VALU_DEP_4) | instskip(SKIP_1) | instid1(VALU_DEP_2)
	v_fmac_f32_e32 v131, 0x32a5705f, v89
	v_cndmask_b32_e32 v91, 0, v91, vcc_lo
	v_add_f32_e32 v92, v92, v131
	v_cmp_ngt_f32_e32 vcc_lo, 0xc2ce8ed0, v89
	s_delay_alu instid0(VALU_DEP_2) | instskip(SKIP_2) | instid1(VALU_DEP_1)
	v_exp_f32_e32 v92, v92
	s_waitcnt_depctr 0xfff
	v_ldexp_f32 v92, v92, v130
	v_cndmask_b32_e32 v92, 0, v92, vcc_lo
	v_cmp_nlt_f32_e32 vcc_lo, 0x42b17218, v80
	v_cndmask_b32_e32 v79, 0x7f800000, v79, vcc_lo
	v_cmp_nlt_f32_e32 vcc_lo, 0x42b17218, v81
	;; [unrolled: 2-line block ×3, first 2 shown]
	v_sub_f32_e32 v86, v134, v127
	s_delay_alu instid0(VALU_DEP_3)
	v_add_f32_e32 v78, v79, v81
	v_cndmask_b32_e32 v80, 0x7f800000, v91, vcc_lo
	v_cmp_nlt_f32_e32 vcc_lo, 0x42b17218, v89
	v_cvt_f16_f32_e32 v91, v81
	v_cvt_f16_f32_e32 v89, v79
	v_add_f32_e32 v86, v86, v93
	v_cvt_f16_f32_e32 v83, v49
	v_cndmask_b32_e32 v76, 0x7f800000, v92, vcc_lo
	v_pack_b32_f16 v82, v82, v91
	v_exp_f32_e32 v91, v87
	v_cvt_f16_f32_e32 v92, v80
	v_pack_b32_f16 v84, v84, v89
	v_cvt_f16_f32_e32 v126, v76
	v_cvt_i32_f32_e32 v89, v132
	v_cmp_ngt_f32_e32 vcc_lo, 0xc2ce8ed0, v88
	v_pack_b32_f16 v83, v83, v92
	v_add_f32_e32 v49, v49, v77
	v_pack_b32_f16 v85, v85, v126
	v_exp_f32_e32 v126, v86
	ds_store_2addr_b32 v72, v84, v82 offset1:32
	ds_store_2addr_b32 v72, v83, v85 offset0:64 offset1:96
	s_waitcnt vmcnt(7)
	ds_store_b128 v55, v[94:97]
	s_waitcnt vmcnt(6)
	ds_store_b128 v63, v[98:101]
	;; [unrolled: 2-line block ×8, first 2 shown]
	v_cvt_i32_f32_e32 v82, v127
	v_ldexp_f32 v83, v91, v89
	s_waitcnt lgkmcnt(0)
	s_barrier
	buffer_gl0_inv
	ds_load_2addr_b32 v[92:93], v40 offset1:32
	ds_load_b128 v[84:87], v53
	v_ldexp_f32 v82, v126, v82
	v_cndmask_b32_e32 v83, 0, v83, vcc_lo
	v_cmp_ngt_f32_e32 vcc_lo, 0xc2ce8ed0, v90
	ds_load_2addr_b32 v[94:95], v40 offset0:64 offset1:96
	ds_load_2addr_b32 v[96:97], v40 offset0:128 offset1:160
	v_dual_add_f32 v77, v80, v78 :: v_dual_add_nc_u32 v104, 0x400, v40
	v_cndmask_b32_e32 v89, 0, v82, vcc_lo
	v_cmp_nlt_f32_e32 vcc_lo, 0x42b17218, v88
	v_add_f32_e32 v49, v48, v49
	ds_load_2addr_b32 v[102:103], v104 offset0:64 offset1:96
	v_add_f32_e32 v48, v76, v77
	v_cndmask_b32_e32 v82, 0x7f800000, v83, vcc_lo
	v_cmp_nlt_f32_e32 vcc_lo, 0x42b17218, v90
	s_delay_alu instid0(VALU_DEP_2)
	v_cvt_f16_f32_e32 v98, v82
	v_cndmask_b32_e32 v83, 0x7f800000, v89, vcc_lo
	s_waitcnt lgkmcnt(3)
	v_pk_mul_f16 v99, v92, v84 op_sel_hi:[1,0]
	v_pk_mul_f16 v84, v92, v84 op_sel:[0,1]
	ds_load_b128 v[88:91], v53 offset:16
	v_fmac_f32_e32 v49, v74, v82
	v_cvt_f16_f32_e32 v100, v83
	v_pk_fma_f16 v43, v98, v43, v99 op_sel_hi:[0,1,1]
	ds_load_2addr_b32 v[98:99], v40 offset0:192 offset1:224
	v_fmac_f32_e32 v48, v75, v83
	v_pk_fma_f16 v41, v41, v100, v84 op_sel_hi:[1,0,1]
	v_pk_fma_f16 v43, v93, v85, v43 op_sel_hi:[1,0,1]
	ds_load_2addr_b32 v[100:101], v104 offset1:32
	v_pk_fma_f16 v41, v93, v85, v41 op_sel:[0,1,0]
	s_waitcnt lgkmcnt(5)
	v_pk_fma_f16 v43, v94, v86, v43 op_sel_hi:[1,0,1]
	s_delay_alu instid0(VALU_DEP_2) | instskip(NEXT) | instid1(VALU_DEP_2)
	v_pk_fma_f16 v41, v94, v86, v41 op_sel:[0,1,0]
	v_pk_fma_f16 v43, v95, v87, v43 op_sel_hi:[1,0,1]
	s_delay_alu instid0(VALU_DEP_2) | instskip(SKIP_4) | instid1(VALU_DEP_2)
	v_pk_fma_f16 v41, v95, v87, v41 op_sel:[0,1,0]
	ds_load_b128 v[84:87], v53 offset:32
	s_waitcnt lgkmcnt(3)
	v_pk_fma_f16 v43, v96, v88, v43 op_sel_hi:[1,0,1]
	v_pk_fma_f16 v41, v96, v88, v41 op_sel:[0,1,0]
	v_pk_fma_f16 v43, v97, v89, v43 op_sel_hi:[1,0,1]
	s_delay_alu instid0(VALU_DEP_2)
	v_pk_fma_f16 v41, v97, v89, v41 op_sel:[0,1,0]
	ds_load_2addr_b32 v[88:89], v104 offset0:128 offset1:160
	ds_load_b128 v[92:95], v53 offset:48
	s_waitcnt lgkmcnt(4)
	v_pk_fma_f16 v43, v98, v90, v43 op_sel_hi:[1,0,1]
	ds_load_2addr_b32 v[96:97], v104 offset0:192 offset1:224
	v_add_nc_u32_e32 v104, 0x800, v40
	v_pk_fma_f16 v41, v98, v90, v41 op_sel:[0,1,0]
	v_pk_fma_f16 v43, v99, v91, v43 op_sel_hi:[1,0,1]
	s_delay_alu instid0(VALU_DEP_2) | instskip(SKIP_4) | instid1(VALU_DEP_2)
	v_pk_fma_f16 v41, v99, v91, v41 op_sel:[0,1,0]
	ds_load_2addr_b32 v[98:99], v104 offset1:32
	s_waitcnt lgkmcnt(4)
	v_pk_fma_f16 v43, v100, v84, v43 op_sel_hi:[1,0,1]
	v_pk_fma_f16 v41, v100, v84, v41 op_sel:[0,1,0]
	v_pk_fma_f16 v43, v101, v85, v43 op_sel_hi:[1,0,1]
	s_delay_alu instid0(VALU_DEP_2) | instskip(SKIP_4) | instid1(VALU_DEP_3)
	v_pk_fma_f16 v41, v101, v85, v41 op_sel:[0,1,0]
	ds_load_2addr_b32 v[100:101], v104 offset0:64 offset1:96
	v_pk_fma_f16 v43, v102, v86, v43 op_sel_hi:[1,0,1]
	v_pk_fma_f16 v41, v102, v86, v41 op_sel:[0,1,0]
	v_add_nc_u32_e32 v102, 0xc00, v40
	v_pk_fma_f16 v43, v103, v87, v43 op_sel_hi:[1,0,1]
	s_delay_alu instid0(VALU_DEP_3) | instskip(SKIP_4) | instid1(VALU_DEP_2)
	v_pk_fma_f16 v41, v103, v87, v41 op_sel:[0,1,0]
	ds_load_b128 v[84:87], v53 offset:64
	s_waitcnt lgkmcnt(4)
	v_pk_fma_f16 v43, v88, v92, v43 op_sel_hi:[1,0,1]
	v_pk_fma_f16 v41, v88, v92, v41 op_sel:[0,1,0]
	v_pk_fma_f16 v43, v89, v93, v43 op_sel_hi:[1,0,1]
	s_delay_alu instid0(VALU_DEP_2)
	v_pk_fma_f16 v41, v89, v93, v41 op_sel:[0,1,0]
	ds_load_2addr_b32 v[92:93], v104 offset0:128 offset1:160
	ds_load_b128 v[88:91], v53 offset:80
	s_waitcnt lgkmcnt(5)
	v_pk_fma_f16 v43, v96, v94, v43 op_sel_hi:[1,0,1]
	v_pk_fma_f16 v41, v96, v94, v41 op_sel:[0,1,0]
	s_delay_alu instid0(VALU_DEP_2) | instskip(NEXT) | instid1(VALU_DEP_2)
	v_pk_fma_f16 v43, v97, v95, v43 op_sel_hi:[1,0,1]
	v_pk_fma_f16 v41, v97, v95, v41 op_sel:[0,1,0]
	ds_load_2addr_b32 v[95:96], v104 offset0:192 offset1:224
	s_waitcnt lgkmcnt(3)
	v_pk_fma_f16 v43, v98, v84, v43 op_sel_hi:[1,0,1]
	v_pk_fma_f16 v41, v98, v84, v41 op_sel:[0,1,0]
	ds_load_2addr_b32 v[97:98], v102 offset1:32
	v_pk_fma_f16 v43, v99, v85, v43 op_sel_hi:[1,0,1]
	v_pk_fma_f16 v41, v99, v85, v41 op_sel:[0,1,0]
	s_delay_alu instid0(VALU_DEP_2) | instskip(NEXT) | instid1(VALU_DEP_2)
	v_pk_fma_f16 v43, v100, v86, v43 op_sel_hi:[1,0,1]
	v_pk_fma_f16 v41, v100, v86, v41 op_sel:[0,1,0]
	ds_load_2addr_b32 v[99:100], v102 offset0:64 offset1:96
	v_pk_fma_f16 v43, v101, v87, v43 op_sel_hi:[1,0,1]
	v_pk_fma_f16 v41, v101, v87, v41 op_sel:[0,1,0]
	ds_load_b128 v[84:87], v53 offset:96
	s_waitcnt lgkmcnt(4)
	v_pk_fma_f16 v43, v92, v88, v43 op_sel_hi:[1,0,1]
	v_pk_fma_f16 v41, v92, v88, v41 op_sel:[0,1,0]
	s_delay_alu instid0(VALU_DEP_2) | instskip(NEXT) | instid1(VALU_DEP_2)
	v_pk_fma_f16 v43, v93, v89, v43 op_sel_hi:[1,0,1]
	v_pk_fma_f16 v41, v93, v89, v41 op_sel:[0,1,0]
	s_waitcnt lgkmcnt(3)
	s_delay_alu instid0(VALU_DEP_2) | instskip(NEXT) | instid1(VALU_DEP_2)
	v_pk_fma_f16 v43, v95, v90, v43 op_sel_hi:[1,0,1]
	v_pk_fma_f16 v41, v95, v90, v41 op_sel:[0,1,0]
	ds_load_2addr_b32 v[88:89], v102 offset0:128 offset1:160
	ds_load_b128 v[92:95], v53 offset:112
	v_pk_fma_f16 v43, v96, v91, v43 op_sel_hi:[1,0,1]
	v_pk_fma_f16 v41, v96, v91, v41 op_sel:[0,1,0]
	s_waitcnt lgkmcnt(2)
	s_delay_alu instid0(VALU_DEP_2) | instskip(NEXT) | instid1(VALU_DEP_2)
	v_pk_fma_f16 v43, v97, v84, v43 op_sel_hi:[1,0,1]
	v_pk_fma_f16 v41, v97, v84, v41 op_sel:[0,1,0]
	ds_load_2addr_b32 v[96:97], v102 offset0:192 offset1:224
	v_pk_fma_f16 v43, v98, v85, v43 op_sel_hi:[1,0,1]
	v_add_nc_u32_e32 v102, 0x1000, v40
	v_pk_fma_f16 v41, v98, v85, v41 op_sel:[0,1,0]
	s_delay_alu instid0(VALU_DEP_3) | instskip(NEXT) | instid1(VALU_DEP_2)
	v_pk_fma_f16 v43, v99, v86, v43 op_sel_hi:[1,0,1]
	v_pk_fma_f16 v41, v99, v86, v41 op_sel:[0,1,0]
	ds_load_2addr_b32 v[98:99], v102 offset1:32
	v_pk_fma_f16 v43, v100, v87, v43 op_sel_hi:[1,0,1]
	v_pk_fma_f16 v41, v100, v87, v41 op_sel:[0,1,0]
	ds_load_b128 v[84:87], v53 offset:128
	s_waitcnt lgkmcnt(3)
	v_pk_fma_f16 v43, v88, v92, v43 op_sel_hi:[1,0,1]
	ds_load_2addr_b32 v[100:101], v102 offset0:64 offset1:96
	v_pk_fma_f16 v41, v88, v92, v41 op_sel:[0,1,0]
	v_pk_fma_f16 v43, v89, v93, v43 op_sel_hi:[1,0,1]
	s_delay_alu instid0(VALU_DEP_2)
	v_pk_fma_f16 v41, v89, v93, v41 op_sel:[0,1,0]
	ds_load_2addr_b32 v[92:93], v102 offset0:128 offset1:160
	ds_load_b128 v[88:91], v53 offset:144
	s_waitcnt lgkmcnt(5)
	v_pk_fma_f16 v43, v96, v94, v43 op_sel_hi:[1,0,1]
	v_pk_fma_f16 v41, v96, v94, v41 op_sel:[0,1,0]
	s_delay_alu instid0(VALU_DEP_2) | instskip(NEXT) | instid1(VALU_DEP_2)
	v_pk_fma_f16 v43, v97, v95, v43 op_sel_hi:[1,0,1]
	v_pk_fma_f16 v41, v97, v95, v41 op_sel:[0,1,0]
	ds_load_2addr_b32 v[95:96], v102 offset0:192 offset1:224
	s_waitcnt lgkmcnt(4)
	v_pk_fma_f16 v43, v98, v84, v43 op_sel_hi:[1,0,1]
	v_add_nc_u32_e32 v102, 0x1400, v40
	v_pk_fma_f16 v41, v98, v84, v41 op_sel:[0,1,0]
	s_delay_alu instid0(VALU_DEP_3) | instskip(SKIP_4) | instid1(VALU_DEP_2)
	v_pk_fma_f16 v43, v99, v85, v43 op_sel_hi:[1,0,1]
	ds_load_2addr_b32 v[97:98], v102 offset1:32
	v_pk_fma_f16 v41, v99, v85, v41 op_sel:[0,1,0]
	s_waitcnt lgkmcnt(4)
	v_pk_fma_f16 v43, v100, v86, v43 op_sel_hi:[1,0,1]
	v_pk_fma_f16 v41, v100, v86, v41 op_sel:[0,1,0]
	ds_load_2addr_b32 v[99:100], v102 offset0:64 offset1:96
	v_pk_fma_f16 v43, v101, v87, v43 op_sel_hi:[1,0,1]
	v_pk_fma_f16 v41, v101, v87, v41 op_sel:[0,1,0]
	ds_load_b128 v[84:87], v53 offset:160
	s_waitcnt lgkmcnt(4)
	v_pk_fma_f16 v43, v92, v88, v43 op_sel_hi:[1,0,1]
	v_pk_fma_f16 v41, v92, v88, v41 op_sel:[0,1,0]
	s_delay_alu instid0(VALU_DEP_2) | instskip(NEXT) | instid1(VALU_DEP_2)
	v_pk_fma_f16 v43, v93, v89, v43 op_sel_hi:[1,0,1]
	v_pk_fma_f16 v41, v93, v89, v41 op_sel:[0,1,0]
	s_waitcnt lgkmcnt(3)
	s_delay_alu instid0(VALU_DEP_2) | instskip(NEXT) | instid1(VALU_DEP_2)
	v_pk_fma_f16 v43, v95, v90, v43 op_sel_hi:[1,0,1]
	v_pk_fma_f16 v41, v95, v90, v41 op_sel:[0,1,0]
	ds_load_2addr_b32 v[88:89], v102 offset0:128 offset1:160
	ds_load_b128 v[92:95], v53 offset:176
	v_pk_fma_f16 v43, v96, v91, v43 op_sel_hi:[1,0,1]
	v_pk_fma_f16 v41, v96, v91, v41 op_sel:[0,1,0]
	s_waitcnt lgkmcnt(2)
	s_delay_alu instid0(VALU_DEP_2) | instskip(NEXT) | instid1(VALU_DEP_2)
	v_pk_fma_f16 v43, v97, v84, v43 op_sel_hi:[1,0,1]
	v_pk_fma_f16 v41, v97, v84, v41 op_sel:[0,1,0]
	ds_load_2addr_b32 v[96:97], v102 offset0:192 offset1:224
	v_pk_fma_f16 v43, v98, v85, v43 op_sel_hi:[1,0,1]
	v_add_nc_u32_e32 v102, 0x1800, v40
	v_pk_fma_f16 v41, v98, v85, v41 op_sel:[0,1,0]
	s_delay_alu instid0(VALU_DEP_3) | instskip(NEXT) | instid1(VALU_DEP_2)
	v_pk_fma_f16 v43, v99, v86, v43 op_sel_hi:[1,0,1]
	v_pk_fma_f16 v41, v99, v86, v41 op_sel:[0,1,0]
	ds_load_2addr_b32 v[98:99], v102 offset1:32
	v_pk_fma_f16 v43, v100, v87, v43 op_sel_hi:[1,0,1]
	v_pk_fma_f16 v41, v100, v87, v41 op_sel:[0,1,0]
	ds_load_b128 v[84:87], v53 offset:192
	s_waitcnt lgkmcnt(3)
	v_pk_fma_f16 v43, v88, v92, v43 op_sel_hi:[1,0,1]
	ds_load_2addr_b32 v[100:101], v102 offset0:64 offset1:96
	v_pk_fma_f16 v41, v88, v92, v41 op_sel:[0,1,0]
	v_pk_fma_f16 v43, v89, v93, v43 op_sel_hi:[1,0,1]
	s_delay_alu instid0(VALU_DEP_2)
	v_pk_fma_f16 v41, v89, v93, v41 op_sel:[0,1,0]
	ds_load_2addr_b32 v[92:93], v102 offset0:128 offset1:160
	ds_load_b128 v[88:91], v53 offset:208
	s_waitcnt lgkmcnt(5)
	v_pk_fma_f16 v43, v96, v94, v43 op_sel_hi:[1,0,1]
	v_pk_fma_f16 v41, v96, v94, v41 op_sel:[0,1,0]
	s_delay_alu instid0(VALU_DEP_2) | instskip(NEXT) | instid1(VALU_DEP_2)
	v_pk_fma_f16 v43, v97, v95, v43 op_sel_hi:[1,0,1]
	v_pk_fma_f16 v41, v97, v95, v41 op_sel:[0,1,0]
	ds_load_2addr_b32 v[95:96], v102 offset0:192 offset1:224
	s_waitcnt lgkmcnt(4)
	v_pk_fma_f16 v43, v98, v84, v43 op_sel_hi:[1,0,1]
	v_add_nc_u32_e32 v102, 0x1c00, v40
	v_pk_fma_f16 v41, v98, v84, v41 op_sel:[0,1,0]
	s_delay_alu instid0(VALU_DEP_3) | instskip(SKIP_4) | instid1(VALU_DEP_2)
	v_pk_fma_f16 v43, v99, v85, v43 op_sel_hi:[1,0,1]
	ds_load_2addr_b32 v[97:98], v102 offset1:32
	v_pk_fma_f16 v41, v99, v85, v41 op_sel:[0,1,0]
	s_waitcnt lgkmcnt(4)
	v_pk_fma_f16 v43, v100, v86, v43 op_sel_hi:[1,0,1]
	v_pk_fma_f16 v41, v100, v86, v41 op_sel:[0,1,0]
	ds_load_2addr_b32 v[99:100], v102 offset0:64 offset1:96
	v_pk_fma_f16 v43, v101, v87, v43 op_sel_hi:[1,0,1]
	v_pk_fma_f16 v41, v101, v87, v41 op_sel:[0,1,0]
	ds_load_b128 v[84:87], v53 offset:224
	s_waitcnt lgkmcnt(4)
	v_pk_fma_f16 v43, v92, v88, v43 op_sel_hi:[1,0,1]
	v_pk_fma_f16 v41, v92, v88, v41 op_sel:[0,1,0]
	s_delay_alu instid0(VALU_DEP_2) | instskip(NEXT) | instid1(VALU_DEP_2)
	v_pk_fma_f16 v43, v93, v89, v43 op_sel_hi:[1,0,1]
	v_pk_fma_f16 v41, v93, v89, v41 op_sel:[0,1,0]
	s_waitcnt lgkmcnt(3)
	s_delay_alu instid0(VALU_DEP_2) | instskip(NEXT) | instid1(VALU_DEP_2)
	v_pk_fma_f16 v43, v95, v90, v43 op_sel_hi:[1,0,1]
	v_pk_fma_f16 v41, v95, v90, v41 op_sel:[0,1,0]
	ds_load_2addr_b32 v[88:89], v102 offset0:128 offset1:160
	ds_load_b128 v[92:95], v53 offset:240
	v_pk_fma_f16 v43, v96, v91, v43 op_sel_hi:[1,0,1]
	v_pk_fma_f16 v41, v96, v91, v41 op_sel:[0,1,0]
	s_waitcnt lgkmcnt(2)
	s_delay_alu instid0(VALU_DEP_2) | instskip(NEXT) | instid1(VALU_DEP_2)
	v_pk_fma_f16 v43, v97, v84, v43 op_sel_hi:[1,0,1]
	v_pk_fma_f16 v41, v97, v84, v41 op_sel:[0,1,0]
	ds_load_2addr_b32 v[96:97], v102 offset0:192 offset1:224
	v_pk_fma_f16 v43, v98, v85, v43 op_sel_hi:[1,0,1]
	v_add_nc_u32_e32 v102, 0x2000, v40
	v_pk_fma_f16 v41, v98, v85, v41 op_sel:[0,1,0]
	s_delay_alu instid0(VALU_DEP_3) | instskip(NEXT) | instid1(VALU_DEP_2)
	v_pk_fma_f16 v43, v99, v86, v43 op_sel_hi:[1,0,1]
	v_pk_fma_f16 v41, v99, v86, v41 op_sel:[0,1,0]
	ds_load_2addr_b32 v[98:99], v102 offset1:32
	v_pk_fma_f16 v43, v100, v87, v43 op_sel_hi:[1,0,1]
	v_pk_fma_f16 v41, v100, v87, v41 op_sel:[0,1,0]
	ds_load_b128 v[84:87], v53 offset:256
	s_waitcnt lgkmcnt(3)
	v_pk_fma_f16 v43, v88, v92, v43 op_sel_hi:[1,0,1]
	ds_load_2addr_b32 v[100:101], v102 offset0:64 offset1:96
	v_pk_fma_f16 v41, v88, v92, v41 op_sel:[0,1,0]
	v_pk_fma_f16 v43, v89, v93, v43 op_sel_hi:[1,0,1]
	s_delay_alu instid0(VALU_DEP_2)
	v_pk_fma_f16 v41, v89, v93, v41 op_sel:[0,1,0]
	ds_load_2addr_b32 v[92:93], v102 offset0:128 offset1:160
	ds_load_b128 v[88:91], v53 offset:272
	s_waitcnt lgkmcnt(5)
	v_pk_fma_f16 v43, v96, v94, v43 op_sel_hi:[1,0,1]
	v_pk_fma_f16 v41, v96, v94, v41 op_sel:[0,1,0]
	s_delay_alu instid0(VALU_DEP_2) | instskip(NEXT) | instid1(VALU_DEP_2)
	v_pk_fma_f16 v43, v97, v95, v43 op_sel_hi:[1,0,1]
	v_pk_fma_f16 v41, v97, v95, v41 op_sel:[0,1,0]
	ds_load_2addr_b32 v[95:96], v102 offset0:192 offset1:224
	s_waitcnt lgkmcnt(4)
	v_pk_fma_f16 v43, v98, v84, v43 op_sel_hi:[1,0,1]
	v_add_nc_u32_e32 v102, 0x2400, v40
	v_pk_fma_f16 v41, v98, v84, v41 op_sel:[0,1,0]
	s_delay_alu instid0(VALU_DEP_3) | instskip(SKIP_4) | instid1(VALU_DEP_2)
	v_pk_fma_f16 v43, v99, v85, v43 op_sel_hi:[1,0,1]
	ds_load_2addr_b32 v[97:98], v102 offset1:32
	v_pk_fma_f16 v41, v99, v85, v41 op_sel:[0,1,0]
	s_waitcnt lgkmcnt(4)
	v_pk_fma_f16 v43, v100, v86, v43 op_sel_hi:[1,0,1]
	v_pk_fma_f16 v41, v100, v86, v41 op_sel:[0,1,0]
	ds_load_2addr_b32 v[99:100], v102 offset0:64 offset1:96
	v_pk_fma_f16 v43, v101, v87, v43 op_sel_hi:[1,0,1]
	v_pk_fma_f16 v41, v101, v87, v41 op_sel:[0,1,0]
	ds_load_b128 v[84:87], v53 offset:288
	s_waitcnt lgkmcnt(4)
	v_pk_fma_f16 v43, v92, v88, v43 op_sel_hi:[1,0,1]
	v_pk_fma_f16 v41, v92, v88, v41 op_sel:[0,1,0]
	s_delay_alu instid0(VALU_DEP_2) | instskip(NEXT) | instid1(VALU_DEP_2)
	v_pk_fma_f16 v43, v93, v89, v43 op_sel_hi:[1,0,1]
	v_pk_fma_f16 v41, v93, v89, v41 op_sel:[0,1,0]
	s_waitcnt lgkmcnt(3)
	s_delay_alu instid0(VALU_DEP_2) | instskip(NEXT) | instid1(VALU_DEP_2)
	v_pk_fma_f16 v43, v95, v90, v43 op_sel_hi:[1,0,1]
	v_pk_fma_f16 v41, v95, v90, v41 op_sel:[0,1,0]
	ds_load_2addr_b32 v[88:89], v102 offset0:128 offset1:160
	ds_load_b128 v[92:95], v53 offset:304
	v_pk_fma_f16 v43, v96, v91, v43 op_sel_hi:[1,0,1]
	v_pk_fma_f16 v41, v96, v91, v41 op_sel:[0,1,0]
	s_waitcnt lgkmcnt(2)
	s_delay_alu instid0(VALU_DEP_2) | instskip(NEXT) | instid1(VALU_DEP_2)
	v_pk_fma_f16 v43, v97, v84, v43 op_sel_hi:[1,0,1]
	v_pk_fma_f16 v41, v97, v84, v41 op_sel:[0,1,0]
	ds_load_2addr_b32 v[96:97], v102 offset0:192 offset1:224
	v_pk_fma_f16 v43, v98, v85, v43 op_sel_hi:[1,0,1]
	v_add_nc_u32_e32 v102, 0x2800, v40
	v_pk_fma_f16 v41, v98, v85, v41 op_sel:[0,1,0]
	s_delay_alu instid0(VALU_DEP_3) | instskip(NEXT) | instid1(VALU_DEP_2)
	v_pk_fma_f16 v43, v99, v86, v43 op_sel_hi:[1,0,1]
	v_pk_fma_f16 v41, v99, v86, v41 op_sel:[0,1,0]
	ds_load_2addr_b32 v[98:99], v102 offset1:32
	v_pk_fma_f16 v43, v100, v87, v43 op_sel_hi:[1,0,1]
	v_pk_fma_f16 v41, v100, v87, v41 op_sel:[0,1,0]
	ds_load_b128 v[84:87], v53 offset:320
	s_waitcnt lgkmcnt(3)
	v_pk_fma_f16 v43, v88, v92, v43 op_sel_hi:[1,0,1]
	ds_load_2addr_b32 v[100:101], v102 offset0:64 offset1:96
	v_pk_fma_f16 v41, v88, v92, v41 op_sel:[0,1,0]
	v_pk_fma_f16 v43, v89, v93, v43 op_sel_hi:[1,0,1]
	s_delay_alu instid0(VALU_DEP_2)
	v_pk_fma_f16 v41, v89, v93, v41 op_sel:[0,1,0]
	ds_load_2addr_b32 v[92:93], v102 offset0:128 offset1:160
	ds_load_b128 v[88:91], v53 offset:336
	s_waitcnt lgkmcnt(5)
	v_pk_fma_f16 v43, v96, v94, v43 op_sel_hi:[1,0,1]
	v_pk_fma_f16 v41, v96, v94, v41 op_sel:[0,1,0]
	s_delay_alu instid0(VALU_DEP_2) | instskip(NEXT) | instid1(VALU_DEP_2)
	v_pk_fma_f16 v43, v97, v95, v43 op_sel_hi:[1,0,1]
	v_pk_fma_f16 v41, v97, v95, v41 op_sel:[0,1,0]
	ds_load_2addr_b32 v[95:96], v102 offset0:192 offset1:224
	s_waitcnt lgkmcnt(4)
	v_pk_fma_f16 v43, v98, v84, v43 op_sel_hi:[1,0,1]
	v_add_nc_u32_e32 v102, 0x2c00, v40
	v_pk_fma_f16 v41, v98, v84, v41 op_sel:[0,1,0]
	s_delay_alu instid0(VALU_DEP_3) | instskip(SKIP_4) | instid1(VALU_DEP_2)
	v_pk_fma_f16 v43, v99, v85, v43 op_sel_hi:[1,0,1]
	ds_load_2addr_b32 v[97:98], v102 offset1:32
	v_pk_fma_f16 v41, v99, v85, v41 op_sel:[0,1,0]
	s_waitcnt lgkmcnt(4)
	v_pk_fma_f16 v43, v100, v86, v43 op_sel_hi:[1,0,1]
	v_pk_fma_f16 v41, v100, v86, v41 op_sel:[0,1,0]
	ds_load_2addr_b32 v[99:100], v102 offset0:64 offset1:96
	v_pk_fma_f16 v43, v101, v87, v43 op_sel_hi:[1,0,1]
	v_pk_fma_f16 v41, v101, v87, v41 op_sel:[0,1,0]
	ds_load_b128 v[84:87], v53 offset:352
	s_waitcnt lgkmcnt(4)
	v_pk_fma_f16 v43, v92, v88, v43 op_sel_hi:[1,0,1]
	v_pk_fma_f16 v41, v92, v88, v41 op_sel:[0,1,0]
	s_delay_alu instid0(VALU_DEP_2) | instskip(NEXT) | instid1(VALU_DEP_2)
	v_pk_fma_f16 v43, v93, v89, v43 op_sel_hi:[1,0,1]
	v_pk_fma_f16 v41, v93, v89, v41 op_sel:[0,1,0]
	s_waitcnt lgkmcnt(3)
	s_delay_alu instid0(VALU_DEP_2) | instskip(NEXT) | instid1(VALU_DEP_2)
	v_pk_fma_f16 v43, v95, v90, v43 op_sel_hi:[1,0,1]
	v_pk_fma_f16 v41, v95, v90, v41 op_sel:[0,1,0]
	ds_load_2addr_b32 v[88:89], v102 offset0:128 offset1:160
	ds_load_b128 v[92:95], v53 offset:368
	v_pk_fma_f16 v43, v96, v91, v43 op_sel_hi:[1,0,1]
	v_pk_fma_f16 v41, v96, v91, v41 op_sel:[0,1,0]
	s_waitcnt lgkmcnt(2)
	s_delay_alu instid0(VALU_DEP_2) | instskip(NEXT) | instid1(VALU_DEP_2)
	v_pk_fma_f16 v43, v97, v84, v43 op_sel_hi:[1,0,1]
	v_pk_fma_f16 v41, v97, v84, v41 op_sel:[0,1,0]
	ds_load_2addr_b32 v[96:97], v102 offset0:192 offset1:224
	v_pk_fma_f16 v43, v98, v85, v43 op_sel_hi:[1,0,1]
	v_add_nc_u32_e32 v102, 0x3000, v40
	v_pk_fma_f16 v41, v98, v85, v41 op_sel:[0,1,0]
	s_delay_alu instid0(VALU_DEP_3) | instskip(NEXT) | instid1(VALU_DEP_2)
	v_pk_fma_f16 v43, v99, v86, v43 op_sel_hi:[1,0,1]
	v_pk_fma_f16 v41, v99, v86, v41 op_sel:[0,1,0]
	ds_load_2addr_b32 v[98:99], v102 offset1:32
	v_pk_fma_f16 v43, v100, v87, v43 op_sel_hi:[1,0,1]
	v_pk_fma_f16 v41, v100, v87, v41 op_sel:[0,1,0]
	ds_load_b128 v[84:87], v53 offset:384
	s_waitcnt lgkmcnt(3)
	v_pk_fma_f16 v43, v88, v92, v43 op_sel_hi:[1,0,1]
	ds_load_2addr_b32 v[100:101], v102 offset0:64 offset1:96
	v_pk_fma_f16 v41, v88, v92, v41 op_sel:[0,1,0]
	v_pk_fma_f16 v43, v89, v93, v43 op_sel_hi:[1,0,1]
	s_delay_alu instid0(VALU_DEP_2)
	v_pk_fma_f16 v41, v89, v93, v41 op_sel:[0,1,0]
	ds_load_2addr_b32 v[92:93], v102 offset0:128 offset1:160
	ds_load_b128 v[88:91], v53 offset:400
	s_waitcnt lgkmcnt(5)
	v_pk_fma_f16 v43, v96, v94, v43 op_sel_hi:[1,0,1]
	v_pk_fma_f16 v41, v96, v94, v41 op_sel:[0,1,0]
	s_delay_alu instid0(VALU_DEP_2) | instskip(NEXT) | instid1(VALU_DEP_2)
	v_pk_fma_f16 v43, v97, v95, v43 op_sel_hi:[1,0,1]
	v_pk_fma_f16 v41, v97, v95, v41 op_sel:[0,1,0]
	ds_load_2addr_b32 v[94:95], v102 offset0:192 offset1:224
	s_waitcnt lgkmcnt(4)
	v_pk_fma_f16 v43, v98, v84, v43 op_sel_hi:[1,0,1]
	v_add_nc_u32_e32 v102, 0x3400, v40
	v_pk_fma_f16 v41, v98, v84, v41 op_sel:[0,1,0]
	s_delay_alu instid0(VALU_DEP_3)
	v_pk_fma_f16 v43, v99, v85, v43 op_sel_hi:[1,0,1]
	ds_load_2addr_b32 v[96:97], v102 offset1:32
	v_pk_fma_f16 v41, v99, v85, v41 op_sel:[0,1,0]
	ds_load_2addr_b32 v[98:99], v102 offset0:128 offset1:160
	s_waitcnt lgkmcnt(5)
	v_pk_fma_f16 v43, v100, v86, v43 op_sel_hi:[1,0,1]
	v_pk_fma_f16 v41, v100, v86, v41 op_sel:[0,1,0]
	v_add_nc_u32_e32 v100, 0x3800, v40
	s_delay_alu instid0(VALU_DEP_3) | instskip(NEXT) | instid1(VALU_DEP_3)
	v_pk_fma_f16 v43, v101, v87, v43 op_sel_hi:[1,0,1]
	v_pk_fma_f16 v41, v101, v87, v41 op_sel:[0,1,0]
	ds_load_b128 v[84:87], v53 offset:416
	s_waitcnt lgkmcnt(4)
	v_pk_fma_f16 v43, v92, v88, v43 op_sel_hi:[1,0,1]
	v_pk_fma_f16 v41, v92, v88, v41 op_sel:[0,1,0]
	s_delay_alu instid0(VALU_DEP_2) | instskip(NEXT) | instid1(VALU_DEP_2)
	v_pk_fma_f16 v43, v93, v89, v43 op_sel_hi:[1,0,1]
	v_pk_fma_f16 v41, v93, v89, v41 op_sel:[0,1,0]
	ds_load_2addr_b32 v[92:93], v102 offset0:64 offset1:96
	s_waitcnt lgkmcnt(4)
	v_pk_fma_f16 v43, v94, v90, v43 op_sel_hi:[1,0,1]
	v_pk_fma_f16 v41, v94, v90, v41 op_sel:[0,1,0]
	s_delay_alu instid0(VALU_DEP_2) | instskip(NEXT) | instid1(VALU_DEP_2)
	v_pk_fma_f16 v43, v95, v91, v43 op_sel_hi:[1,0,1]
	v_pk_fma_f16 v41, v95, v91, v41 op_sel:[0,1,0]
	ds_load_b128 v[88:91], v53 offset:432
	s_waitcnt lgkmcnt(2)
	v_pk_fma_f16 v43, v96, v84, v43 op_sel_hi:[1,0,1]
	ds_load_2addr_b32 v[94:95], v102 offset0:192 offset1:224
	v_pk_fma_f16 v41, v96, v84, v41 op_sel:[0,1,0]
	v_pk_fma_f16 v43, v97, v85, v43 op_sel_hi:[1,0,1]
	s_delay_alu instid0(VALU_DEP_2) | instskip(SKIP_4) | instid1(VALU_DEP_2)
	v_pk_fma_f16 v41, v97, v85, v41 op_sel:[0,1,0]
	ds_load_2addr_b32 v[96:97], v100 offset0:64 offset1:96
	s_waitcnt lgkmcnt(3)
	v_pk_fma_f16 v43, v92, v86, v43 op_sel_hi:[1,0,1]
	v_pk_fma_f16 v41, v92, v86, v41 op_sel:[0,1,0]
	v_pk_fma_f16 v43, v93, v87, v43 op_sel_hi:[1,0,1]
	s_delay_alu instid0(VALU_DEP_2)
	v_pk_fma_f16 v41, v93, v87, v41 op_sel:[0,1,0]
	ds_load_2addr_b32 v[92:93], v100 offset1:32
	s_waitcnt lgkmcnt(3)
	v_pk_fma_f16 v43, v98, v88, v43 op_sel_hi:[1,0,1]
	ds_load_b128 v[84:87], v53 offset:448
	v_pk_fma_f16 v41, v98, v88, v41 op_sel:[0,1,0]
	v_add_nc_u32_e32 v98, 0x3c00, v40
	v_pk_fma_f16 v43, v99, v89, v43 op_sel_hi:[1,0,1]
	s_delay_alu instid0(VALU_DEP_3) | instskip(SKIP_1) | instid1(VALU_DEP_2)
	v_pk_fma_f16 v41, v99, v89, v41 op_sel:[0,1,0]
	s_waitcnt lgkmcnt(3)
	v_pk_fma_f16 v43, v94, v90, v43 op_sel_hi:[1,0,1]
	s_delay_alu instid0(VALU_DEP_2) | instskip(NEXT) | instid1(VALU_DEP_2)
	v_pk_fma_f16 v41, v94, v90, v41 op_sel:[0,1,0]
	v_pk_fma_f16 v43, v95, v91, v43 op_sel_hi:[1,0,1]
	s_delay_alu instid0(VALU_DEP_2)
	v_pk_fma_f16 v41, v95, v91, v41 op_sel:[0,1,0]
	ds_load_2addr_b32 v[94:95], v100 offset0:128 offset1:160
	ds_load_b128 v[88:91], v53 offset:464
	s_waitcnt lgkmcnt(2)
	v_pk_fma_f16 v43, v92, v84, v43 op_sel_hi:[1,0,1]
	v_pk_fma_f16 v41, v92, v84, v41 op_sel:[0,1,0]
	s_delay_alu instid0(VALU_DEP_2) | instskip(NEXT) | instid1(VALU_DEP_2)
	v_pk_fma_f16 v43, v93, v85, v43 op_sel_hi:[1,0,1]
	v_pk_fma_f16 v41, v93, v85, v41 op_sel:[0,1,0]
	ds_load_2addr_b32 v[92:93], v100 offset0:192 offset1:224
	v_pk_fma_f16 v43, v96, v86, v43 op_sel_hi:[1,0,1]
	v_pk_fma_f16 v41, v96, v86, v41 op_sel:[0,1,0]
	s_delay_alu instid0(VALU_DEP_2) | instskip(NEXT) | instid1(VALU_DEP_2)
	v_pk_fma_f16 v43, v97, v87, v43 op_sel_hi:[1,0,1]
	v_pk_fma_f16 v41, v97, v87, v41 op_sel:[0,1,0]
	ds_load_2addr_b32 v[96:97], v98 offset1:32
	ds_load_b128 v[84:87], v53 offset:480
	s_waitcnt lgkmcnt(3)
	v_pk_fma_f16 v43, v94, v88, v43 op_sel_hi:[1,0,1]
	v_pk_fma_f16 v41, v94, v88, v41 op_sel:[0,1,0]
	s_delay_alu instid0(VALU_DEP_2) | instskip(NEXT) | instid1(VALU_DEP_2)
	v_pk_fma_f16 v43, v95, v89, v43 op_sel_hi:[1,0,1]
	v_pk_fma_f16 v41, v95, v89, v41 op_sel:[0,1,0]
	ds_load_2addr_b32 v[94:95], v98 offset0:64 offset1:96
	s_waitcnt lgkmcnt(3)
	v_pk_fma_f16 v43, v92, v90, v43 op_sel_hi:[1,0,1]
	v_pk_fma_f16 v41, v92, v90, v41 op_sel:[0,1,0]
	s_delay_alu instid0(VALU_DEP_2) | instskip(NEXT) | instid1(VALU_DEP_2)
	v_pk_fma_f16 v43, v93, v91, v43 op_sel_hi:[1,0,1]
	v_pk_fma_f16 v41, v93, v91, v41 op_sel:[0,1,0]
	ds_load_2addr_b32 v[92:93], v98 offset0:128 offset1:160
	ds_load_b128 v[88:91], v53 offset:496
	s_waitcnt lgkmcnt(3)
	v_pk_fma_f16 v43, v96, v84, v43 op_sel_hi:[1,0,1]
	v_pk_fma_f16 v41, v96, v84, v41 op_sel:[0,1,0]
	s_delay_alu instid0(VALU_DEP_2) | instskip(NEXT) | instid1(VALU_DEP_2)
	v_pk_fma_f16 v43, v97, v85, v43 op_sel_hi:[1,0,1]
	v_pk_fma_f16 v41, v97, v85, v41 op_sel:[0,1,0]
	ds_load_2addr_b32 v[84:85], v98 offset0:192 offset1:224
	s_waitcnt lgkmcnt(0)
	v_pk_fma_f16 v43, v94, v86, v43 op_sel_hi:[1,0,1]
	s_barrier
	v_pk_fma_f16 v41, v94, v86, v41 op_sel:[0,1,0]
	buffer_gl0_inv
	s_load_b32 s21, s[2:3], 0x4
	v_pk_fma_f16 v43, v95, v87, v43 op_sel_hi:[1,0,1]
	v_pk_fma_f16 v41, v95, v87, v41 op_sel:[0,1,0]
	s_delay_alu instid0(VALU_DEP_2) | instskip(NEXT) | instid1(VALU_DEP_2)
	v_pk_fma_f16 v43, v92, v88, v43 op_sel_hi:[1,0,1]
	v_pk_fma_f16 v41, v92, v88, v41 op_sel:[0,1,0]
	s_delay_alu instid0(VALU_DEP_2) | instskip(NEXT) | instid1(VALU_DEP_2)
	;; [unrolled: 3-line block ×3, first 2 shown]
	v_pk_fma_f16 v43, v84, v90, v43 op_sel_hi:[1,0,1]
	v_pk_fma_f16 v41, v84, v90, v41 op_sel:[0,1,0]
	s_waitcnt lgkmcnt(0)
	s_lshl_b32 s21, s21, 7
	s_delay_alu instid0(VALU_DEP_2)
	v_pk_fma_f16 v43, v85, v91, v43 op_sel_hi:[1,0,1]
	s_add_i32 s16, s21, s16
	v_pk_fma_f16 v41, v85, v91, v41 op_sel:[0,1,0]
	s_cmp_lt_i32 s16, s6
	s_cbranch_scc0 .LBB62_28
; %bb.26:                               ;   in Loop: Header=BB62_8 Depth=1
	v_dual_mov_b32 v77, v0 :: v_dual_mov_b32 v76, v1
	v_dual_mov_b32 v74, v49 :: v_dual_mov_b32 v75, v48
	s_branch .LBB62_8
.LBB62_27:
	s_mov_b32 s45, s44
	s_delay_alu instid0(SALU_CYCLE_1)
	v_dual_mov_b32 v0, s44 :: v_dual_mov_b32 v1, s45
	v_mov_b32_e32 v49, 0
	v_mov_b32_e32 v41, 0
.LBB62_28:
	v_lshlrev_b32_e32 v8, 1, v37
	s_cmp_gt_i32 s42, s16
	s_cbranch_scc1 .LBB62_30
; %bb.29:
	v_mbcnt_lo_u32_b32 v2, -1, 0
	v_mov_b32_e32 v5, 32
	s_delay_alu instid0(VALU_DEP_2)
	v_xor_b32_e32 v21, 16, v2
	v_xor_b32_e32 v20, 8, v2
	;; [unrolled: 1-line block ×5, first 2 shown]
	s_cbranch_execz .LBB62_31
	s_branch .LBB62_72
.LBB62_30:
                                        ; implicit-def: $vgpr2
                                        ; implicit-def: $vgpr5
                                        ; implicit-def: $vgpr21
                                        ; implicit-def: $vgpr20
                                        ; implicit-def: $vgpr22
                                        ; implicit-def: $vgpr23
                                        ; implicit-def: $vgpr24
.LBB62_31:
	v_lshl_add_u32 v7, v42, 2, v50
	s_mov_b32 s44, 0
	s_mul_hi_i32 s3, s16, s8
	s_mul_i32 s2, s16, s8
	s_mov_b32 s45, s44
	v_mul_lo_u32 v9, s8, v7
	s_mov_b32 s46, s44
	v_dual_mov_b32 v17, s44 :: v_dual_and_b32 v4, 28, v40
	s_lshl_b64 s[2:3], s[2:3], 2
	s_sub_i32 s20, s42, s16
	s_add_u32 s9, s4, s2
	s_mov_b64 s[10:11], src_private_base
	s_delay_alu instid0(VALU_DEP_2) | instskip(SKIP_3) | instid1(VALU_DEP_3)
	v_ashrrev_i32_e32 v10, 31, v9
	s_addc_u32 s10, s5, s3
	v_dual_mov_b32 v19, s46 :: v_dual_lshlrev_b32 v6, 2, v4
	v_cmp_gt_i32_e64 s2, s20, v7
	v_lshlrev_b64 v[2:3], 2, v[9:10]
	v_mov_b32_e32 v16, 0
	v_mov_b32_e32 v18, s45
	s_lshl_b32 s12, s8, 4
	s_delay_alu instid0(SALU_CYCLE_1) | instskip(NEXT) | instid1(VALU_DEP_4)
	v_dual_mov_b32 v25, 0 :: v_dual_add_nc_u32 v10, s12, v9
	v_add_co_u32 v2, vcc_lo, s9, v2
	v_add_co_ci_u32_e32 v3, vcc_lo, s10, v3, vcc_lo
	v_add_nc_u32_e32 v9, 16, v7
	s_delay_alu instid0(VALU_DEP_3) | instskip(NEXT) | instid1(VALU_DEP_3)
	v_add_co_u32 v2, vcc_lo, v2, v6
	v_add_co_ci_u32_e32 v3, vcc_lo, 0, v3, vcc_lo
	s_clause 0x1
	scratch_store_b32 off, v16, off
	scratch_store_b96 off, v[17:19], off offset:4
	v_cndmask_b32_e64 v2, 0, v2, s2
	v_ashrrev_i32_e32 v11, 31, v10
	v_cndmask_b32_e64 v3, s11, v3, s2
	v_cmp_gt_i32_e64 s3, s20, v9
	v_mad_u32_u24 v23, 0x90, v7, v6
	s_cmp_lg_u64 s[40:41], 0
	v_lshlrev_b64 v[11:12], 2, v[10:11]
	flat_load_b128 v[2:5], v[2:3]
	s_clause 0x1
	scratch_store_b32 off, v16, off
	scratch_store_b96 off, v[17:19], off offset:4
	v_add_nc_u32_e32 v10, s12, v10
	v_dual_mov_b32 v26, 0 :: v_dual_mov_b32 v27, 0
	v_add_co_u32 v11, vcc_lo, s9, v11
	v_add_co_ci_u32_e32 v12, vcc_lo, s10, v12, vcc_lo
	v_mov_b32_e32 v28, 0
	s_delay_alu instid0(VALU_DEP_3) | instskip(NEXT) | instid1(VALU_DEP_3)
	v_add_co_u32 v11, vcc_lo, v11, v6
	v_add_co_ci_u32_e32 v12, vcc_lo, 0, v12, vcc_lo
	s_delay_alu instid0(VALU_DEP_2) | instskip(NEXT) | instid1(VALU_DEP_2)
	v_cndmask_b32_e64 v11, 0, v11, s3
	v_cndmask_b32_e64 v12, s11, v12, s3
	s_waitcnt vmcnt(0) lgkmcnt(0)
	ds_store_b128 v23, v[2:5]
	flat_load_b128 v[2:5], v[11:12]
	v_ashrrev_i32_e32 v11, 31, v10
	s_delay_alu instid0(VALU_DEP_1) | instskip(NEXT) | instid1(VALU_DEP_1)
	v_lshlrev_b64 v[11:12], 2, v[10:11]
	v_add_co_u32 v13, vcc_lo, s9, v11
	s_delay_alu instid0(VALU_DEP_2) | instskip(SKIP_1) | instid1(VALU_DEP_3)
	v_add_co_ci_u32_e32 v12, vcc_lo, s10, v12, vcc_lo
	v_add_nc_u32_e32 v11, 32, v7
	v_add_co_u32 v14, vcc_lo, v13, v6
	s_delay_alu instid0(VALU_DEP_3) | instskip(NEXT) | instid1(VALU_DEP_3)
	v_add_co_ci_u32_e32 v12, vcc_lo, 0, v12, vcc_lo
	v_cmp_gt_i32_e64 s4, s20, v11
	s_clause 0x1
	scratch_store_b32 off, v16, off
	scratch_store_b96 off, v[17:19], off offset:4
	v_cndmask_b32_e64 v13, s11, v12, s4
	v_cndmask_b32_e64 v12, 0, v14, s4
	s_waitcnt vmcnt(0) lgkmcnt(0)
	ds_store_b128 v23, v[2:5] offset:2304
	flat_load_b128 v[2:5], v[12:13]
	v_add_nc_u32_e32 v13, s12, v10
	v_add_nc_u32_e32 v12, 48, v7
	s_clause 0x1
	scratch_store_b32 off, v16, off
	scratch_store_b96 off, v[17:19], off offset:4
	v_ashrrev_i32_e32 v14, 31, v13
	v_cmp_gt_i32_e64 s5, s20, v12
	s_delay_alu instid0(VALU_DEP_2) | instskip(NEXT) | instid1(VALU_DEP_1)
	v_lshlrev_b64 v[14:15], 2, v[13:14]
	v_add_co_u32 v10, vcc_lo, s9, v14
	s_delay_alu instid0(VALU_DEP_2) | instskip(NEXT) | instid1(VALU_DEP_2)
	v_add_co_ci_u32_e32 v14, vcc_lo, s10, v15, vcc_lo
	v_add_co_u32 v10, vcc_lo, v10, v6
	s_delay_alu instid0(VALU_DEP_2) | instskip(NEXT) | instid1(VALU_DEP_1)
	v_add_co_ci_u32_e32 v14, vcc_lo, 0, v14, vcc_lo
	v_cndmask_b32_e64 v15, s11, v14, s5
	s_delay_alu instid0(VALU_DEP_3)
	v_cndmask_b32_e64 v14, 0, v10, s5
	s_waitcnt vmcnt(0) lgkmcnt(0)
	ds_store_b128 v23, v[2:5] offset:4608
	flat_load_b128 v[2:5], v[14:15]
	v_add_nc_u32_e32 v14, s12, v13
	v_add_nc_u32_e32 v13, 64, v7
	s_clause 0x1
	scratch_store_b32 off, v16, off
	scratch_store_b96 off, v[17:19], off offset:4
	v_ashrrev_i32_e32 v15, 31, v14
	v_cmp_gt_i32_e64 s6, s20, v13
	s_delay_alu instid0(VALU_DEP_2) | instskip(NEXT) | instid1(VALU_DEP_1)
	v_lshlrev_b64 v[20:21], 2, v[14:15]
	v_add_co_u32 v10, vcc_lo, s9, v20
	s_delay_alu instid0(VALU_DEP_2) | instskip(NEXT) | instid1(VALU_DEP_2)
	v_add_co_ci_u32_e32 v15, vcc_lo, s10, v21, vcc_lo
	v_add_co_u32 v10, vcc_lo, v10, v6
	s_delay_alu instid0(VALU_DEP_2) | instskip(NEXT) | instid1(VALU_DEP_2)
	v_add_co_ci_u32_e32 v15, vcc_lo, 0, v15, vcc_lo
	v_cndmask_b32_e64 v20, 0, v10, s6
	s_delay_alu instid0(VALU_DEP_2)
	v_cndmask_b32_e64 v21, s11, v15, s6
	s_waitcnt vmcnt(0) lgkmcnt(0)
	ds_store_b128 v23, v[2:5] offset:6912
	flat_load_b128 v[2:5], v[20:21]
	v_add_nc_u32_e32 v20, s12, v14
	s_clause 0x1
	scratch_store_b32 off, v16, off
	scratch_store_b96 off, v[17:19], off offset:4
	v_ashrrev_i32_e32 v21, 31, v20
	s_delay_alu instid0(VALU_DEP_1) | instskip(SKIP_1) | instid1(VALU_DEP_2)
	v_lshlrev_b64 v[14:15], 2, v[20:21]
	v_add_nc_u32_e32 v20, s12, v20
	v_add_co_u32 v10, vcc_lo, s9, v14
	s_delay_alu instid0(VALU_DEP_3) | instskip(SKIP_1) | instid1(VALU_DEP_3)
	v_add_co_ci_u32_e32 v15, vcc_lo, s10, v15, vcc_lo
	v_add_nc_u32_e32 v14, 0x50, v7
	v_add_co_u32 v10, vcc_lo, v10, v6
	s_delay_alu instid0(VALU_DEP_3) | instskip(NEXT) | instid1(VALU_DEP_3)
	v_add_co_ci_u32_e32 v15, vcc_lo, 0, v15, vcc_lo
	v_cmp_gt_i32_e64 s7, s20, v14
	s_delay_alu instid0(VALU_DEP_1) | instskip(NEXT) | instid1(VALU_DEP_4)
	v_cndmask_b32_e64 v22, s11, v15, s7
	v_cndmask_b32_e64 v21, 0, v10, s7
	v_add_nc_u32_e32 v15, 0x60, v7
	s_delay_alu instid0(VALU_DEP_1)
	v_cmp_gt_i32_e64 s8, s20, v15
	s_waitcnt vmcnt(0) lgkmcnt(0)
	ds_store_b128 v23, v[2:5] offset:9216
	flat_load_b128 v[2:5], v[21:22]
	v_ashrrev_i32_e32 v21, 31, v20
	s_clause 0x1
	scratch_store_b32 off, v16, off
	scratch_store_b96 off, v[17:19], off offset:4
	v_lshlrev_b64 v[21:22], 2, v[20:21]
	v_add_nc_u32_e32 v20, s12, v20
	s_cselect_b32 s12, -1, 0
	s_delay_alu instid0(VALU_DEP_2) | instskip(NEXT) | instid1(VALU_DEP_3)
	v_add_co_u32 v10, vcc_lo, s9, v21
	v_add_co_ci_u32_e32 v21, vcc_lo, s10, v22, vcc_lo
	s_delay_alu instid0(VALU_DEP_2) | instskip(NEXT) | instid1(VALU_DEP_2)
	v_add_co_u32 v10, vcc_lo, v10, v6
	v_add_co_ci_u32_e32 v21, vcc_lo, 0, v21, vcc_lo
	s_delay_alu instid0(VALU_DEP_1) | instskip(NEXT) | instid1(VALU_DEP_3)
	v_cndmask_b32_e64 v22, s11, v21, s8
	v_cndmask_b32_e64 v21, 0, v10, s8
	v_add_nc_u32_e32 v10, 0x70, v7
	s_waitcnt vmcnt(0) lgkmcnt(0)
	ds_store_b128 v23, v[2:5] offset:11520
	flat_load_b128 v[2:5], v[21:22]
	v_ashrrev_i32_e32 v21, 31, v20
	s_clause 0x1
	scratch_store_b32 off, v16, off
	scratch_store_b96 off, v[17:19], off offset:4
	v_lshlrev_b64 v[20:21], 2, v[20:21]
	s_delay_alu instid0(VALU_DEP_1) | instskip(NEXT) | instid1(VALU_DEP_2)
	v_add_co_u32 v20, vcc_lo, s9, v20
	v_add_co_ci_u32_e32 v21, vcc_lo, s10, v21, vcc_lo
	v_cmp_gt_i32_e64 s9, s20, v10
	s_delay_alu instid0(VALU_DEP_3) | instskip(NEXT) | instid1(VALU_DEP_3)
	v_add_co_u32 v20, vcc_lo, v20, v6
	v_add_co_ci_u32_e32 v21, vcc_lo, 0, v21, vcc_lo
	v_cmp_gt_i32_e64 s10, s20, v37
	s_delay_alu instid0(VALU_DEP_3) | instskip(NEXT) | instid1(VALU_DEP_3)
	v_cndmask_b32_e64 v20, 0, v20, s9
	v_cndmask_b32_e64 v21, s11, v21, s9
	s_waitcnt vmcnt(0) lgkmcnt(0)
	ds_store_b128 v23, v[2:5] offset:13824
	flat_load_b128 v[17:20], v[20:21]
	v_lshlrev_b32_e32 v2, 8, v42
	v_mad_u64_u32 v[4:5], null, v46, s17, s[16:17]
	v_cndmask_b32_e64 v46, 0, 1, s12
	s_waitcnt vmcnt(0) lgkmcnt(0)
	ds_store_b128 v23, v[17:20] offset:16128
	s_waitcnt lgkmcnt(0)
	s_waitcnt_vscnt null, 0x0
	s_barrier
	buffer_gl0_inv
	ds_load_b128 v[20:23], v47
	ds_load_b128 v[29:32], v2 offset:20480
	ds_load_b128 v[50:53], v2 offset:20608
	ds_load_b128 v[54:57], v47 offset:4608
	ds_load_b128 v[58:61], v47 offset:9216
	ds_load_b128 v[62:65], v47 offset:13824
	v_dual_mov_b32 v17, 0 :: v_dual_mov_b32 v18, 0
	v_mov_b32_e32 v19, 0
	s_waitcnt lgkmcnt(4)
	;;#ASMSTART
	v_dot2_f32_f16 v25, v20, v29, v25
	;;#ASMEND
	;;#ASMSTART
	v_dot2_f32_f16 v25, v21, v30, v25
	;;#ASMEND
	;;#ASMSTART
	v_dot2_f32_f16 v25, v22, v31, v25
	;;#ASMEND
	;;#ASMSTART
	v_dot2_f32_f16 v25, v23, v32, v25
	;;#ASMEND
	s_waitcnt lgkmcnt(3)
	;;#ASMSTART
	v_dot2_f32_f16 v17, v20, v50, v17
	;;#ASMEND
	;;#ASMSTART
	v_dot2_f32_f16 v17, v21, v51, v17
	;;#ASMEND
	;;#ASMSTART
	v_dot2_f32_f16 v17, v22, v52, v17
	;;#ASMEND
	;;#ASMSTART
	v_dot2_f32_f16 v17, v23, v53, v17
	;;#ASMEND
	;; [unrolled: 13-line block ×3, first 2 shown]
	;;#ASMSTART
	v_dot2_f32_f16 v18, v54, v50, v18
	;;#ASMEND
	;;#ASMSTART
	v_dot2_f32_f16 v18, v55, v51, v18
	;;#ASMEND
	;;#ASMSTART
	v_dot2_f32_f16 v18, v56, v52, v18
	;;#ASMEND
	;;#ASMSTART
	v_dot2_f32_f16 v18, v57, v53, v18
	;;#ASMEND
	s_waitcnt lgkmcnt(1)
	;;#ASMSTART
	v_dot2_f32_f16 v27, v58, v29, v27
	;;#ASMEND
	;;#ASMSTART
	v_dot2_f32_f16 v27, v59, v30, v27
	;;#ASMEND
	;; [unrolled: 3-line block ×8, first 2 shown]
	s_waitcnt lgkmcnt(0)
	;;#ASMSTART
	v_dot2_f32_f16 v28, v62, v29, v28
	;;#ASMEND
	;;#ASMSTART
	v_dot2_f32_f16 v28, v63, v30, v28
	;;#ASMEND
	;; [unrolled: 3-line block ×8, first 2 shown]
	ds_load_b128 v[20:23], v47 offset:16
	ds_load_b128 v[29:32], v2 offset:20496
	;; [unrolled: 1-line block ×6, first 2 shown]
	s_waitcnt lgkmcnt(4)
	;;#ASMSTART
	v_dot2_f32_f16 v25, v20, v29, v25
	;;#ASMEND
	;;#ASMSTART
	v_dot2_f32_f16 v25, v21, v30, v25
	;;#ASMEND
	;;#ASMSTART
	v_dot2_f32_f16 v25, v22, v31, v25
	;;#ASMEND
	;;#ASMSTART
	v_dot2_f32_f16 v25, v23, v32, v25
	;;#ASMEND
	s_waitcnt lgkmcnt(3)
	;;#ASMSTART
	v_dot2_f32_f16 v17, v20, v50, v17
	;;#ASMEND
	;;#ASMSTART
	v_dot2_f32_f16 v17, v21, v51, v17
	;;#ASMEND
	;;#ASMSTART
	v_dot2_f32_f16 v17, v22, v52, v17
	;;#ASMEND
	;;#ASMSTART
	v_dot2_f32_f16 v17, v23, v53, v17
	;;#ASMEND
	;; [unrolled: 13-line block ×3, first 2 shown]
	;;#ASMSTART
	v_dot2_f32_f16 v18, v54, v50, v18
	;;#ASMEND
	;;#ASMSTART
	v_dot2_f32_f16 v18, v55, v51, v18
	;;#ASMEND
	;;#ASMSTART
	v_dot2_f32_f16 v18, v56, v52, v18
	;;#ASMEND
	;;#ASMSTART
	v_dot2_f32_f16 v18, v57, v53, v18
	;;#ASMEND
	s_waitcnt lgkmcnt(1)
	;;#ASMSTART
	v_dot2_f32_f16 v27, v58, v29, v27
	;;#ASMEND
	;;#ASMSTART
	v_dot2_f32_f16 v27, v59, v30, v27
	;;#ASMEND
	;; [unrolled: 3-line block ×8, first 2 shown]
	s_waitcnt lgkmcnt(0)
	;;#ASMSTART
	v_dot2_f32_f16 v28, v62, v29, v28
	;;#ASMEND
	;;#ASMSTART
	v_dot2_f32_f16 v28, v63, v30, v28
	;;#ASMEND
	;; [unrolled: 3-line block ×8, first 2 shown]
	ds_load_b128 v[20:23], v47 offset:32
	ds_load_b128 v[29:32], v2 offset:20512
	ds_load_b128 v[50:53], v2 offset:20640
	ds_load_b128 v[54:57], v47 offset:4640
	ds_load_b128 v[58:61], v47 offset:9248
	ds_load_b128 v[62:65], v47 offset:13856
	s_waitcnt lgkmcnt(4)
	;;#ASMSTART
	v_dot2_f32_f16 v25, v20, v29, v25
	;;#ASMEND
	;;#ASMSTART
	v_dot2_f32_f16 v25, v21, v30, v25
	;;#ASMEND
	;;#ASMSTART
	v_dot2_f32_f16 v25, v22, v31, v25
	;;#ASMEND
	;;#ASMSTART
	v_dot2_f32_f16 v25, v23, v32, v25
	;;#ASMEND
	s_waitcnt lgkmcnt(3)
	;;#ASMSTART
	v_dot2_f32_f16 v17, v20, v50, v17
	;;#ASMEND
	;;#ASMSTART
	v_dot2_f32_f16 v17, v21, v51, v17
	;;#ASMEND
	;;#ASMSTART
	v_dot2_f32_f16 v17, v22, v52, v17
	;;#ASMEND
	;;#ASMSTART
	v_dot2_f32_f16 v17, v23, v53, v17
	;;#ASMEND
	;; [unrolled: 13-line block ×3, first 2 shown]
	;;#ASMSTART
	v_dot2_f32_f16 v18, v54, v50, v18
	;;#ASMEND
	;;#ASMSTART
	v_dot2_f32_f16 v18, v55, v51, v18
	;;#ASMEND
	;; [unrolled: 3-line block ×4, first 2 shown]
	s_waitcnt lgkmcnt(1)
	;;#ASMSTART
	v_dot2_f32_f16 v27, v58, v29, v27
	;;#ASMEND
	;;#ASMSTART
	v_dot2_f32_f16 v27, v59, v30, v27
	;;#ASMEND
	;; [unrolled: 3-line block ×8, first 2 shown]
	s_waitcnt lgkmcnt(0)
	;;#ASMSTART
	v_dot2_f32_f16 v28, v62, v29, v28
	;;#ASMEND
	;;#ASMSTART
	v_dot2_f32_f16 v28, v63, v30, v28
	;;#ASMEND
	;;#ASMSTART
	v_dot2_f32_f16 v28, v64, v31, v28
	;;#ASMEND
	;;#ASMSTART
	v_dot2_f32_f16 v28, v65, v32, v28
	;;#ASMEND
	;;#ASMSTART
	v_dot2_f32_f16 v16, v62, v50, v16
	;;#ASMEND
	;;#ASMSTART
	v_dot2_f32_f16 v16, v63, v51, v16
	;;#ASMEND
	;;#ASMSTART
	v_dot2_f32_f16 v16, v64, v52, v16
	;;#ASMEND
	;;#ASMSTART
	v_dot2_f32_f16 v16, v65, v53, v16
	;;#ASMEND
	ds_load_b128 v[20:23], v47 offset:48
	ds_load_b128 v[29:32], v2 offset:20528
	;; [unrolled: 1-line block ×6, first 2 shown]
	s_waitcnt lgkmcnt(4)
	;;#ASMSTART
	v_dot2_f32_f16 v25, v20, v29, v25
	;;#ASMEND
	;;#ASMSTART
	v_dot2_f32_f16 v25, v21, v30, v25
	;;#ASMEND
	;;#ASMSTART
	v_dot2_f32_f16 v25, v22, v31, v25
	;;#ASMEND
	;;#ASMSTART
	v_dot2_f32_f16 v25, v23, v32, v25
	;;#ASMEND
	s_waitcnt lgkmcnt(3)
	;;#ASMSTART
	v_dot2_f32_f16 v17, v20, v50, v17
	;;#ASMEND
	;;#ASMSTART
	v_dot2_f32_f16 v17, v21, v51, v17
	;;#ASMEND
	;;#ASMSTART
	v_dot2_f32_f16 v17, v22, v52, v17
	;;#ASMEND
	;;#ASMSTART
	v_dot2_f32_f16 v17, v23, v53, v17
	;;#ASMEND
	;; [unrolled: 13-line block ×3, first 2 shown]
	;;#ASMSTART
	v_dot2_f32_f16 v18, v54, v50, v18
	;;#ASMEND
	;;#ASMSTART
	v_dot2_f32_f16 v18, v55, v51, v18
	;;#ASMEND
	;; [unrolled: 3-line block ×4, first 2 shown]
	s_waitcnt lgkmcnt(1)
	;;#ASMSTART
	v_dot2_f32_f16 v27, v58, v29, v27
	;;#ASMEND
	;;#ASMSTART
	v_dot2_f32_f16 v27, v59, v30, v27
	;;#ASMEND
	;; [unrolled: 3-line block ×8, first 2 shown]
	s_waitcnt lgkmcnt(0)
	;;#ASMSTART
	v_dot2_f32_f16 v28, v62, v29, v28
	;;#ASMEND
	;;#ASMSTART
	v_dot2_f32_f16 v28, v63, v30, v28
	;;#ASMEND
	;; [unrolled: 3-line block ×8, first 2 shown]
	ds_load_b128 v[20:23], v47 offset:64
	ds_load_b128 v[29:32], v2 offset:20544
	;; [unrolled: 1-line block ×6, first 2 shown]
	s_waitcnt lgkmcnt(4)
	;;#ASMSTART
	v_dot2_f32_f16 v25, v20, v29, v25
	;;#ASMEND
	;;#ASMSTART
	v_dot2_f32_f16 v25, v21, v30, v25
	;;#ASMEND
	;;#ASMSTART
	v_dot2_f32_f16 v25, v22, v31, v25
	;;#ASMEND
	;;#ASMSTART
	v_dot2_f32_f16 v25, v23, v32, v25
	;;#ASMEND
	s_waitcnt lgkmcnt(3)
	;;#ASMSTART
	v_dot2_f32_f16 v17, v20, v50, v17
	;;#ASMEND
	;;#ASMSTART
	v_dot2_f32_f16 v17, v21, v51, v17
	;;#ASMEND
	;;#ASMSTART
	v_dot2_f32_f16 v17, v22, v52, v17
	;;#ASMEND
	;;#ASMSTART
	v_dot2_f32_f16 v17, v23, v53, v17
	;;#ASMEND
	;; [unrolled: 13-line block ×3, first 2 shown]
	;;#ASMSTART
	v_dot2_f32_f16 v18, v54, v50, v18
	;;#ASMEND
	;;#ASMSTART
	v_dot2_f32_f16 v18, v55, v51, v18
	;;#ASMEND
	;; [unrolled: 3-line block ×4, first 2 shown]
	s_waitcnt lgkmcnt(1)
	;;#ASMSTART
	v_dot2_f32_f16 v27, v58, v29, v27
	;;#ASMEND
	;;#ASMSTART
	v_dot2_f32_f16 v27, v59, v30, v27
	;;#ASMEND
	;; [unrolled: 3-line block ×8, first 2 shown]
	s_waitcnt lgkmcnt(0)
	;;#ASMSTART
	v_dot2_f32_f16 v28, v62, v29, v28
	;;#ASMEND
	;;#ASMSTART
	v_dot2_f32_f16 v28, v63, v30, v28
	;;#ASMEND
	;; [unrolled: 3-line block ×8, first 2 shown]
	ds_load_b128 v[20:23], v47 offset:80
	ds_load_b128 v[29:32], v2 offset:20560
	;; [unrolled: 1-line block ×6, first 2 shown]
	s_waitcnt lgkmcnt(4)
	;;#ASMSTART
	v_dot2_f32_f16 v25, v20, v29, v25
	;;#ASMEND
	;;#ASMSTART
	v_dot2_f32_f16 v25, v21, v30, v25
	;;#ASMEND
	;;#ASMSTART
	v_dot2_f32_f16 v25, v22, v31, v25
	;;#ASMEND
	;;#ASMSTART
	v_dot2_f32_f16 v25, v23, v32, v25
	;;#ASMEND
	s_waitcnt lgkmcnt(3)
	;;#ASMSTART
	v_dot2_f32_f16 v17, v20, v50, v17
	;;#ASMEND
	;;#ASMSTART
	v_dot2_f32_f16 v17, v21, v51, v17
	;;#ASMEND
	;;#ASMSTART
	v_dot2_f32_f16 v17, v22, v52, v17
	;;#ASMEND
	;;#ASMSTART
	v_dot2_f32_f16 v17, v23, v53, v17
	;;#ASMEND
	;; [unrolled: 13-line block ×3, first 2 shown]
	;;#ASMSTART
	v_dot2_f32_f16 v18, v54, v50, v18
	;;#ASMEND
	;;#ASMSTART
	v_dot2_f32_f16 v18, v55, v51, v18
	;;#ASMEND
	;; [unrolled: 3-line block ×4, first 2 shown]
	s_waitcnt lgkmcnt(1)
	;;#ASMSTART
	v_dot2_f32_f16 v27, v58, v29, v27
	;;#ASMEND
	;;#ASMSTART
	v_dot2_f32_f16 v27, v59, v30, v27
	;;#ASMEND
	;; [unrolled: 3-line block ×8, first 2 shown]
	s_waitcnt lgkmcnt(0)
	;;#ASMSTART
	v_dot2_f32_f16 v28, v62, v29, v28
	;;#ASMEND
	;;#ASMSTART
	v_dot2_f32_f16 v28, v63, v30, v28
	;;#ASMEND
	;; [unrolled: 3-line block ×8, first 2 shown]
	ds_load_b128 v[20:23], v47 offset:96
	ds_load_b128 v[29:32], v2 offset:20576
	;; [unrolled: 1-line block ×6, first 2 shown]
	s_waitcnt lgkmcnt(4)
	;;#ASMSTART
	v_dot2_f32_f16 v25, v20, v29, v25
	;;#ASMEND
	;;#ASMSTART
	v_dot2_f32_f16 v25, v21, v30, v25
	;;#ASMEND
	;;#ASMSTART
	v_dot2_f32_f16 v25, v22, v31, v25
	;;#ASMEND
	;;#ASMSTART
	v_dot2_f32_f16 v25, v23, v32, v25
	;;#ASMEND
	s_waitcnt lgkmcnt(3)
	;;#ASMSTART
	v_dot2_f32_f16 v17, v20, v50, v17
	;;#ASMEND
	;;#ASMSTART
	v_dot2_f32_f16 v17, v21, v51, v17
	;;#ASMEND
	;;#ASMSTART
	v_dot2_f32_f16 v17, v22, v52, v17
	;;#ASMEND
	;;#ASMSTART
	v_dot2_f32_f16 v17, v23, v53, v17
	;;#ASMEND
	;; [unrolled: 13-line block ×3, first 2 shown]
	;;#ASMSTART
	v_dot2_f32_f16 v18, v54, v50, v18
	;;#ASMEND
	;;#ASMSTART
	v_dot2_f32_f16 v18, v55, v51, v18
	;;#ASMEND
	;; [unrolled: 3-line block ×4, first 2 shown]
	s_waitcnt lgkmcnt(1)
	;;#ASMSTART
	v_dot2_f32_f16 v27, v58, v29, v27
	;;#ASMEND
	;;#ASMSTART
	v_dot2_f32_f16 v27, v59, v30, v27
	;;#ASMEND
	;; [unrolled: 3-line block ×8, first 2 shown]
	s_waitcnt lgkmcnt(0)
	;;#ASMSTART
	v_dot2_f32_f16 v28, v62, v29, v28
	;;#ASMEND
	;;#ASMSTART
	v_dot2_f32_f16 v28, v63, v30, v28
	;;#ASMEND
	;;#ASMSTART
	v_dot2_f32_f16 v28, v64, v31, v28
	;;#ASMEND
	;;#ASMSTART
	v_dot2_f32_f16 v28, v65, v32, v28
	;;#ASMEND
	;;#ASMSTART
	v_dot2_f32_f16 v16, v62, v50, v16
	;;#ASMEND
	;;#ASMSTART
	v_dot2_f32_f16 v16, v63, v51, v16
	;;#ASMEND
	;;#ASMSTART
	v_dot2_f32_f16 v16, v64, v52, v16
	;;#ASMEND
	;;#ASMSTART
	v_dot2_f32_f16 v16, v65, v53, v16
	;;#ASMEND
	ds_load_b128 v[20:23], v47 offset:112
	ds_load_b128 v[29:32], v2 offset:20592
	;; [unrolled: 1-line block ×6, first 2 shown]
	s_waitcnt lgkmcnt(4)
	;;#ASMSTART
	v_dot2_f32_f16 v25, v20, v29, v25
	;;#ASMEND
	;;#ASMSTART
	v_dot2_f32_f16 v25, v21, v30, v25
	;;#ASMEND
	;;#ASMSTART
	v_dot2_f32_f16 v25, v22, v31, v25
	;;#ASMEND
	;;#ASMSTART
	v_dot2_f32_f16 v25, v23, v32, v25
	;;#ASMEND
	s_waitcnt lgkmcnt(3)
	;;#ASMSTART
	v_dot2_f32_f16 v17, v20, v50, v17
	;;#ASMEND
	;;#ASMSTART
	v_dot2_f32_f16 v17, v21, v51, v17
	;;#ASMEND
	;;#ASMSTART
	v_dot2_f32_f16 v17, v22, v52, v17
	;;#ASMEND
	;;#ASMSTART
	v_dot2_f32_f16 v17, v23, v53, v17
	;;#ASMEND
	;; [unrolled: 13-line block ×3, first 2 shown]
	;;#ASMSTART
	v_dot2_f32_f16 v18, v54, v50, v18
	;;#ASMEND
	;;#ASMSTART
	v_dot2_f32_f16 v18, v55, v51, v18
	;;#ASMEND
	;; [unrolled: 3-line block ×4, first 2 shown]
	s_waitcnt lgkmcnt(1)
	;;#ASMSTART
	v_dot2_f32_f16 v27, v58, v29, v27
	;;#ASMEND
	;;#ASMSTART
	v_dot2_f32_f16 v27, v59, v30, v27
	;;#ASMEND
	;; [unrolled: 3-line block ×7, first 2 shown]
	v_mov_b32_e32 v3, v1
	;;#ASMSTART
	v_dot2_f32_f16 v19, v61, v53, v19
	;;#ASMEND
	s_waitcnt lgkmcnt(0)
	;;#ASMSTART
	v_dot2_f32_f16 v28, v62, v29, v28
	;;#ASMEND
	v_mov_b32_e32 v2, v0
	;;#ASMSTART
	v_dot2_f32_f16 v28, v63, v30, v28
	;;#ASMEND
	;;#ASMSTART
	v_dot2_f32_f16 v28, v64, v31, v28
	;;#ASMEND
	;; [unrolled: 3-line block ×7, first 2 shown]
	s_and_saveexec_b32 s11, s10
	s_cbranch_execz .LBB62_36
; %bb.32:
	s_and_not1_b32 vcc_lo, exec_lo, s12
	s_cbranch_vccnz .LBB62_34
; %bb.33:
	v_add_nc_u32_e32 v2, v4, v37
	s_delay_alu instid0(VALU_DEP_1) | instskip(NEXT) | instid1(VALU_DEP_1)
	v_ashrrev_i32_e32 v3, 31, v2
	v_lshlrev_b64 v[2:3], 1, v[2:3]
	s_delay_alu instid0(VALU_DEP_1) | instskip(NEXT) | instid1(VALU_DEP_2)
	v_add_co_u32 v2, vcc_lo, s40, v2
	v_add_co_ci_u32_e32 v3, vcc_lo, s41, v3, vcc_lo
	flat_load_u16 v2, v[2:3]
	s_waitcnt vmcnt(0) lgkmcnt(0)
	v_cvt_f32_f16_e32 v2, v2
	s_delay_alu instid0(VALU_DEP_1)
	v_mul_f32_e32 v2, v44, v2
	s_branch .LBB62_35
.LBB62_34:
	v_mov_b32_e32 v2, 0
.LBB62_35:
	s_delay_alu instid0(VALU_DEP_1) | instskip(NEXT) | instid1(VALU_DEP_1)
	v_dual_add_f32 v25, v25, v2 :: v_dual_max_f32 v2, v0, v0
	v_add_f32_e32 v3, 0x40051340, v25
	s_delay_alu instid0(VALU_DEP_1)
	v_dual_max_f32 v2, v2, v3 :: v_dual_mov_b32 v3, v1
.LBB62_36:
	s_or_b32 exec_lo, exec_lo, s11
	v_add_nc_u32_e32 v29, 32, v37
	s_delay_alu instid0(VALU_DEP_1) | instskip(NEXT) | instid1(VALU_DEP_1)
	v_cmp_gt_i32_e64 s11, s20, v29
	s_and_saveexec_b32 s12, s11
	s_cbranch_execz .LBB62_41
; %bb.37:
	v_cmp_ne_u32_e32 vcc_lo, 1, v46
	s_cbranch_vccnz .LBB62_39
; %bb.38:
	v_ashrrev_i32_e32 v5, 31, v4
	v_add_co_u32 v20, vcc_lo, v4, v37
	s_delay_alu instid0(VALU_DEP_2) | instskip(NEXT) | instid1(VALU_DEP_1)
	v_add_co_ci_u32_e32 v21, vcc_lo, 0, v5, vcc_lo
	v_lshlrev_b64 v[20:21], 1, v[20:21]
	s_delay_alu instid0(VALU_DEP_1) | instskip(NEXT) | instid1(VALU_DEP_2)
	v_add_co_u32 v20, vcc_lo, s40, v20
	v_add_co_ci_u32_e32 v21, vcc_lo, s41, v21, vcc_lo
	flat_load_u16 v5, v[20:21] offset:64
	s_waitcnt vmcnt(0) lgkmcnt(0)
	v_cvt_f32_f16_e32 v5, v5
	s_delay_alu instid0(VALU_DEP_1)
	v_mul_f32_e32 v5, v44, v5
	s_branch .LBB62_40
.LBB62_39:
	v_mov_b32_e32 v5, 0
.LBB62_40:
	s_delay_alu instid0(VALU_DEP_1) | instskip(SKIP_1) | instid1(VALU_DEP_2)
	v_add_f32_e32 v26, v26, v5
	v_max_f32_e32 v2, v2, v2
	v_add_f32_e32 v5, 0x40051340, v26
	s_delay_alu instid0(VALU_DEP_1)
	v_max_f32_e32 v2, v2, v5
.LBB62_41:
	s_or_b32 exec_lo, exec_lo, s12
	v_add_nc_u32_e32 v30, 64, v37
	s_delay_alu instid0(VALU_DEP_1) | instskip(NEXT) | instid1(VALU_DEP_1)
	v_cmp_gt_i32_e64 s12, s20, v30
	s_and_saveexec_b32 s13, s12
	s_cbranch_execz .LBB62_46
; %bb.42:
	v_cmp_ne_u32_e32 vcc_lo, 1, v46
	s_cbranch_vccnz .LBB62_44
; %bb.43:
	v_ashrrev_i32_e32 v5, 31, v4
	v_add_co_u32 v20, vcc_lo, v4, v37
	s_delay_alu instid0(VALU_DEP_2) | instskip(NEXT) | instid1(VALU_DEP_1)
	v_add_co_ci_u32_e32 v21, vcc_lo, 0, v5, vcc_lo
	v_lshlrev_b64 v[20:21], 1, v[20:21]
	s_delay_alu instid0(VALU_DEP_1) | instskip(NEXT) | instid1(VALU_DEP_2)
	v_add_co_u32 v20, vcc_lo, s40, v20
	v_add_co_ci_u32_e32 v21, vcc_lo, s41, v21, vcc_lo
	flat_load_u16 v5, v[20:21] offset:128
	s_waitcnt vmcnt(0) lgkmcnt(0)
	v_cvt_f32_f16_e32 v5, v5
	s_delay_alu instid0(VALU_DEP_1)
	v_mul_f32_e32 v5, v44, v5
	s_branch .LBB62_45
.LBB62_44:
	v_mov_b32_e32 v5, 0
.LBB62_45:
	s_delay_alu instid0(VALU_DEP_1) | instskip(NEXT) | instid1(VALU_DEP_1)
	v_dual_add_f32 v27, v27, v5 :: v_dual_max_f32 v2, v2, v2
	v_add_f32_e32 v5, 0x40051340, v27
	s_delay_alu instid0(VALU_DEP_1)
	v_max_f32_e32 v2, v2, v5
.LBB62_46:
	s_or_b32 exec_lo, exec_lo, s13
	v_add_nc_u32_e32 v31, 0x60, v37
	s_delay_alu instid0(VALU_DEP_1) | instskip(NEXT) | instid1(VALU_DEP_1)
	v_cmp_gt_i32_e64 s13, s20, v31
	s_and_saveexec_b32 s21, s13
	s_cbranch_execz .LBB62_51
; %bb.47:
	v_cmp_ne_u32_e32 vcc_lo, 1, v46
	s_cbranch_vccnz .LBB62_49
; %bb.48:
	v_ashrrev_i32_e32 v5, 31, v4
	v_add_co_u32 v4, vcc_lo, v4, v37
	s_delay_alu instid0(VALU_DEP_2) | instskip(NEXT) | instid1(VALU_DEP_1)
	v_add_co_ci_u32_e32 v5, vcc_lo, 0, v5, vcc_lo
	v_lshlrev_b64 v[4:5], 1, v[4:5]
	s_delay_alu instid0(VALU_DEP_1) | instskip(NEXT) | instid1(VALU_DEP_2)
	v_add_co_u32 v4, vcc_lo, s40, v4
	v_add_co_ci_u32_e32 v5, vcc_lo, s41, v5, vcc_lo
	flat_load_u16 v4, v[4:5] offset:192
	s_waitcnt vmcnt(0) lgkmcnt(0)
	v_cvt_f32_f16_e32 v4, v4
	s_delay_alu instid0(VALU_DEP_1)
	v_mul_f32_e32 v4, v44, v4
	s_branch .LBB62_50
.LBB62_49:
	v_mov_b32_e32 v4, 0
.LBB62_50:
	s_delay_alu instid0(VALU_DEP_1) | instskip(SKIP_1) | instid1(VALU_DEP_2)
	v_add_f32_e32 v28, v28, v4
	v_max_f32_e32 v2, v2, v2
	v_add_f32_e32 v4, 0x40051340, v28
	s_delay_alu instid0(VALU_DEP_1)
	v_max_f32_e32 v2, v2, v4
.LBB62_51:
	s_or_b32 exec_lo, exec_lo, s21
	v_xor_b32_e32 v21, 16, v39
	v_xor_b32_e32 v20, 8, v39
	;; [unrolled: 1-line block ×5, first 2 shown]
	v_cmp_gt_i32_e32 vcc_lo, 32, v21
	v_mul_hi_u32 v52, s36, v45
	v_cndmask_b32_e32 v4, v39, v21, vcc_lo
	v_cmp_gt_i32_e32 vcc_lo, 32, v20
	v_cndmask_b32_e32 v5, v39, v20, vcc_lo
	v_cmp_gt_i32_e32 vcc_lo, 32, v22
	s_delay_alu instid0(VALU_DEP_4) | instskip(NEXT) | instid1(VALU_DEP_3)
	v_lshlrev_b32_e32 v50, 2, v4
	v_lshlrev_b32_e32 v51, 2, v5
	v_cndmask_b32_e32 v5, v39, v22, vcc_lo
	ds_bpermute_b32 v4, v50, v2
	v_max_f32_e32 v2, v2, v2
	v_cmp_gt_i32_e32 vcc_lo, 32, v23
	v_lshlrev_b32_e32 v47, 2, v5
	v_cndmask_b32_e32 v5, v39, v23, vcc_lo
	v_cmp_gt_i32_e32 vcc_lo, 32, v24
	s_delay_alu instid0(VALU_DEP_2) | instskip(SKIP_1) | instid1(VALU_DEP_1)
	v_lshlrev_b32_e32 v33, 2, v5
	v_cndmask_b32_e32 v5, v39, v24, vcc_lo
	v_lshlrev_b32_e32 v32, 2, v5
	s_waitcnt lgkmcnt(0)
	v_max_f32_e32 v4, v4, v4
	s_delay_alu instid0(VALU_DEP_1) | instskip(SKIP_3) | instid1(VALU_DEP_1)
	v_max_f32_e32 v2, v2, v4
	ds_bpermute_b32 v4, v51, v2
	s_waitcnt lgkmcnt(0)
	v_max_f32_e32 v4, v4, v4
	v_max_f32_e32 v2, v2, v4
	ds_bpermute_b32 v4, v47, v2
	s_waitcnt lgkmcnt(0)
	v_max_f32_e32 v4, v4, v4
	s_delay_alu instid0(VALU_DEP_1) | instskip(SKIP_3) | instid1(VALU_DEP_1)
	v_max_f32_e32 v2, v2, v4
	ds_bpermute_b32 v4, v33, v2
	s_waitcnt lgkmcnt(0)
	v_max_f32_e32 v4, v4, v4
	v_max_f32_e32 v2, v2, v4
	v_add_nc_u32_e32 v4, v45, v52
	ds_bpermute_b32 v5, v32, v2
	v_lshrrev_b32_e32 v4, s37, v4
	s_delay_alu instid0(VALU_DEP_1) | instskip(NEXT) | instid1(VALU_DEP_1)
	v_mul_lo_u32 v4, v4, s38
	v_sub_nc_u32_e32 v45, v45, v4
	s_waitcnt lgkmcnt(0)
	v_max_f32_e32 v52, v5, v5
	s_delay_alu instid0(VALU_DEP_2) | instskip(NEXT) | instid1(VALU_DEP_2)
	v_mad_u64_u32 v[4:5], null, v45, s17, s[16:17]
	v_dual_mov_b32 v5, 32 :: v_dual_max_f32 v2, v2, v52
	s_and_saveexec_b32 s17, s10
	s_cbranch_execnz .LBB62_55
; %bb.52:
	s_or_b32 exec_lo, exec_lo, s17
	s_and_saveexec_b32 s10, s11
	s_cbranch_execnz .LBB62_59
.LBB62_53:
	s_or_b32 exec_lo, exec_lo, s10
	s_and_saveexec_b32 s10, s12
	s_cbranch_execnz .LBB62_63
.LBB62_54:
	s_or_b32 exec_lo, exec_lo, s10
	s_and_saveexec_b32 s10, s13
	s_cbranch_execnz .LBB62_67
	s_branch .LBB62_71
.LBB62_55:
	v_cmp_ne_u32_e32 vcc_lo, 1, v46
	s_cbranch_vccnz .LBB62_57
; %bb.56:
	s_delay_alu instid0(VALU_DEP_3) | instskip(NEXT) | instid1(VALU_DEP_1)
	v_add_nc_u32_e32 v52, v4, v37
	v_ashrrev_i32_e32 v53, 31, v52
	s_delay_alu instid0(VALU_DEP_1) | instskip(NEXT) | instid1(VALU_DEP_1)
	v_lshlrev_b64 v[52:53], 1, v[52:53]
	v_add_co_u32 v52, vcc_lo, s40, v52
	s_delay_alu instid0(VALU_DEP_2) | instskip(SKIP_3) | instid1(VALU_DEP_1)
	v_add_co_ci_u32_e32 v53, vcc_lo, s41, v53, vcc_lo
	flat_load_u16 v45, v[52:53]
	s_waitcnt vmcnt(0) lgkmcnt(0)
	v_cvt_f32_f16_e32 v45, v45
	v_mul_f32_e32 v45, v44, v45
	s_branch .LBB62_58
.LBB62_57:
	v_mov_b32_e32 v45, 0
.LBB62_58:
	s_delay_alu instid0(VALU_DEP_1) | instskip(SKIP_1) | instid1(VALU_DEP_2)
	v_add_f32_e32 v17, v17, v45
	v_max_f32_e32 v3, v3, v3
	v_add_f32_e32 v45, 0x40051340, v17
	s_delay_alu instid0(VALU_DEP_1)
	v_max_f32_e32 v3, v3, v45
	s_or_b32 exec_lo, exec_lo, s17
	s_and_saveexec_b32 s10, s11
	s_cbranch_execz .LBB62_53
.LBB62_59:
	v_cmp_ne_u32_e32 vcc_lo, 1, v46
	s_cbranch_vccnz .LBB62_61
; %bb.60:
	v_ashrrev_i32_e32 v45, 31, v4
	v_add_co_u32 v52, vcc_lo, v4, v37
	s_delay_alu instid0(VALU_DEP_2) | instskip(NEXT) | instid1(VALU_DEP_1)
	v_add_co_ci_u32_e32 v53, vcc_lo, 0, v45, vcc_lo
	v_lshlrev_b64 v[52:53], 1, v[52:53]
	s_delay_alu instid0(VALU_DEP_1) | instskip(NEXT) | instid1(VALU_DEP_2)
	v_add_co_u32 v52, vcc_lo, s40, v52
	v_add_co_ci_u32_e32 v53, vcc_lo, s41, v53, vcc_lo
	flat_load_u16 v45, v[52:53] offset:64
	s_waitcnt vmcnt(0) lgkmcnt(0)
	v_cvt_f32_f16_e32 v45, v45
	s_delay_alu instid0(VALU_DEP_1)
	v_mul_f32_e32 v45, v44, v45
	s_branch .LBB62_62
.LBB62_61:
	v_mov_b32_e32 v45, 0
.LBB62_62:
	s_delay_alu instid0(VALU_DEP_1) | instskip(NEXT) | instid1(VALU_DEP_1)
	v_dual_add_f32 v18, v18, v45 :: v_dual_max_f32 v3, v3, v3
	v_add_f32_e32 v45, 0x40051340, v18
	s_delay_alu instid0(VALU_DEP_1)
	v_max_f32_e32 v3, v3, v45
	s_or_b32 exec_lo, exec_lo, s10
	s_and_saveexec_b32 s10, s12
	s_cbranch_execz .LBB62_54
.LBB62_63:
	v_cmp_ne_u32_e32 vcc_lo, 1, v46
	s_cbranch_vccnz .LBB62_65
; %bb.64:
	v_ashrrev_i32_e32 v45, 31, v4
	v_add_co_u32 v52, vcc_lo, v4, v37
	s_delay_alu instid0(VALU_DEP_2) | instskip(NEXT) | instid1(VALU_DEP_1)
	v_add_co_ci_u32_e32 v53, vcc_lo, 0, v45, vcc_lo
	v_lshlrev_b64 v[52:53], 1, v[52:53]
	s_delay_alu instid0(VALU_DEP_1) | instskip(NEXT) | instid1(VALU_DEP_2)
	v_add_co_u32 v52, vcc_lo, s40, v52
	v_add_co_ci_u32_e32 v53, vcc_lo, s41, v53, vcc_lo
	flat_load_u16 v45, v[52:53] offset:128
	s_waitcnt vmcnt(0) lgkmcnt(0)
	v_cvt_f32_f16_e32 v45, v45
	s_delay_alu instid0(VALU_DEP_1)
	v_mul_f32_e32 v45, v44, v45
	s_branch .LBB62_66
.LBB62_65:
	v_mov_b32_e32 v45, 0
.LBB62_66:
	s_delay_alu instid0(VALU_DEP_1) | instskip(SKIP_1) | instid1(VALU_DEP_2)
	v_add_f32_e32 v19, v19, v45
	v_max_f32_e32 v3, v3, v3
	v_add_f32_e32 v45, 0x40051340, v19
	s_delay_alu instid0(VALU_DEP_1)
	v_max_f32_e32 v3, v3, v45
	s_or_b32 exec_lo, exec_lo, s10
	s_and_saveexec_b32 s10, s13
	s_cbranch_execz .LBB62_71
.LBB62_67:
	v_cmp_ne_u32_e32 vcc_lo, 1, v46
	s_cbranch_vccnz .LBB62_69
; %bb.68:
	v_ashrrev_i32_e32 v46, 31, v4
	v_add_co_u32 v45, vcc_lo, v4, v37
	s_delay_alu instid0(VALU_DEP_2) | instskip(NEXT) | instid1(VALU_DEP_1)
	v_add_co_ci_u32_e32 v46, vcc_lo, 0, v46, vcc_lo
	v_lshlrev_b64 v[45:46], 1, v[45:46]
	s_delay_alu instid0(VALU_DEP_1) | instskip(NEXT) | instid1(VALU_DEP_2)
	v_add_co_u32 v45, vcc_lo, s40, v45
	v_add_co_ci_u32_e32 v46, vcc_lo, s41, v46, vcc_lo
	flat_load_u16 v4, v[45:46] offset:192
	s_waitcnt vmcnt(0) lgkmcnt(0)
	v_cvt_f32_f16_e32 v4, v4
	s_delay_alu instid0(VALU_DEP_1)
	v_mul_f32_e32 v4, v44, v4
	s_branch .LBB62_70
.LBB62_69:
	v_mov_b32_e32 v4, 0
.LBB62_70:
	s_delay_alu instid0(VALU_DEP_1) | instskip(NEXT) | instid1(VALU_DEP_1)
	v_dual_add_f32 v16, v16, v4 :: v_dual_max_f32 v3, v3, v3
	v_add_f32_e32 v4, 0x40051340, v16
	s_delay_alu instid0(VALU_DEP_1)
	v_max_f32_e32 v3, v3, v4
.LBB62_71:
	s_or_b32 exec_lo, exec_lo, s10
	ds_bpermute_b32 v4, v50, v3
	v_max_f32_e32 v3, v3, v3
	s_mov_b32 s40, 0
	v_mul_lo_u32 v50, s22, v7
	s_mov_b32 s41, s40
	s_mov_b32 s42, s40
	s_mul_hi_i32 s11, s16, s22
	s_mul_i32 s10, s16, s22
	s_mov_b64 s[16:17], src_private_base
	s_lshl_b64 s[10:11], s[10:11], 2
	v_sub_f32_e32 v27, v27, v2
	s_add_u32 s16, s19, s10
	s_addc_u32 s18, s18, s11
	v_cmp_gt_u32_e64 s10, s20, v29
	v_cmp_gt_u32_e64 s11, s20, v30
	;; [unrolled: 1-line block ×3, first 2 shown]
	s_waitcnt lgkmcnt(0)
	s_barrier
	buffer_gl0_inv
	v_lshl_or_b32 v7, v7, 7, v6
	v_max_f32_e32 v4, v4, v4
	v_lshl_or_b32 v9, v9, 7, v6
	v_lshl_or_b32 v11, v11, 7, v6
	;; [unrolled: 1-line block ×3, first 2 shown]
	s_delay_alu instid0(VALU_DEP_4)
	v_dual_sub_f32 v52, v25, v2 :: v_dual_max_f32 v3, v3, v4
	v_dual_mov_b32 v46, s42 :: v_dual_sub_f32 v53, v26, v2
	v_dual_sub_f32 v28, v28, v2 :: v_dual_mov_b32 v45, s41
	ds_bpermute_b32 v4, v51, v3
	v_ashrrev_i32_e32 v51, 31, v50
	v_sub_f32_e32 v0, v0, v2
	s_waitcnt lgkmcnt(0)
	v_max_f32_e32 v4, v4, v4
	s_delay_alu instid0(VALU_DEP_1)
	v_dual_max_f32 v3, v3, v4 :: v_dual_lshlrev_b32 v4, 9, v42
	v_mov_b32_e32 v42, 0
	v_dual_mov_b32 v44, s40 :: v_dual_mul_f32 v55, 0x3fb8aa3b, v27
	ds_bpermute_b32 v25, v47, v3
	v_mul_f32_e32 v56, 0x3fb8aa3b, v28
	v_mul_f32_e32 v47, 0x3fb8aa3b, v52
	s_clause 0x1
	scratch_store_b32 off, v42, off
	scratch_store_b96 off, v[44:46], off offset:4
	v_fma_f32 v61, 0x3fb8aa3b, v27, -v55
	v_rndne_f32_e32 v62, v55
	v_fma_f32 v57, 0x3fb8aa3b, v52, -v47
	v_rndne_f32_e32 v58, v47
	s_waitcnt lgkmcnt(0)
	v_dual_max_f32 v25, v25, v25 :: v_dual_add_nc_u32 v26, 0x4800, v4
	v_rndne_f32_e32 v64, v56
	v_fma_f32 v63, 0x3fb8aa3b, v28, -v56
	s_delay_alu instid0(VALU_DEP_3) | instskip(NEXT) | instid1(VALU_DEP_4)
	v_max_f32_e32 v3, v3, v25
	v_dual_mul_f32 v54, 0x3fb8aa3b, v53 :: v_dual_add_nc_u32 v65, v26, v40
	s_delay_alu instid0(VALU_DEP_4)
	v_sub_f32_e32 v56, v56, v64
	v_lshl_add_u32 v66, v29, 2, v26
	ds_bpermute_b32 v33, v33, v3
	v_fma_f32 v59, 0x3fb8aa3b, v53, -v54
	v_rndne_f32_e32 v60, v54
	v_sub_f32_e32 v47, v47, v58
	v_lshl_add_u32 v67, v30, 2, v26
	v_lshl_add_u32 v68, v31, 2, v26
	s_delay_alu instid0(VALU_DEP_4) | instskip(SKIP_4) | instid1(VALU_DEP_4)
	v_dual_fmac_f32 v59, 0x32a5705f, v53 :: v_dual_sub_f32 v54, v54, v60
	v_fmac_f32_e32 v57, 0x32a5705f, v52
	v_lshlrev_b64 v[25:26], 2, v[50:51]
	v_cvt_i32_f32_e32 v51, v58
	v_cvt_i32_f32_e32 v58, v60
	v_dual_add_f32 v54, v54, v59 :: v_dual_add_f32 v47, v47, v57
	v_cvt_i32_f32_e32 v60, v62
	v_add_co_u32 v25, vcc_lo, s16, v25
	v_add_co_ci_u32_e32 v26, vcc_lo, s18, v26, vcc_lo
	s_waitcnt lgkmcnt(0)
	v_max_f32_e32 v33, v33, v33
	s_delay_alu instid0(VALU_DEP_3) | instskip(NEXT) | instid1(VALU_DEP_3)
	v_add_co_u32 v57, vcc_lo, v25, v6
	v_add_co_ci_u32_e32 v59, vcc_lo, 0, v26, vcc_lo
	s_delay_alu instid0(VALU_DEP_3)
	v_max_f32_e32 v3, v3, v33
	v_exp_f32_e32 v33, v47
	v_exp_f32_e32 v47, v54
	v_cmp_ngt_f32_e32 vcc_lo, 0xc2ce8ed0, v52
	ds_bpermute_b32 v32, v32, v3
	v_ldexp_f32 v25, v33, v51
	v_ldexp_f32 v26, v47, v58
	s_delay_alu instid0(VALU_DEP_2) | instskip(SKIP_1) | instid1(VALU_DEP_3)
	v_cndmask_b32_e32 v25, 0, v25, vcc_lo
	v_cmp_ngt_f32_e32 vcc_lo, 0xc2ce8ed0, v53
	v_dual_fmac_f32 v61, 0x32a5705f, v27 :: v_dual_cndmask_b32 v26, 0, v26
	v_cmp_ngt_f32_e32 vcc_lo, 0xc2ce8ed0, v27
	s_waitcnt lgkmcnt(0)
	v_max_f32_e32 v32, v32, v32
	s_delay_alu instid0(VALU_DEP_1) | instskip(NEXT) | instid1(VALU_DEP_1)
	v_max_f32_e32 v3, v3, v32
	v_dual_fmac_f32 v63, 0x32a5705f, v28 :: v_dual_sub_f32 v32, v17, v3
	s_delay_alu instid0(VALU_DEP_1) | instskip(NEXT) | instid1(VALU_DEP_2)
	v_dual_sub_f32 v55, v55, v62 :: v_dual_add_f32 v56, v56, v63
	v_cmp_ngt_f32_e64 s13, 0xc2ce8ed0, v32
	s_delay_alu instid0(VALU_DEP_2) | instskip(NEXT) | instid1(VALU_DEP_1)
	v_add_f32_e32 v55, v55, v61
	v_exp_f32_e32 v54, v55
	s_delay_alu instid0(VALU_DEP_3) | instskip(SKIP_4) | instid1(VALU_DEP_2)
	v_exp_f32_e32 v55, v56
	v_cvt_i32_f32_e32 v56, v64
	s_waitcnt_depctr 0xfff
	v_ldexp_f32 v33, v54, v60
	v_ldexp_f32 v47, v55, v56
	v_cndmask_b32_e32 v33, 0, v33, vcc_lo
	v_cmp_ngt_f32_e32 vcc_lo, 0xc2ce8ed0, v28
	s_delay_alu instid0(VALU_DEP_3)
	v_cndmask_b32_e32 v47, 0, v47, vcc_lo
	v_cmp_nlt_f32_e32 vcc_lo, 0x42b17218, v52
	v_cndmask_b32_e32 v25, 0x7f800000, v25, vcc_lo
	v_cmp_nlt_f32_e32 vcc_lo, 0x42b17218, v53
	;; [unrolled: 2-line block ×4, first 2 shown]
	v_sub_f32_e32 v33, v19, v3
	v_cndmask_b32_e32 v28, 0x7f800000, v47, vcc_lo
	v_sub_f32_e32 v47, v16, v3
	v_cndmask_b32_e64 v16, 0, v26, s10
	s_delay_alu instid0(VALU_DEP_4) | instskip(SKIP_1) | instid1(VALU_DEP_4)
	v_mul_f32_e32 v26, 0x3fb8aa3b, v33
	v_cmp_gt_u32_e32 vcc_lo, s20, v37
	v_mul_f32_e32 v29, 0x3fb8aa3b, v47
	s_delay_alu instid0(VALU_DEP_3) | instskip(SKIP_1) | instid1(VALU_DEP_3)
	v_fma_f32 v55, 0x3fb8aa3b, v33, -v26
	v_rndne_f32_e32 v56, v26
	v_fma_f32 v58, 0x3fb8aa3b, v47, -v29
	v_rndne_f32_e32 v60, v29
	s_delay_alu instid0(VALU_DEP_3) | instskip(NEXT) | instid1(VALU_DEP_2)
	v_dual_fmac_f32 v55, 0x32a5705f, v33 :: v_dual_sub_f32 v26, v26, v56
	v_dual_fmac_f32 v58, 0x32a5705f, v47 :: v_dual_sub_f32 v29, v29, v60
	s_delay_alu instid0(VALU_DEP_2) | instskip(SKIP_1) | instid1(VALU_DEP_3)
	v_dual_add_f32 v26, v26, v55 :: v_dual_cndmask_b32 v17, 0, v25
	v_dual_sub_f32 v25, v18, v3 :: v_dual_mul_f32 v18, 0x3fb8aa3b, v32
	v_add_f32_e32 v29, v29, v58
	s_delay_alu instid0(VALU_DEP_3) | instskip(NEXT) | instid1(VALU_DEP_3)
	v_exp_f32_e32 v26, v26
	v_cvt_f16_f32_e32 v31, v17
	s_delay_alu instid0(VALU_DEP_3) | instskip(SKIP_3) | instid1(VALU_DEP_3)
	v_mul_f32_e32 v19, 0x3fb8aa3b, v25
	v_fma_f32 v51, 0x3fb8aa3b, v32, -v18
	v_rndne_f32_e32 v52, v18
	v_exp_f32_e32 v29, v29
	v_fma_f32 v53, 0x3fb8aa3b, v25, -v19
	v_rndne_f32_e32 v54, v19
	v_fmac_f32_e32 v51, 0x32a5705f, v32
	v_sub_f32_e32 v61, v18, v52
	v_cndmask_b32_e64 v18, 0, v27, s11
	v_fmac_f32_e32 v53, 0x32a5705f, v25
	v_sub_f32_e32 v19, v19, v54
	s_delay_alu instid0(VALU_DEP_4) | instskip(SKIP_2) | instid1(VALU_DEP_4)
	v_add_f32_e32 v27, v61, v51
	v_cvt_i32_f32_e32 v51, v54
	v_cvt_f16_f32_e32 v54, v16
	v_add_f32_e32 v30, v19, v53
	v_cndmask_b32_e64 v19, 0, v28, s12
	v_exp_f32_e32 v27, v27
	v_cvt_i32_f32_e32 v53, v60
	s_delay_alu instid0(VALU_DEP_3) | instskip(SKIP_2) | instid1(VALU_DEP_3)
	v_exp_f32_e32 v28, v30
	v_cvt_i32_f32_e32 v30, v52
	v_cvt_i32_f32_e32 v52, v56
	v_ldexp_f32 v29, v29, v53
	s_waitcnt_depctr 0xfff
	v_ldexp_f32 v27, v27, v30
	v_ldexp_f32 v26, v26, v52
	v_cndmask_b32_e64 v30, s17, v59, s2
	v_ldexp_f32 v28, v28, v51
	s_delay_alu instid0(VALU_DEP_4) | instskip(SKIP_1) | instid1(VALU_DEP_1)
	v_cndmask_b32_e64 v27, 0, v27, s13
	v_cmp_ngt_f32_e64 s13, 0xc2ce8ed0, v25
	v_cndmask_b32_e64 v28, 0, v28, s13
	v_cmp_ngt_f32_e64 s13, 0xc2ce8ed0, v33
	s_delay_alu instid0(VALU_DEP_1) | instskip(SKIP_1) | instid1(VALU_DEP_1)
	v_cndmask_b32_e64 v26, 0, v26, s13
	v_cmp_ngt_f32_e64 s13, 0xc2ce8ed0, v47
	v_cndmask_b32_e64 v29, 0, v29, s13
	v_cmp_nlt_f32_e64 s13, 0x42b17218, v32
	v_cvt_f16_f32_e32 v32, v18
	s_delay_alu instid0(VALU_DEP_2) | instskip(SKIP_1) | instid1(VALU_DEP_2)
	v_cndmask_b32_e64 v27, 0x7f800000, v27, s13
	v_cmp_nlt_f32_e64 s13, 0x42b17218, v25
	v_cndmask_b32_e32 v27, 0, v27, vcc_lo
	s_delay_alu instid0(VALU_DEP_2) | instskip(SKIP_1) | instid1(VALU_DEP_3)
	v_cndmask_b32_e64 v25, 0x7f800000, v28, s13
	v_cmp_nlt_f32_e64 s13, 0x42b17218, v33
	v_cvt_f16_f32_e32 v33, v27
	s_delay_alu instid0(VALU_DEP_3) | instskip(NEXT) | instid1(VALU_DEP_3)
	v_cndmask_b32_e64 v28, 0, v25, s10
	v_cndmask_b32_e64 v26, 0x7f800000, v26, s13
	v_cmp_nlt_f32_e64 s13, 0x42b17218, v47
	s_delay_alu instid0(VALU_DEP_4) | instskip(NEXT) | instid1(VALU_DEP_4)
	v_pack_b32_f16 v31, v31, v33
	v_cvt_f16_f32_e32 v47, v28
	s_delay_alu instid0(VALU_DEP_4) | instskip(NEXT) | instid1(VALU_DEP_4)
	v_cndmask_b32_e64 v26, 0, v26, s11
	v_cndmask_b32_e64 v29, 0x7f800000, v29, s13
	s_delay_alu instid0(VALU_DEP_3) | instskip(NEXT) | instid1(VALU_DEP_3)
	v_pack_b32_f16 v33, v54, v47
	v_cvt_f16_f32_e32 v51, v26
	s_delay_alu instid0(VALU_DEP_3) | instskip(SKIP_1) | instid1(VALU_DEP_3)
	v_cndmask_b32_e64 v25, 0, v29, s12
	v_cvt_f16_f32_e32 v29, v19
	v_pack_b32_f16 v32, v32, v51
	s_delay_alu instid0(VALU_DEP_3) | instskip(NEXT) | instid1(VALU_DEP_1)
	v_cvt_f16_f32_e32 v52, v25
	v_pack_b32_f16 v47, v29, v52
	v_cndmask_b32_e64 v29, 0, v57, s2
	ds_store_b32 v65, v31
	ds_store_b32 v66, v33
	;; [unrolled: 1-line block ×4, first 2 shown]
	s_lshl_b32 s2, s22, 4
	s_delay_alu instid0(SALU_CYCLE_1)
	v_add_nc_u32_e32 v50, s2, v50
	flat_load_b128 v[29:32], v[29:30]
	s_clause 0x1
	scratch_store_b32 off, v42, off
	scratch_store_b96 off, v[44:46], off offset:4
	v_sub_f32_e32 v1, v1, v3
	v_ashrrev_i32_e32 v51, 31, v50
	s_delay_alu instid0(VALU_DEP_1) | instskip(SKIP_1) | instid1(VALU_DEP_2)
	v_lshlrev_b64 v[51:52], 2, v[50:51]
	v_add_nc_u32_e32 v50, s2, v50
	v_add_co_u32 v33, vcc_lo, s16, v51
	s_delay_alu instid0(VALU_DEP_3) | instskip(NEXT) | instid1(VALU_DEP_2)
	v_add_co_ci_u32_e32 v47, vcc_lo, s18, v52, vcc_lo
	v_add_co_u32 v33, vcc_lo, v33, v6
	s_delay_alu instid0(VALU_DEP_2) | instskip(NEXT) | instid1(VALU_DEP_2)
	v_add_co_ci_u32_e32 v47, vcc_lo, 0, v47, vcc_lo
	v_cndmask_b32_e64 v51, 0, v33, s3
	s_delay_alu instid0(VALU_DEP_2)
	v_cndmask_b32_e64 v52, s17, v47, s3
	s_waitcnt vmcnt(0) lgkmcnt(0)
	ds_store_b128 v7, v[29:32]
	flat_load_b128 v[29:32], v[51:52]
	v_ashrrev_i32_e32 v51, 31, v50
	s_clause 0x1
	scratch_store_b32 off, v42, off
	scratch_store_b96 off, v[44:46], off offset:4
	v_lshlrev_b64 v[51:52], 2, v[50:51]
	v_add_nc_u32_e32 v50, s2, v50
	s_delay_alu instid0(VALU_DEP_2) | instskip(NEXT) | instid1(VALU_DEP_3)
	v_add_co_u32 v7, vcc_lo, s16, v51
	v_add_co_ci_u32_e32 v33, vcc_lo, s18, v52, vcc_lo
	s_delay_alu instid0(VALU_DEP_2) | instskip(NEXT) | instid1(VALU_DEP_2)
	v_add_co_u32 v7, vcc_lo, v7, v6
	v_add_co_ci_u32_e32 v33, vcc_lo, 0, v33, vcc_lo
	s_delay_alu instid0(VALU_DEP_2) | instskip(NEXT) | instid1(VALU_DEP_2)
	v_cndmask_b32_e64 v51, 0, v7, s4
	v_cndmask_b32_e64 v52, s17, v33, s4
	v_lshl_or_b32 v33, v12, 7, v6
	s_waitcnt vmcnt(0) lgkmcnt(0)
	ds_store_b128 v9, v[29:32]
	flat_load_b128 v[29:32], v[51:52]
	v_ashrrev_i32_e32 v51, 31, v50
	s_clause 0x1
	scratch_store_b32 off, v42, off
	scratch_store_b96 off, v[44:46], off offset:4
	v_lshlrev_b64 v[51:52], 2, v[50:51]
	v_add_nc_u32_e32 v50, s2, v50
	s_delay_alu instid0(VALU_DEP_2) | instskip(NEXT) | instid1(VALU_DEP_3)
	v_add_co_u32 v7, vcc_lo, s16, v51
	v_add_co_ci_u32_e32 v9, vcc_lo, s18, v52, vcc_lo
	s_delay_alu instid0(VALU_DEP_2) | instskip(NEXT) | instid1(VALU_DEP_2)
	v_add_co_u32 v7, vcc_lo, v7, v6
	v_add_co_ci_u32_e32 v9, vcc_lo, 0, v9, vcc_lo
	s_delay_alu instid0(VALU_DEP_2) | instskip(NEXT) | instid1(VALU_DEP_2)
	v_cndmask_b32_e64 v51, 0, v7, s5
	v_cndmask_b32_e64 v52, s17, v9, s5
	s_waitcnt vmcnt(0) lgkmcnt(0)
	ds_store_b128 v11, v[29:32]
	flat_load_b128 v[29:32], v[51:52]
	v_ashrrev_i32_e32 v51, 31, v50
	s_clause 0x1
	scratch_store_b32 off, v42, off
	scratch_store_b96 off, v[44:46], off offset:4
	v_lshlrev_b64 v[51:52], 2, v[50:51]
	s_delay_alu instid0(VALU_DEP_1) | instskip(NEXT) | instid1(VALU_DEP_2)
	v_add_co_u32 v7, vcc_lo, s16, v51
	v_add_co_ci_u32_e32 v9, vcc_lo, s18, v52, vcc_lo
	s_delay_alu instid0(VALU_DEP_2) | instskip(NEXT) | instid1(VALU_DEP_2)
	v_add_co_u32 v7, vcc_lo, v7, v6
	v_add_co_ci_u32_e32 v9, vcc_lo, 0, v9, vcc_lo
	s_delay_alu instid0(VALU_DEP_2) | instskip(NEXT) | instid1(VALU_DEP_2)
	v_cndmask_b32_e64 v11, 0, v7, s6
	v_cndmask_b32_e64 v12, s17, v9, s6
	s_waitcnt vmcnt(0) lgkmcnt(0)
	ds_store_b128 v33, v[29:32]
	flat_load_b128 v[29:32], v[11:12]
	v_add_nc_u32_e32 v11, s2, v50
	v_lshl_or_b32 v33, v13, 7, v6
	s_clause 0x1
	scratch_store_b32 off, v42, off
	scratch_store_b96 off, v[44:46], off offset:4
	v_ashrrev_i32_e32 v12, 31, v11
	s_delay_alu instid0(VALU_DEP_1) | instskip(NEXT) | instid1(VALU_DEP_1)
	v_lshlrev_b64 v[50:51], 2, v[11:12]
	v_add_co_u32 v7, vcc_lo, s16, v50
	s_delay_alu instid0(VALU_DEP_2) | instskip(SKIP_1) | instid1(VALU_DEP_3)
	v_add_co_ci_u32_e32 v9, vcc_lo, s18, v51, vcc_lo
	v_add_nc_u32_e32 v50, s2, v11
	v_add_co_u32 v7, vcc_lo, v7, v6
	s_delay_alu instid0(VALU_DEP_3) | instskip(NEXT) | instid1(VALU_DEP_3)
	v_add_co_ci_u32_e32 v9, vcc_lo, 0, v9, vcc_lo
	v_ashrrev_i32_e32 v51, 31, v50
	s_delay_alu instid0(VALU_DEP_3) | instskip(NEXT) | instid1(VALU_DEP_3)
	v_cndmask_b32_e64 v12, 0, v7, s7
	v_cndmask_b32_e64 v13, s17, v9, s7
	s_waitcnt vmcnt(0) lgkmcnt(0)
	ds_store_b128 v33, v[29:32]
	flat_load_b128 v[29:32], v[12:13]
	v_lshlrev_b64 v[11:12], 2, v[50:51]
	v_lshl_or_b32 v13, v14, 7, v6
	s_clause 0x1
	scratch_store_b32 off, v42, off
	scratch_store_b96 off, v[44:46], off offset:4
	v_add_co_u32 v7, vcc_lo, s16, v11
	v_add_co_ci_u32_e32 v9, vcc_lo, s18, v12, vcc_lo
	s_delay_alu instid0(VALU_DEP_2) | instskip(NEXT) | instid1(VALU_DEP_2)
	v_add_co_u32 v7, vcc_lo, v7, v6
	v_add_co_ci_u32_e32 v9, vcc_lo, 0, v9, vcc_lo
	s_delay_alu instid0(VALU_DEP_2) | instskip(NEXT) | instid1(VALU_DEP_2)
	v_cndmask_b32_e64 v11, 0, v7, s8
	v_cndmask_b32_e64 v12, s17, v9, s8
	s_waitcnt vmcnt(0) lgkmcnt(0)
	ds_store_b128 v13, v[29:32]
	flat_load_b128 v[11:14], v[11:12]
	v_add_nc_u32_e32 v29, s2, v50
	s_clause 0x1
	scratch_store_b32 off, v42, off
	scratch_store_b96 off, v[44:46], off offset:4
	v_ashrrev_i32_e32 v30, 31, v29
	s_delay_alu instid0(VALU_DEP_1) | instskip(NEXT) | instid1(VALU_DEP_1)
	v_lshlrev_b64 v[29:30], 2, v[29:30]
	v_add_co_u32 v7, vcc_lo, s16, v29
	s_delay_alu instid0(VALU_DEP_2) | instskip(NEXT) | instid1(VALU_DEP_2)
	v_add_co_ci_u32_e32 v9, vcc_lo, s18, v30, vcc_lo
	v_add_co_u32 v7, vcc_lo, v7, v6
	s_delay_alu instid0(VALU_DEP_2) | instskip(SKIP_1) | instid1(VALU_DEP_3)
	v_add_co_ci_u32_e32 v9, vcc_lo, 0, v9, vcc_lo
	v_lshl_or_b32 v6, v10, 7, v6
	v_cndmask_b32_e64 v29, 0, v7, s9
	v_mul_f32_e32 v7, 0x3fb8aa3b, v0
	s_delay_alu instid0(VALU_DEP_4) | instskip(SKIP_2) | instid1(VALU_DEP_2)
	v_cndmask_b32_e64 v30, s17, v9, s9
	v_mul_f32_e32 v9, 0x3fb8aa3b, v1
	v_cmp_ngt_f32_e32 vcc_lo, 0xc2ce8ed0, v0
	v_rndne_f32_e32 v31, v9
	s_waitcnt vmcnt(0) lgkmcnt(0)
	ds_store_b128 v15, v[11:14]
	flat_load_b128 v[11:14], v[29:30]
	v_fma_f32 v15, 0x3fb8aa3b, v0, -v7
	v_rndne_f32_e32 v29, v7
	v_fma_f32 v30, 0x3fb8aa3b, v1, -v9
	v_sub_f32_e32 v9, v9, v31
	s_delay_alu instid0(VALU_DEP_4) | instskip(NEXT) | instid1(VALU_DEP_4)
	v_fmac_f32_e32 v15, 0x32a5705f, v0
	v_sub_f32_e32 v7, v7, v29
	s_delay_alu instid0(VALU_DEP_1) | instskip(NEXT) | instid1(VALU_DEP_1)
	v_dual_fmac_f32 v30, 0x32a5705f, v1 :: v_dual_add_f32 v7, v7, v15
	v_add_f32_e32 v9, v9, v30
	v_cvt_i32_f32_e32 v15, v29
	s_delay_alu instid0(VALU_DEP_3) | instskip(NEXT) | instid1(VALU_DEP_2)
	v_exp_f32_e32 v29, v7
	v_exp_f32_e32 v30, v9
	s_waitcnt vmcnt(0) lgkmcnt(0)
	ds_store_b128 v6, v[11:14]
	v_cvt_i32_f32_e32 v13, v31
	v_ldexp_f32 v14, v29, v15
	s_waitcnt lgkmcnt(0)
	s_waitcnt_vscnt null, 0x0
	s_barrier
	buffer_gl0_inv
	ds_load_2addr_b32 v[6:7], v40 offset1:32
	ds_load_b128 v[9:12], v4 offset:18432
	v_ldexp_f32 v13, v30, v13
	v_cndmask_b32_e32 v14, 0, v14, vcc_lo
	v_cmp_ngt_f32_e32 vcc_lo, 0xc2ce8ed0, v1
	ds_load_b128 v[29:32], v4 offset:18448
	ds_load_2addr_b32 v[44:45], v40 offset0:128 offset1:160
	v_cndmask_b32_e32 v15, 0, v13, vcc_lo
	v_cmp_nlt_f32_e32 vcc_lo, 0x42b17218, v0
	v_cndmask_b32_e32 v0, 0x7f800000, v14, vcc_lo
	v_cmp_nlt_f32_e32 vcc_lo, 0x42b17218, v1
	ds_load_2addr_b32 v[13:14], v40 offset0:64 offset1:96
	v_cndmask_b32_e32 v1, 0x7f800000, v15, vcc_lo
	v_cvt_f16_f32_e32 v15, v0
	s_waitcnt lgkmcnt(3)
	v_pk_mul_f16 v33, v6, v9 op_sel_hi:[1,0]
	v_pk_mul_f16 v6, v6, v9 op_sel:[0,1]
	v_cvt_f16_f32_e32 v42, v1
	s_delay_alu instid0(VALU_DEP_3) | instskip(SKIP_1) | instid1(VALU_DEP_3)
	v_pk_fma_f16 v9, v15, v43, v33 op_sel_hi:[0,1,1]
	v_add_nc_u32_e32 v15, 0x400, v40
	v_pk_fma_f16 v6, v41, v42, v6 op_sel_hi:[1,0,1]
	s_delay_alu instid0(VALU_DEP_3)
	v_pk_fma_f16 v9, v7, v10, v9 op_sel_hi:[1,0,1]
	ds_load_2addr_b32 v[46:47], v15 offset1:32
	v_pk_fma_f16 v10, v7, v10, v6 op_sel:[0,1,0]
	ds_load_2addr_b32 v[6:7], v40 offset0:192 offset1:224
	s_waitcnt lgkmcnt(2)
	v_pk_fma_f16 v9, v13, v11, v9 op_sel_hi:[1,0,1]
	v_pk_fma_f16 v10, v13, v11, v10 op_sel:[0,1,0]
	s_delay_alu instid0(VALU_DEP_2) | instskip(NEXT) | instid1(VALU_DEP_2)
	v_pk_fma_f16 v9, v14, v12, v9 op_sel_hi:[1,0,1]
	v_pk_fma_f16 v13, v14, v12, v10 op_sel:[0,1,0]
	s_delay_alu instid0(VALU_DEP_2)
	v_pk_fma_f16 v14, v44, v29, v9 op_sel_hi:[1,0,1]
	ds_load_b128 v[9:12], v4 offset:18464
	v_pk_fma_f16 v29, v44, v29, v13 op_sel:[0,1,0]
	v_pk_fma_f16 v33, v45, v30, v14 op_sel_hi:[1,0,1]
	ds_load_2addr_b32 v[13:14], v15 offset0:64 offset1:96
	v_pk_fma_f16 v29, v45, v30, v29 op_sel:[0,1,0]
	s_waitcnt lgkmcnt(2)
	v_pk_fma_f16 v30, v6, v31, v33 op_sel_hi:[1,0,1]
	s_delay_alu instid0(VALU_DEP_2) | instskip(NEXT) | instid1(VALU_DEP_2)
	v_pk_fma_f16 v6, v6, v31, v29 op_sel:[0,1,0]
	v_pk_fma_f16 v31, v7, v32, v30 op_sel_hi:[1,0,1]
	ds_load_2addr_b32 v[29:30], v15 offset0:128 offset1:160
	ds_load_b128 v[41:44], v4 offset:18480
	v_pk_fma_f16 v6, v7, v32, v6 op_sel:[0,1,0]
	s_waitcnt lgkmcnt(3)
	v_pk_fma_f16 v7, v46, v9, v31 op_sel_hi:[1,0,1]
	s_delay_alu instid0(VALU_DEP_2) | instskip(NEXT) | instid1(VALU_DEP_2)
	v_pk_fma_f16 v6, v46, v9, v6 op_sel:[0,1,0]
	v_pk_fma_f16 v7, v47, v10, v7 op_sel_hi:[1,0,1]
	s_delay_alu instid0(VALU_DEP_2) | instskip(SKIP_1) | instid1(VALU_DEP_2)
	v_pk_fma_f16 v9, v47, v10, v6 op_sel:[0,1,0]
	s_waitcnt lgkmcnt(2)
	v_pk_fma_f16 v10, v13, v11, v7 op_sel_hi:[1,0,1]
	ds_load_2addr_b32 v[6:7], v15 offset0:192 offset1:224
	v_pk_fma_f16 v9, v13, v11, v9 op_sel:[0,1,0]
	v_add_nc_u32_e32 v15, 0x800, v40
	v_pk_fma_f16 v10, v14, v12, v10 op_sel_hi:[1,0,1]
	s_delay_alu instid0(VALU_DEP_3)
	v_pk_fma_f16 v13, v14, v12, v9 op_sel:[0,1,0]
	ds_load_2addr_b32 v[45:46], v15 offset1:32
	s_waitcnt lgkmcnt(2)
	v_pk_fma_f16 v14, v29, v41, v10 op_sel_hi:[1,0,1]
	ds_load_b128 v[9:12], v4 offset:18496
	v_pk_fma_f16 v29, v29, v41, v13 op_sel:[0,1,0]
	v_pk_fma_f16 v31, v30, v42, v14 op_sel_hi:[1,0,1]
	ds_load_2addr_b32 v[13:14], v15 offset0:64 offset1:96
	v_pk_fma_f16 v29, v30, v42, v29 op_sel:[0,1,0]
	s_waitcnt lgkmcnt(3)
	v_pk_fma_f16 v30, v6, v43, v31 op_sel_hi:[1,0,1]
	s_delay_alu instid0(VALU_DEP_2) | instskip(NEXT) | instid1(VALU_DEP_2)
	v_pk_fma_f16 v6, v6, v43, v29 op_sel:[0,1,0]
	v_pk_fma_f16 v33, v7, v44, v30 op_sel_hi:[1,0,1]
	s_delay_alu instid0(VALU_DEP_2)
	v_pk_fma_f16 v6, v7, v44, v6 op_sel:[0,1,0]
	ds_load_2addr_b32 v[41:42], v15 offset0:128 offset1:160
	ds_load_b128 v[29:32], v4 offset:18512
	s_waitcnt lgkmcnt(3)
	v_pk_fma_f16 v7, v45, v9, v33 op_sel_hi:[1,0,1]
	v_pk_fma_f16 v6, v45, v9, v6 op_sel:[0,1,0]
	s_delay_alu instid0(VALU_DEP_2) | instskip(NEXT) | instid1(VALU_DEP_2)
	v_pk_fma_f16 v7, v46, v10, v7 op_sel_hi:[1,0,1]
	v_pk_fma_f16 v9, v46, v10, v6 op_sel:[0,1,0]
	s_waitcnt lgkmcnt(2)
	s_delay_alu instid0(VALU_DEP_2) | instskip(SKIP_4) | instid1(VALU_DEP_3)
	v_pk_fma_f16 v10, v13, v11, v7 op_sel_hi:[1,0,1]
	ds_load_2addr_b32 v[6:7], v15 offset0:192 offset1:224
	v_pk_fma_f16 v9, v13, v11, v9 op_sel:[0,1,0]
	v_add_nc_u32_e32 v15, 0xc00, v40
	v_pk_fma_f16 v10, v14, v12, v10 op_sel_hi:[1,0,1]
	v_pk_fma_f16 v13, v14, v12, v9 op_sel:[0,1,0]
	ds_load_2addr_b32 v[45:46], v15 offset1:32
	s_waitcnt lgkmcnt(2)
	v_pk_fma_f16 v14, v41, v29, v10 op_sel_hi:[1,0,1]
	ds_load_b128 v[9:12], v4 offset:18528
	v_pk_fma_f16 v29, v41, v29, v13 op_sel:[0,1,0]
	v_pk_fma_f16 v33, v42, v30, v14 op_sel_hi:[1,0,1]
	ds_load_2addr_b32 v[13:14], v15 offset0:64 offset1:96
	v_pk_fma_f16 v29, v42, v30, v29 op_sel:[0,1,0]
	s_waitcnt lgkmcnt(3)
	v_pk_fma_f16 v30, v6, v31, v33 op_sel_hi:[1,0,1]
	s_delay_alu instid0(VALU_DEP_2) | instskip(NEXT) | instid1(VALU_DEP_2)
	v_pk_fma_f16 v6, v6, v31, v29 op_sel:[0,1,0]
	v_pk_fma_f16 v31, v7, v32, v30 op_sel_hi:[1,0,1]
	s_delay_alu instid0(VALU_DEP_2)
	v_pk_fma_f16 v6, v7, v32, v6 op_sel:[0,1,0]
	ds_load_2addr_b32 v[29:30], v15 offset0:128 offset1:160
	ds_load_b128 v[41:44], v4 offset:18544
	s_waitcnt lgkmcnt(3)
	v_pk_fma_f16 v7, v45, v9, v31 op_sel_hi:[1,0,1]
	v_pk_fma_f16 v6, v45, v9, v6 op_sel:[0,1,0]
	s_delay_alu instid0(VALU_DEP_2) | instskip(NEXT) | instid1(VALU_DEP_2)
	v_pk_fma_f16 v7, v46, v10, v7 op_sel_hi:[1,0,1]
	v_pk_fma_f16 v9, v46, v10, v6 op_sel:[0,1,0]
	s_waitcnt lgkmcnt(2)
	s_delay_alu instid0(VALU_DEP_2) | instskip(SKIP_4) | instid1(VALU_DEP_3)
	v_pk_fma_f16 v10, v13, v11, v7 op_sel_hi:[1,0,1]
	ds_load_2addr_b32 v[6:7], v15 offset0:192 offset1:224
	v_pk_fma_f16 v9, v13, v11, v9 op_sel:[0,1,0]
	v_add_nc_u32_e32 v15, 0x1000, v40
	v_pk_fma_f16 v10, v14, v12, v10 op_sel_hi:[1,0,1]
	;; [unrolled: 31-line block ×11, first 2 shown]
	v_pk_fma_f16 v13, v14, v12, v9 op_sel:[0,1,0]
	ds_load_2addr_b32 v[43:44], v15 offset1:32
	s_waitcnt lgkmcnt(2)
	v_pk_fma_f16 v14, v41, v29, v10 op_sel_hi:[1,0,1]
	ds_load_b128 v[9:12], v4 offset:18848
	v_pk_fma_f16 v13, v41, v29, v13 op_sel:[0,1,0]
	v_pk_fma_f16 v29, v42, v30, v14 op_sel_hi:[1,0,1]
	s_delay_alu instid0(VALU_DEP_2)
	v_pk_fma_f16 v30, v42, v30, v13 op_sel:[0,1,0]
	ds_load_2addr_b32 v[13:14], v15 offset0:64 offset1:96
	ds_load_2addr_b32 v[41:42], v15 offset0:128 offset1:160
	s_waitcnt lgkmcnt(4)
	v_pk_fma_f16 v29, v6, v31, v29 op_sel_hi:[1,0,1]
	v_pk_fma_f16 v6, v6, v31, v30 op_sel:[0,1,0]
	s_delay_alu instid0(VALU_DEP_2) | instskip(NEXT) | instid1(VALU_DEP_2)
	v_pk_fma_f16 v33, v7, v32, v29 op_sel_hi:[1,0,1]
	v_pk_fma_f16 v6, v7, v32, v6 op_sel:[0,1,0]
	ds_load_b128 v[29:32], v4 offset:18864
	s_waitcnt lgkmcnt(3)
	v_pk_fma_f16 v7, v43, v9, v33 op_sel_hi:[1,0,1]
	v_pk_fma_f16 v6, v43, v9, v6 op_sel:[0,1,0]
	s_delay_alu instid0(VALU_DEP_2) | instskip(NEXT) | instid1(VALU_DEP_2)
	v_pk_fma_f16 v7, v44, v10, v7 op_sel_hi:[1,0,1]
	v_pk_fma_f16 v9, v44, v10, v6 op_sel:[0,1,0]
	s_waitcnt lgkmcnt(2)
	s_delay_alu instid0(VALU_DEP_2) | instskip(SKIP_4) | instid1(VALU_DEP_3)
	v_pk_fma_f16 v10, v13, v11, v7 op_sel_hi:[1,0,1]
	ds_load_2addr_b32 v[6:7], v15 offset0:192 offset1:224
	v_pk_fma_f16 v9, v13, v11, v9 op_sel:[0,1,0]
	v_add_nc_u32_e32 v15, 0x3800, v40
	v_pk_fma_f16 v10, v14, v12, v10 op_sel_hi:[1,0,1]
	v_pk_fma_f16 v33, v14, v12, v9 op_sel:[0,1,0]
	ds_load_2addr_b32 v[13:14], v15 offset1:32
	s_waitcnt lgkmcnt(2)
	v_pk_fma_f16 v43, v41, v29, v10 op_sel_hi:[1,0,1]
	ds_load_b128 v[9:12], v4 offset:18880
	v_pk_fma_f16 v29, v41, v29, v33 op_sel:[0,1,0]
	v_pk_fma_f16 v33, v42, v30, v43 op_sel_hi:[1,0,1]
	s_delay_alu instid0(VALU_DEP_2) | instskip(SKIP_4) | instid1(VALU_DEP_2)
	v_pk_fma_f16 v29, v42, v30, v29 op_sel:[0,1,0]
	ds_load_2addr_b32 v[41:42], v15 offset0:64 offset1:96
	s_waitcnt lgkmcnt(3)
	v_pk_fma_f16 v30, v6, v31, v33 op_sel_hi:[1,0,1]
	v_pk_fma_f16 v6, v6, v31, v29 op_sel:[0,1,0]
	v_pk_fma_f16 v33, v7, v32, v30 op_sel_hi:[1,0,1]
	s_delay_alu instid0(VALU_DEP_2)
	v_pk_fma_f16 v43, v7, v32, v6 op_sel:[0,1,0]
	ds_load_2addr_b32 v[6:7], v15 offset0:128 offset1:160
	ds_load_b128 v[29:32], v4 offset:18896
	s_waitcnt lgkmcnt(3)
	v_pk_fma_f16 v33, v13, v9, v33 op_sel_hi:[1,0,1]
	v_pk_fma_f16 v9, v13, v9, v43 op_sel:[0,1,0]
	s_delay_alu instid0(VALU_DEP_2) | instskip(NEXT) | instid1(VALU_DEP_2)
	v_pk_fma_f16 v13, v14, v10, v33 op_sel_hi:[1,0,1]
	v_pk_fma_f16 v9, v14, v10, v9 op_sel:[0,1,0]
	s_waitcnt lgkmcnt(2)
	s_delay_alu instid0(VALU_DEP_2) | instskip(SKIP_4) | instid1(VALU_DEP_3)
	v_pk_fma_f16 v10, v41, v11, v13 op_sel_hi:[1,0,1]
	ds_load_2addr_b32 v[13:14], v15 offset0:192 offset1:224
	v_pk_fma_f16 v9, v41, v11, v9 op_sel:[0,1,0]
	v_add_nc_u32_e32 v15, 0x3c00, v40
	v_pk_fma_f16 v10, v42, v12, v10 op_sel_hi:[1,0,1]
	v_pk_fma_f16 v33, v42, v12, v9 op_sel:[0,1,0]
	ds_load_2addr_b32 v[40:41], v15 offset1:32
	s_waitcnt lgkmcnt(2)
	v_pk_fma_f16 v42, v6, v29, v10 op_sel_hi:[1,0,1]
	ds_load_b128 v[9:12], v4 offset:18912
	v_pk_fma_f16 v6, v6, v29, v33 op_sel:[0,1,0]
	v_pk_fma_f16 v29, v7, v30, v42 op_sel_hi:[1,0,1]
	s_delay_alu instid0(VALU_DEP_2) | instskip(SKIP_4) | instid1(VALU_DEP_2)
	v_pk_fma_f16 v30, v7, v30, v6 op_sel:[0,1,0]
	ds_load_2addr_b32 v[6:7], v15 offset0:64 offset1:96
	s_waitcnt lgkmcnt(3)
	v_pk_fma_f16 v29, v13, v31, v29 op_sel_hi:[1,0,1]
	v_pk_fma_f16 v13, v13, v31, v30 op_sel:[0,1,0]
	v_pk_fma_f16 v33, v14, v32, v29 op_sel_hi:[1,0,1]
	s_delay_alu instid0(VALU_DEP_2)
	v_pk_fma_f16 v42, v14, v32, v13 op_sel:[0,1,0]
	ds_load_2addr_b32 v[13:14], v15 offset0:128 offset1:160
	ds_load_b128 v[29:32], v4 offset:18928
	s_waitcnt lgkmcnt(3)
	v_pk_fma_f16 v4, v40, v9, v33 op_sel_hi:[1,0,1]
	v_pk_fma_f16 v9, v40, v9, v42 op_sel:[0,1,0]
	s_delay_alu instid0(VALU_DEP_2) | instskip(NEXT) | instid1(VALU_DEP_2)
	v_pk_fma_f16 v4, v41, v10, v4 op_sel_hi:[1,0,1]
	v_pk_fma_f16 v33, v41, v10, v9 op_sel:[0,1,0]
	ds_load_2addr_b32 v[9:10], v15 offset0:192 offset1:224
	v_add_f32_e32 v15, v27, v28
	s_waitcnt lgkmcnt(0)
	v_pk_fma_f16 v4, v6, v11, v4 op_sel_hi:[1,0,1]
	v_pk_fma_f16 v6, v6, v11, v33 op_sel:[0,1,0]
	v_add_f32_e32 v11, v17, v16
	s_barrier
	buffer_gl0_inv
	v_pk_fma_f16 v4, v7, v12, v4 op_sel_hi:[1,0,1]
	v_pk_fma_f16 v6, v7, v12, v6 op_sel:[0,1,0]
	v_add_f32_e32 v7, v18, v11
	v_add_f32_e32 v11, v26, v15
	s_delay_alu instid0(VALU_DEP_4) | instskip(NEXT) | instid1(VALU_DEP_4)
	v_pk_fma_f16 v4, v13, v29, v4 op_sel_hi:[1,0,1]
	v_pk_fma_f16 v6, v13, v29, v6 op_sel:[0,1,0]
	s_delay_alu instid0(VALU_DEP_4) | instskip(NEXT) | instid1(VALU_DEP_4)
	v_add_f32_e32 v7, v19, v7
	v_add_f32_e32 v11, v25, v11
	s_delay_alu instid0(VALU_DEP_4) | instskip(NEXT) | instid1(VALU_DEP_4)
	v_pk_fma_f16 v4, v14, v30, v4 op_sel_hi:[1,0,1]
	v_pk_fma_f16 v6, v14, v30, v6 op_sel:[0,1,0]
	s_delay_alu instid0(VALU_DEP_4) | instskip(NEXT) | instid1(VALU_DEP_4)
	v_fmac_f32_e32 v7, v49, v0
	v_dual_fmac_f32 v11, v48, v1 :: v_dual_mov_b32 v0, v2
	s_delay_alu instid0(VALU_DEP_4) | instskip(NEXT) | instid1(VALU_DEP_4)
	v_pk_fma_f16 v4, v9, v31, v4 op_sel_hi:[1,0,1]
	v_pk_fma_f16 v6, v9, v31, v6 op_sel:[0,1,0]
	s_delay_alu instid0(VALU_DEP_4)
	v_mov_b32_e32 v49, v7
	v_mov_b32_e32 v1, v3
	v_mov_b32_e32 v48, v11
	v_pk_fma_f16 v43, v10, v32, v4 op_sel_hi:[1,0,1]
	v_pk_fma_f16 v41, v10, v32, v6 op_sel:[0,1,0]
	v_mov_b32_e32 v2, v39
.LBB62_72:
	v_cmp_lt_i32_e32 vcc_lo, v21, v5
	s_cmp_eq_u64 s[24:25], 0
	s_cselect_b32 s2, -1, 0
	s_cmp_lg_u32 s14, 0
	v_cndmask_b32_e32 v3, v2, v21, vcc_lo
	v_cmp_lt_i32_e32 vcc_lo, v20, v5
	s_cselect_b32 s3, -1, 0
	s_delay_alu instid0(SALU_CYCLE_1) | instskip(SKIP_2) | instid1(VALU_DEP_2)
	s_or_b32 s2, s3, s2
	v_cndmask_b32_e32 v6, v2, v20, vcc_lo
	v_cmp_lt_i32_e32 vcc_lo, v22, v5
	v_lshlrev_b32_e32 v6, 2, v6
	v_lshlrev_b32_e32 v3, 2, v3
	ds_bpermute_b32 v4, v3, v49
	s_waitcnt lgkmcnt(0)
	v_add_f32_e32 v4, v49, v4
	ds_bpermute_b32 v3, v3, v48
	ds_bpermute_b32 v7, v6, v4
	v_cndmask_b32_e32 v9, v2, v22, vcc_lo
	v_cmp_lt_i32_e32 vcc_lo, v23, v5
	s_waitcnt lgkmcnt(1)
	v_add_f32_e32 v3, v48, v3
	s_waitcnt lgkmcnt(0)
	v_add_f32_e32 v4, v4, v7
	ds_bpermute_b32 v6, v6, v3
	v_lshlrev_b32_e32 v9, 2, v9
	s_waitcnt lgkmcnt(0)
	v_add_f32_e32 v3, v3, v6
	ds_bpermute_b32 v6, v9, v4
	s_waitcnt lgkmcnt(0)
	v_add_f32_e32 v4, v4, v6
	ds_bpermute_b32 v7, v9, v3
	v_cndmask_b32_e32 v9, v2, v23, vcc_lo
	v_cmp_lt_i32_e32 vcc_lo, v24, v5
	v_cndmask_b32_e32 v2, v2, v24, vcc_lo
	s_and_b32 vcc_lo, exec_lo, s2
	s_delay_alu instid0(VALU_DEP_1)
	v_lshlrev_b32_e32 v2, 2, v2
	v_lshlrev_b32_e32 v9, 2, v9
	ds_bpermute_b32 v6, v9, v4
	s_waitcnt lgkmcnt(0)
	v_add_f32_e32 v4, v4, v6
	ds_bpermute_b32 v5, v2, v4
	v_add_f32_e32 v3, v3, v7
	ds_bpermute_b32 v7, v9, v3
	s_waitcnt lgkmcnt(0)
	v_add_f32_e32 v3, v3, v7
	ds_bpermute_b32 v6, v2, v3
	s_waitcnt lgkmcnt(0)
	v_dual_add_f32 v2, v4, v5 :: v_dual_add_f32 v3, v3, v6
	s_cbranch_vccnz .LBB62_75
; %bb.73:
	s_lshl_b64 s[2:3], s[34:35], 2
	v_dual_mov_b32 v4, 0 :: v_dual_max_f32 v5, v0, v0
	s_add_u32 s2, s24, s2
	s_addc_u32 s3, s25, s3
	global_load_b32 v4, v4, s[2:3]
	s_waitcnt vmcnt(0)
	v_max_f32_e32 v7, v4, v4
	s_delay_alu instid0(VALU_DEP_1) | instskip(NEXT) | instid1(VALU_DEP_1)
	v_max_f32_e32 v6, v5, v7
	v_dual_max_f32 v9, v1, v1 :: v_dual_sub_f32 v0, v0, v6
	v_sub_f32_e32 v5, v4, v6
	s_delay_alu instid0(VALU_DEP_2) | instskip(NEXT) | instid1(VALU_DEP_2)
	v_cmp_ngt_f32_e32 vcc_lo, 0xc2ce8ed0, v0
	v_dual_mul_f32 v10, 0x3fb8aa3b, v5 :: v_dual_max_f32 v7, v9, v7
	s_delay_alu instid0(VALU_DEP_1) | instskip(NEXT) | instid1(VALU_DEP_2)
	v_rndne_f32_e32 v16, v10
	v_dual_sub_f32 v9, v4, v7 :: v_dual_mul_f32 v4, 0x3fb8aa3b, v0
	s_delay_alu instid0(VALU_DEP_1) | instskip(NEXT) | instid1(VALU_DEP_2)
	v_mul_f32_e32 v12, 0x3fb8aa3b, v9
	v_rndne_f32_e32 v14, v4
	v_sub_f32_e32 v1, v1, v7
	v_fma_f32 v13, 0x3fb8aa3b, v0, -v4
	v_fma_f32 v15, 0x3fb8aa3b, v5, -v10
	v_rndne_f32_e32 v20, v12
	s_delay_alu instid0(VALU_DEP_4) | instskip(SKIP_2) | instid1(VALU_DEP_4)
	v_dual_sub_f32 v4, v4, v14 :: v_dual_mul_f32 v11, 0x3fb8aa3b, v1
	v_sub_f32_e32 v10, v10, v16
	v_fma_f32 v19, 0x3fb8aa3b, v9, -v12
	v_dual_fmac_f32 v15, 0x32a5705f, v5 :: v_dual_sub_f32 v12, v12, v20
	s_delay_alu instid0(VALU_DEP_4) | instskip(SKIP_2) | instid1(VALU_DEP_3)
	v_rndne_f32_e32 v18, v11
	v_fmac_f32_e32 v13, 0x32a5705f, v0
	v_fma_f32 v17, 0x3fb8aa3b, v1, -v11
	v_dual_add_f32 v10, v10, v15 :: v_dual_sub_f32 v11, v11, v18
	s_delay_alu instid0(VALU_DEP_3) | instskip(SKIP_1) | instid1(VALU_DEP_3)
	v_add_f32_e32 v4, v4, v13
	v_cvt_i32_f32_e32 v13, v14
	v_exp_f32_e32 v10, v10
	v_cvt_i32_f32_e32 v14, v16
	v_cvt_i32_f32_e32 v15, v18
	v_exp_f32_e32 v4, v4
	v_cvt_i32_f32_e32 v16, v20
	s_waitcnt_depctr 0xfff
	v_ldexp_f32 v10, v10, v14
	v_ldexp_f32 v4, v4, v13
	s_delay_alu instid0(VALU_DEP_1) | instskip(NEXT) | instid1(VALU_DEP_1)
	v_dual_fmac_f32 v19, 0x32a5705f, v9 :: v_dual_cndmask_b32 v4, 0, v4
	v_dual_fmac_f32 v17, 0x32a5705f, v1 :: v_dual_add_f32 v12, v12, v19
	v_cmp_ngt_f32_e32 vcc_lo, 0xc2ce8ed0, v5
	s_delay_alu instid0(VALU_DEP_2) | instskip(NEXT) | instid1(VALU_DEP_3)
	v_add_f32_e32 v11, v11, v17
	v_exp_f32_e32 v12, v12
	v_cndmask_b32_e32 v10, 0, v10, vcc_lo
	v_cmp_ngt_f32_e32 vcc_lo, 0xc2ce8ed0, v1
	s_delay_alu instid0(VALU_DEP_3) | instskip(SKIP_3) | instid1(VALU_DEP_1)
	v_exp_f32_e32 v11, v11
	s_waitcnt_depctr 0xfff
	v_ldexp_f32 v12, v12, v16
	v_ldexp_f32 v11, v11, v15
	v_cndmask_b32_e32 v11, 0, v11, vcc_lo
	v_cmp_ngt_f32_e32 vcc_lo, 0xc2ce8ed0, v9
	s_delay_alu instid0(VALU_DEP_4)
	v_cndmask_b32_e32 v12, 0, v12, vcc_lo
	v_cmp_nlt_f32_e32 vcc_lo, 0x42b17218, v0
	v_cndmask_b32_e32 v0, 0x7f800000, v4, vcc_lo
	v_cmp_nlt_f32_e32 vcc_lo, 0x42b17218, v5
	v_cndmask_b32_e32 v4, 0x7f800000, v10, vcc_lo
	v_cmp_nlt_f32_e32 vcc_lo, 0x42b17218, v1
	v_cndmask_b32_e32 v1, 0x7f800000, v11, vcc_lo
	v_cmp_nlt_f32_e32 vcc_lo, 0x42b17218, v9
	v_cndmask_b32_e32 v5, 0x7f800000, v12, vcc_lo
	s_delay_alu instid0(VALU_DEP_1) | instskip(SKIP_2) | instid1(VALU_DEP_2)
	v_dual_fmac_f32 v5, v3, v1 :: v_dual_fmac_f32 v4, v2, v0
	v_cvt_f16_f32_e32 v0, v0
	v_cvt_f16_f32_e32 v2, v1
	v_pk_mul_f16 v43, v43, v0 op_sel_hi:[1,0]
	v_mov_b32_e32 v0, v6
	s_delay_alu instid0(VALU_DEP_3)
	v_pk_mul_f16 v41, v41, v2 op_sel_hi:[1,0]
	v_dual_mov_b32 v2, v4 :: v_dual_mov_b32 v3, v5
	v_mov_b32_e32 v1, v7
	s_mov_b32 s2, exec_lo
	v_cmpx_gt_i32_e64 s38, v38
	s_cbranch_execnz .LBB62_76
.LBB62_74:
	s_nop 0
	s_sendmsg sendmsg(MSG_DEALLOC_VGPRS)
	s_endpgm
.LBB62_75:
	s_delay_alu instid0(VALU_DEP_1)
	v_dual_mov_b32 v4, v2 :: v_dual_mov_b32 v5, v3
	s_mov_b32 s2, exec_lo
	v_cmpx_gt_i32_e64 s38, v38
	s_cbranch_execz .LBB62_74
.LBB62_76:
	s_load_b32 s1, s[0:1], 0xd4
	v_mov_b32_e32 v9, 1.0
	s_waitcnt lgkmcnt(0)
	s_cmp_lg_u32 s1, 1
	s_cselect_b32 s4, -1, 0
	s_cmp_eq_u32 s1, 1
	s_cselect_b32 s2, -1, 0
	s_and_b32 vcc_lo, exec_lo, s4
	s_cbranch_vccnz .LBB62_78
; %bb.77:
	v_div_scale_f32 v6, null, v4, v4, 1.0
	s_delay_alu instid0(VALU_DEP_1) | instskip(SKIP_2) | instid1(VALU_DEP_1)
	v_rcp_f32_e32 v7, v6
	s_waitcnt_depctr 0xfff
	v_fma_f32 v9, -v6, v7, 1.0
	v_fmac_f32_e32 v7, v9, v7
	v_div_scale_f32 v9, vcc_lo, 1.0, v4, 1.0
	s_delay_alu instid0(VALU_DEP_1) | instskip(NEXT) | instid1(VALU_DEP_1)
	v_mul_f32_e32 v10, v9, v7
	v_fma_f32 v11, -v6, v10, v9
	s_delay_alu instid0(VALU_DEP_1) | instskip(NEXT) | instid1(VALU_DEP_1)
	v_fmac_f32_e32 v10, v11, v7
	v_fma_f32 v6, -v6, v10, v9
	s_delay_alu instid0(VALU_DEP_1) | instskip(NEXT) | instid1(VALU_DEP_1)
	v_div_fmas_f32 v6, v6, v7, v10
	v_div_fixup_f32 v9, v6, v4, 1.0
.LBB62_78:
	s_mul_i32 s3, s33, s38
	v_cmp_eq_u32_e32 vcc_lo, 0, v37
	s_add_i32 s3, s3, s15
	s_delay_alu instid0(SALU_CYCLE_1) | instskip(NEXT) | instid1(VALU_DEP_1)
	v_add_nc_u32_e32 v4, s3, v36
	v_mad_u64_u32 v[10:11], null, v4, s39, s[34:35]
	v_mov_b32_e32 v11, 0
	v_lshrrev_b32_e32 v4, 16, v43
	s_delay_alu instid0(VALU_DEP_1) | instskip(NEXT) | instid1(VALU_DEP_4)
	v_cvt_f32_f16_e32 v4, v4
	v_mad_u64_u32 v[6:7], null, s1, v10, s[14:15]
	v_cvt_f32_f16_e32 v7, v43
	s_delay_alu instid0(VALU_DEP_3) | instskip(NEXT) | instid1(VALU_DEP_2)
	v_mul_f32_e32 v13, v9, v4
	v_mul_f32_e32 v12, v9, v7
	s_delay_alu instid0(VALU_DEP_4) | instskip(NEXT) | instid1(VALU_DEP_1)
	v_lshl_add_u32 v10, v6, 6, v8
	v_lshlrev_b64 v[10:11], 2, v[10:11]
	s_delay_alu instid0(VALU_DEP_1) | instskip(NEXT) | instid1(VALU_DEP_1)
	v_add_co_u32 v9, s0, s28, v10
	v_add_co_ci_u32_e64 v10, s0, s29, v11, s0
	s_and_b32 s0, vcc_lo, s4
	global_store_b64 v[9:10], v[12:13], off
	s_and_saveexec_b32 s4, s0
	s_cbranch_execz .LBB62_80
; %bb.79:
	v_ashrrev_i32_e32 v7, 31, v6
	v_dual_mov_b32 v9, v0 :: v_dual_mov_b32 v10, v2
	s_delay_alu instid0(VALU_DEP_2) | instskip(NEXT) | instid1(VALU_DEP_1)
	v_lshlrev_b64 v[6:7], 3, v[6:7]
	v_add_co_u32 v6, vcc_lo, s30, v6
	s_delay_alu instid0(VALU_DEP_2)
	v_add_co_ci_u32_e32 v7, vcc_lo, s31, v7, vcc_lo
	global_store_b64 v[6:7], v[9:10], off
.LBB62_80:
	s_or_b32 exec_lo, exec_lo, s4
	v_cmp_gt_i32_e32 vcc_lo, s38, v35
	s_and_b32 exec_lo, exec_lo, vcc_lo
	s_cbranch_execz .LBB62_74
; %bb.81:
	v_mov_b32_e32 v0, 1.0
	s_and_not1_b32 vcc_lo, exec_lo, s2
	s_cbranch_vccnz .LBB62_83
; %bb.82:
	v_div_scale_f32 v0, null, v5, v5, 1.0
	s_delay_alu instid0(VALU_DEP_1) | instskip(SKIP_2) | instid1(VALU_DEP_1)
	v_rcp_f32_e32 v2, v0
	s_waitcnt_depctr 0xfff
	v_fma_f32 v4, -v0, v2, 1.0
	v_fmac_f32_e32 v2, v4, v2
	v_div_scale_f32 v4, vcc_lo, 1.0, v5, 1.0
	s_delay_alu instid0(VALU_DEP_1) | instskip(NEXT) | instid1(VALU_DEP_1)
	v_mul_f32_e32 v6, v4, v2
	v_fma_f32 v7, -v0, v6, v4
	s_delay_alu instid0(VALU_DEP_1) | instskip(NEXT) | instid1(VALU_DEP_1)
	v_fmac_f32_e32 v6, v7, v2
	v_fma_f32 v0, -v0, v6, v4
	s_delay_alu instid0(VALU_DEP_1) | instskip(NEXT) | instid1(VALU_DEP_1)
	v_div_fmas_f32 v0, v0, v2, v6
	v_div_fixup_f32 v0, v0, v5, 1.0
.LBB62_83:
	v_add_nc_u32_e32 v2, s3, v34
	s_delay_alu instid0(VALU_DEP_1) | instskip(SKIP_2) | instid1(VALU_DEP_2)
	v_mad_u64_u32 v[6:7], null, v2, s39, s[34:35]
	v_lshrrev_b32_e32 v2, 16, v41
	v_cvt_f32_f16_e32 v7, v41
	v_cvt_f32_f16_e32 v2, v2
	s_delay_alu instid0(VALU_DEP_2) | instskip(SKIP_2) | instid1(VALU_DEP_2)
	v_mul_f32_e32 v7, v0, v7
	v_mad_u64_u32 v[4:5], null, s1, v6, s[14:15]
	v_mov_b32_e32 v6, 0
	v_lshl_add_u32 v5, v4, 6, v8
	v_mul_f32_e32 v8, v0, v2
	s_delay_alu instid0(VALU_DEP_2) | instskip(NEXT) | instid1(VALU_DEP_1)
	v_lshlrev_b64 v[5:6], 2, v[5:6]
	v_add_co_u32 v5, vcc_lo, s28, v5
	s_delay_alu instid0(VALU_DEP_2)
	v_add_co_ci_u32_e32 v6, vcc_lo, s29, v6, vcc_lo
	global_store_b64 v[5:6], v[7:8], off
	s_and_b32 exec_lo, exec_lo, s0
	s_cbranch_execz .LBB62_74
; %bb.84:
	v_ashrrev_i32_e32 v5, 31, v4
	v_mov_b32_e32 v2, v1
	s_delay_alu instid0(VALU_DEP_2) | instskip(NEXT) | instid1(VALU_DEP_1)
	v_lshlrev_b64 v[4:5], 3, v[4:5]
	v_add_co_u32 v4, vcc_lo, s30, v4
	s_delay_alu instid0(VALU_DEP_2)
	v_add_co_ci_u32_e32 v5, vcc_lo, s31, v5, vcc_lo
	global_store_b64 v[4:5], v[2:3], off
	s_nop 0
	s_sendmsg sendmsg(MSG_DEALLOC_VGPRS)
	s_endpgm
	.section	.rodata,"a",@progbits
	.p2align	6, 0x0
	.amdhsa_kernel _ZL15flash_attn_tileILi64ELi64ELi8ELi1ELb0EEvPKcS1_S1_S1_S1_PKiPfP15HIP_vector_typeIfLj2EEffffjfiS5_IjLj3EEiiiiiiiiiiiliiliiiiil
		.amdhsa_group_segment_fixed_size 21504
		.amdhsa_private_segment_fixed_size 32
		.amdhsa_kernarg_size 464
		.amdhsa_user_sgpr_count 13
		.amdhsa_user_sgpr_dispatch_ptr 0
		.amdhsa_user_sgpr_queue_ptr 0
		.amdhsa_user_sgpr_kernarg_segment_ptr 1
		.amdhsa_user_sgpr_dispatch_id 0
		.amdhsa_user_sgpr_private_segment_size 0
		.amdhsa_wavefront_size32 1
		.amdhsa_uses_dynamic_stack 0
		.amdhsa_enable_private_segment 1
		.amdhsa_system_sgpr_workgroup_id_x 1
		.amdhsa_system_sgpr_workgroup_id_y 1
		.amdhsa_system_sgpr_workgroup_id_z 1
		.amdhsa_system_sgpr_workgroup_info 0
		.amdhsa_system_vgpr_workitem_id 1
		.amdhsa_next_free_vgpr 135
		.amdhsa_next_free_sgpr 47
		.amdhsa_reserve_vcc 1
		.amdhsa_float_round_mode_32 0
		.amdhsa_float_round_mode_16_64 0
		.amdhsa_float_denorm_mode_32 3
		.amdhsa_float_denorm_mode_16_64 3
		.amdhsa_dx10_clamp 1
		.amdhsa_ieee_mode 1
		.amdhsa_fp16_overflow 0
		.amdhsa_workgroup_processor_mode 1
		.amdhsa_memory_ordered 1
		.amdhsa_forward_progress 0
		.amdhsa_shared_vgpr_count 0
		.amdhsa_exception_fp_ieee_invalid_op 0
		.amdhsa_exception_fp_denorm_src 0
		.amdhsa_exception_fp_ieee_div_zero 0
		.amdhsa_exception_fp_ieee_overflow 0
		.amdhsa_exception_fp_ieee_underflow 0
		.amdhsa_exception_fp_ieee_inexact 0
		.amdhsa_exception_int_div_zero 0
	.end_amdhsa_kernel
	.section	.text._ZL15flash_attn_tileILi64ELi64ELi8ELi1ELb0EEvPKcS1_S1_S1_S1_PKiPfP15HIP_vector_typeIfLj2EEffffjfiS5_IjLj3EEiiiiiiiiiiiliiliiiiil,"axG",@progbits,_ZL15flash_attn_tileILi64ELi64ELi8ELi1ELb0EEvPKcS1_S1_S1_S1_PKiPfP15HIP_vector_typeIfLj2EEffffjfiS5_IjLj3EEiiiiiiiiiiiliiliiiiil,comdat
.Lfunc_end62:
	.size	_ZL15flash_attn_tileILi64ELi64ELi8ELi1ELb0EEvPKcS1_S1_S1_S1_PKiPfP15HIP_vector_typeIfLj2EEffffjfiS5_IjLj3EEiiiiiiiiiiiliiliiiiil, .Lfunc_end62-_ZL15flash_attn_tileILi64ELi64ELi8ELi1ELb0EEvPKcS1_S1_S1_S1_PKiPfP15HIP_vector_typeIfLj2EEffffjfiS5_IjLj3EEiiiiiiiiiiiliiliiiiil
                                        ; -- End function
	.section	.AMDGPU.csdata,"",@progbits
; Kernel info:
; codeLenInByte = 30836
; NumSgprs: 49
; NumVgprs: 135
; ScratchSize: 32
; MemoryBound: 0
; FloatMode: 240
; IeeeMode: 1
; LDSByteSize: 21504 bytes/workgroup (compile time only)
; SGPRBlocks: 6
; VGPRBlocks: 16
; NumSGPRsForWavesPerEU: 49
; NumVGPRsForWavesPerEU: 135
; Occupancy: 6
; WaveLimiterHint : 1
; COMPUTE_PGM_RSRC2:SCRATCH_EN: 1
; COMPUTE_PGM_RSRC2:USER_SGPR: 13
; COMPUTE_PGM_RSRC2:TRAP_HANDLER: 0
; COMPUTE_PGM_RSRC2:TGID_X_EN: 1
; COMPUTE_PGM_RSRC2:TGID_Y_EN: 1
; COMPUTE_PGM_RSRC2:TGID_Z_EN: 1
; COMPUTE_PGM_RSRC2:TIDIG_COMP_CNT: 1
	.section	.text._ZL33flash_attn_stream_k_fixup_uniformILi64ELi8ELi1EEvPfPK15HIP_vector_typeIfLj2EEiiiiiiS1_IjLj3EES5_S5_,"axG",@progbits,_ZL33flash_attn_stream_k_fixup_uniformILi64ELi8ELi1EEvPfPK15HIP_vector_typeIfLj2EEiiiiiiS1_IjLj3EES5_S5_,comdat
	.globl	_ZL33flash_attn_stream_k_fixup_uniformILi64ELi8ELi1EEvPfPK15HIP_vector_typeIfLj2EEiiiiiiS1_IjLj3EES5_S5_ ; -- Begin function _ZL33flash_attn_stream_k_fixup_uniformILi64ELi8ELi1EEvPfPK15HIP_vector_typeIfLj2EEiiiiiiS1_IjLj3EES5_S5_
	.p2align	8
	.type	_ZL33flash_attn_stream_k_fixup_uniformILi64ELi8ELi1EEvPfPK15HIP_vector_typeIfLj2EEiiiiiiS1_IjLj3EES5_S5_,@function
_ZL33flash_attn_stream_k_fixup_uniformILi64ELi8ELi1EEvPfPK15HIP_vector_typeIfLj2EEiiiiiiS1_IjLj3EES5_S5_: ; @_ZL33flash_attn_stream_k_fixup_uniformILi64ELi8ELi1EEvPfPK15HIP_vector_typeIfLj2EEiiiiiiS1_IjLj3EES5_S5_
; %bb.0:
	s_clause 0x1
	s_load_b256 s[4:11], s[0:1], 0x1c
	s_load_b128 s[16:19], s[0:1], 0x3c
	s_waitcnt lgkmcnt(0)
	s_mul_hi_u32 s2, s7, s13
	s_delay_alu instid0(SALU_CYCLE_1) | instskip(NEXT) | instid1(SALU_CYCLE_1)
	s_add_i32 s2, s13, s2
	s_lshr_b32 s2, s2, s8
	s_delay_alu instid0(SALU_CYCLE_1) | instskip(SKIP_2) | instid1(SALU_CYCLE_1)
	s_mul_i32 s3, s2, s9
	s_load_b64 s[8:9], s[0:1], 0x10
	s_sub_i32 s7, s13, s3
	s_mul_hi_u32 s3, s7, s10
	s_delay_alu instid0(SALU_CYCLE_1) | instskip(NEXT) | instid1(SALU_CYCLE_1)
	s_add_i32 s3, s7, s3
	s_lshr_b32 s3, s3, s11
	s_delay_alu instid0(SALU_CYCLE_1) | instskip(NEXT) | instid1(SALU_CYCLE_1)
	s_mul_i32 s10, s3, s16
	s_sub_i32 s10, s7, s10
	s_delay_alu instid0(SALU_CYCLE_1) | instskip(NEXT) | instid1(SALU_CYCLE_1)
	s_mul_hi_u32 s7, s10, s17
	s_add_i32 s7, s10, s7
	s_delay_alu instid0(SALU_CYCLE_1) | instskip(NEXT) | instid1(SALU_CYCLE_1)
	s_lshr_b32 s7, s7, s18
	s_mul_i32 s11, s7, s19
	s_delay_alu instid0(SALU_CYCLE_1) | instskip(NEXT) | instid1(SALU_CYCLE_1)
	s_sub_i32 s10, s10, s11
	s_lshl_b32 s11, s10, 3
	s_delay_alu instid0(SALU_CYCLE_1) | instskip(SKIP_4) | instid1(SALU_CYCLE_1)
	s_add_i32 s11, s11, s14
	s_waitcnt lgkmcnt(0)
	s_cmp_lt_i32 s11, s8
	s_cselect_b32 s11, -1, 0
	s_add_i32 s12, s7, s15
	s_cmp_lt_i32 s12, s5
	s_cselect_b32 s12, -1, 0
	s_delay_alu instid0(SALU_CYCLE_1) | instskip(NEXT) | instid1(SALU_CYCLE_1)
	s_and_b32 s11, s11, s12
	s_and_not1_b32 vcc_lo, exec_lo, s11
	s_cbranch_vccnz .LBB63_6
; %bb.1:
	s_mul_i32 s2, s2, s8
	s_mul_i32 s5, s3, s5
	s_add_i32 s2, s2, s14
	s_delay_alu instid0(SALU_CYCLE_1) | instskip(NEXT) | instid1(SALU_CYCLE_1)
	s_mul_i32 s2, s2, s9
	s_add_i32 s8, s2, s15
	s_load_b128 s[0:3], s[0:1], 0x0
	s_add_i32 s5, s8, s5
	s_mul_i32 s8, s9, s10
	s_add_i32 s5, s5, s7
	s_lshl_b32 s7, s8, 9
	s_lshl_b32 s5, s5, 6
	s_add_i32 s10, s14, s15
	s_add_i32 s7, s7, s5
	s_mul_i32 s5, s13, s6
	v_or_b32_e32 v1, s7, v0
	s_add_i32 s9, s5, s6
	s_delay_alu instid0(VALU_DEP_1) | instskip(NEXT) | instid1(VALU_DEP_1)
	v_ashrrev_i32_e32 v2, 31, v1
	v_lshlrev_b64 v[1:2], 2, v[1:2]
	s_waitcnt lgkmcnt(0)
	s_delay_alu instid0(VALU_DEP_1) | instskip(NEXT) | instid1(VALU_DEP_2)
	v_add_co_u32 v1, vcc_lo, s0, v1
	v_add_co_ci_u32_e32 v2, vcc_lo, s1, v2, vcc_lo
	s_lshl_b32 s0, s9, 3
	s_delay_alu instid0(SALU_CYCLE_1) | instskip(SKIP_2) | instid1(SALU_CYCLE_1)
	s_add_i32 s0, s10, s0
	global_load_b32 v5, v[1:2], off
	s_add_i32 s0, s0, -8
	s_ashr_i32 s1, s0, 31
	s_delay_alu instid0(SALU_CYCLE_1) | instskip(NEXT) | instid1(SALU_CYCLE_1)
	s_lshl_b64 s[0:1], s[0:1], 3
	s_add_u32 s0, s2, s0
	s_addc_u32 s1, s3, s1
	s_add_i32 s7, s9, -2
	s_load_b32 s11, s[0:1], 0x4
	s_cmp_lt_i32 s7, s5
	s_cbranch_scc1 .LBB63_4
; %bb.2:
	s_lshl_b32 s14, s4, 5
	s_load_b32 s12, s[0:1], 0x0
	s_ashr_i32 s15, s14, 31
	s_delay_alu instid0(SALU_CYCLE_1) | instskip(NEXT) | instid1(SALU_CYCLE_1)
	s_lshl_b64 s[0:1], s[14:15], 2
	s_add_u32 s7, s2, s0
	s_addc_u32 s8, s3, s1
	s_add_i32 s13, s13, 1
	s_lshl_b32 s1, s10, 6
	s_mul_i32 s0, s6, s13
	s_delay_alu instid0(SALU_CYCLE_1)
	s_lshl_b32 s6, s0, 9
	s_lshl_b32 s0, s0, 3
	s_add_i32 s1, s1, s6
	s_add_i32 s0, s10, s0
	v_or_b32_e32 v0, s1, v0
	s_lshl_b32 s1, s4, 3
	s_waitcnt lgkmcnt(0)
	v_mov_b32_e32 v6, s11
	s_add_i32 s0, s0, s1
	s_add_i32 s4, s9, -1
	v_dual_mov_b32 v0, s12 :: v_dual_add_nc_u32 v3, 0xfffffc00, v0
	s_add_i32 s0, s0, -16
.LBB63_3:                               ; =>This Inner Loop Header: Depth=1
	s_delay_alu instid0(VALU_DEP_1) | instskip(SKIP_1) | instid1(SALU_CYCLE_1)
	v_ashrrev_i32_e32 v4, 31, v3
	s_ashr_i32 s1, s0, 31
	s_lshl_b64 s[10:11], s[0:1], 3
	s_delay_alu instid0(SALU_CYCLE_1) | instskip(NEXT) | instid1(VALU_DEP_1)
	s_add_u32 s10, s2, s10
	v_lshlrev_b64 v[7:8], 2, v[3:4]
	s_addc_u32 s11, s3, s11
	s_add_i32 s4, s4, -1
	s_add_i32 s0, s0, -8
	s_cmp_le_i32 s4, s5
	s_load_b64 s[10:11], s[10:11], 0x0
	v_add_co_u32 v7, vcc_lo, s7, v7
	v_add_co_ci_u32_e32 v8, vcc_lo, s8, v8, vcc_lo
	global_load_b32 v4, v[7:8], off
	v_max_f32_e32 v7, v0, v0
	s_waitcnt lgkmcnt(0)
	v_max_f32_e64 v8, s10, s10
	s_delay_alu instid0(VALU_DEP_1) | instskip(NEXT) | instid1(VALU_DEP_1)
	v_max_f32_e32 v7, v7, v8
	v_sub_f32_e32 v8, s10, v7
	s_delay_alu instid0(VALU_DEP_1) | instskip(NEXT) | instid1(VALU_DEP_1)
	v_dual_sub_f32 v0, v0, v7 :: v_dual_mul_f32 v9, 0x3fb8aa3b, v8
	v_fma_f32 v10, 0x3fb8aa3b, v8, -v9
	v_rndne_f32_e32 v11, v9
	s_delay_alu instid0(VALU_DEP_3) | instskip(NEXT) | instid1(VALU_DEP_2)
	v_mul_f32_e32 v12, 0x3fb8aa3b, v0
	v_dual_fmac_f32 v10, 0x32a5705f, v8 :: v_dual_sub_f32 v9, v9, v11
	v_cvt_i32_f32_e32 v11, v11
	s_delay_alu instid0(VALU_DEP_3) | instskip(SKIP_1) | instid1(VALU_DEP_4)
	v_fma_f32 v13, 0x3fb8aa3b, v0, -v12
	v_rndne_f32_e32 v14, v12
	v_add_f32_e32 v9, v9, v10
	v_cmp_ngt_f32_e32 vcc_lo, 0xc2ce8ed0, v8
	s_delay_alu instid0(VALU_DEP_3) | instskip(NEXT) | instid1(VALU_DEP_3)
	v_sub_f32_e32 v10, v12, v14
	v_exp_f32_e32 v9, v9
	s_waitcnt_depctr 0xfff
	v_ldexp_f32 v9, v9, v11
	v_cvt_i32_f32_e32 v11, v14
	s_delay_alu instid0(VALU_DEP_2) | instskip(SKIP_1) | instid1(VALU_DEP_2)
	v_cndmask_b32_e32 v9, 0, v9, vcc_lo
	v_cmp_nlt_f32_e32 vcc_lo, 0x42b17218, v8
	v_cndmask_b32_e32 v9, 0x7f800000, v9, vcc_lo
	v_cmp_ngt_f32_e32 vcc_lo, 0xc2ce8ed0, v0
	v_fmac_f32_e32 v13, 0x32a5705f, v0
	s_delay_alu instid0(VALU_DEP_1) | instskip(NEXT) | instid1(VALU_DEP_1)
	v_add_f32_e32 v10, v10, v13
	v_exp_f32_e32 v10, v10
	s_waitcnt_depctr 0xfff
	v_ldexp_f32 v10, v10, v11
	s_delay_alu instid0(VALU_DEP_1)
	v_dual_mov_b32 v11, v6 :: v_dual_cndmask_b32 v10, 0, v10
	v_cmp_le_f32_e32 vcc_lo, 0xc1a00000, v8
	s_waitcnt vmcnt(1)
	v_dual_cndmask_b32 v8, 0, v9 :: v_dual_mov_b32 v9, v5
	v_cmp_nlt_f32_e32 vcc_lo, 0x42b17218, v0
	v_cndmask_b32_e32 v5, 0x7f800000, v10, vcc_lo
	s_delay_alu instid0(VALU_DEP_3) | instskip(SKIP_2) | instid1(VALU_DEP_3)
	v_mul_f32_e32 v10, s11, v8
	v_cmp_le_f32_e32 vcc_lo, 0xc1a00000, v0
	v_mov_b32_e32 v0, v7
	v_mov_b32_e32 v6, v10
	s_waitcnt vmcnt(0)
	v_dual_cndmask_b32 v12, 0, v5 :: v_dual_mul_f32 v5, v4, v8
	s_delay_alu instid0(VALU_DEP_1) | instskip(NEXT) | instid1(VALU_DEP_2)
	v_dual_fmac_f32 v6, v11, v12 :: v_dual_add_nc_u32 v3, 0xfffffe00, v3
	v_fmac_f32_e32 v5, v9, v12
	s_cbranch_scc0 .LBB63_3
	s_branch .LBB63_5
.LBB63_4:
	s_waitcnt lgkmcnt(0)
	v_mov_b32_e32 v6, s11
.LBB63_5:
	s_waitcnt vmcnt(0)
	s_delay_alu instid0(VALU_DEP_1) | instskip(NEXT) | instid1(VALU_DEP_1)
	v_div_scale_f32 v0, null, v6, v6, v5
	v_rcp_f32_e32 v3, v0
	s_waitcnt_depctr 0xfff
	v_fma_f32 v4, -v0, v3, 1.0
	s_delay_alu instid0(VALU_DEP_1) | instskip(SKIP_1) | instid1(VALU_DEP_1)
	v_fmac_f32_e32 v3, v4, v3
	v_div_scale_f32 v4, vcc_lo, v5, v6, v5
	v_mul_f32_e32 v7, v4, v3
	s_delay_alu instid0(VALU_DEP_1) | instskip(NEXT) | instid1(VALU_DEP_1)
	v_fma_f32 v8, -v0, v7, v4
	v_fmac_f32_e32 v7, v8, v3
	s_delay_alu instid0(VALU_DEP_1) | instskip(NEXT) | instid1(VALU_DEP_1)
	v_fma_f32 v0, -v0, v7, v4
	v_div_fmas_f32 v0, v0, v3, v7
	s_delay_alu instid0(VALU_DEP_1)
	v_div_fixup_f32 v0, v0, v6, v5
	global_store_b32 v[1:2], v0, off
.LBB63_6:
	s_nop 0
	s_sendmsg sendmsg(MSG_DEALLOC_VGPRS)
	s_endpgm
	.section	.rodata,"a",@progbits
	.p2align	6, 0x0
	.amdhsa_kernel _ZL33flash_attn_stream_k_fixup_uniformILi64ELi8ELi1EEvPfPK15HIP_vector_typeIfLj2EEiiiiiiS1_IjLj3EES5_S5_
		.amdhsa_group_segment_fixed_size 0
		.amdhsa_private_segment_fixed_size 0
		.amdhsa_kernarg_size 76
		.amdhsa_user_sgpr_count 13
		.amdhsa_user_sgpr_dispatch_ptr 0
		.amdhsa_user_sgpr_queue_ptr 0
		.amdhsa_user_sgpr_kernarg_segment_ptr 1
		.amdhsa_user_sgpr_dispatch_id 0
		.amdhsa_user_sgpr_private_segment_size 0
		.amdhsa_wavefront_size32 1
		.amdhsa_uses_dynamic_stack 0
		.amdhsa_enable_private_segment 0
		.amdhsa_system_sgpr_workgroup_id_x 1
		.amdhsa_system_sgpr_workgroup_id_y 1
		.amdhsa_system_sgpr_workgroup_id_z 1
		.amdhsa_system_sgpr_workgroup_info 0
		.amdhsa_system_vgpr_workitem_id 0
		.amdhsa_next_free_vgpr 15
		.amdhsa_next_free_sgpr 20
		.amdhsa_reserve_vcc 1
		.amdhsa_float_round_mode_32 0
		.amdhsa_float_round_mode_16_64 0
		.amdhsa_float_denorm_mode_32 3
		.amdhsa_float_denorm_mode_16_64 3
		.amdhsa_dx10_clamp 1
		.amdhsa_ieee_mode 1
		.amdhsa_fp16_overflow 0
		.amdhsa_workgroup_processor_mode 1
		.amdhsa_memory_ordered 1
		.amdhsa_forward_progress 0
		.amdhsa_shared_vgpr_count 0
		.amdhsa_exception_fp_ieee_invalid_op 0
		.amdhsa_exception_fp_denorm_src 0
		.amdhsa_exception_fp_ieee_div_zero 0
		.amdhsa_exception_fp_ieee_overflow 0
		.amdhsa_exception_fp_ieee_underflow 0
		.amdhsa_exception_fp_ieee_inexact 0
		.amdhsa_exception_int_div_zero 0
	.end_amdhsa_kernel
	.section	.text._ZL33flash_attn_stream_k_fixup_uniformILi64ELi8ELi1EEvPfPK15HIP_vector_typeIfLj2EEiiiiiiS1_IjLj3EES5_S5_,"axG",@progbits,_ZL33flash_attn_stream_k_fixup_uniformILi64ELi8ELi1EEvPfPK15HIP_vector_typeIfLj2EEiiiiiiS1_IjLj3EES5_S5_,comdat
.Lfunc_end63:
	.size	_ZL33flash_attn_stream_k_fixup_uniformILi64ELi8ELi1EEvPfPK15HIP_vector_typeIfLj2EEiiiiiiS1_IjLj3EES5_S5_, .Lfunc_end63-_ZL33flash_attn_stream_k_fixup_uniformILi64ELi8ELi1EEvPfPK15HIP_vector_typeIfLj2EEiiiiiiS1_IjLj3EES5_S5_
                                        ; -- End function
	.section	.AMDGPU.csdata,"",@progbits
; Kernel info:
; codeLenInByte = 976
; NumSgprs: 22
; NumVgprs: 15
; ScratchSize: 0
; MemoryBound: 0
; FloatMode: 240
; IeeeMode: 1
; LDSByteSize: 0 bytes/workgroup (compile time only)
; SGPRBlocks: 2
; VGPRBlocks: 1
; NumSGPRsForWavesPerEU: 22
; NumVGPRsForWavesPerEU: 15
; Occupancy: 16
; WaveLimiterHint : 0
; COMPUTE_PGM_RSRC2:SCRATCH_EN: 0
; COMPUTE_PGM_RSRC2:USER_SGPR: 13
; COMPUTE_PGM_RSRC2:TRAP_HANDLER: 0
; COMPUTE_PGM_RSRC2:TGID_X_EN: 1
; COMPUTE_PGM_RSRC2:TGID_Y_EN: 1
; COMPUTE_PGM_RSRC2:TGID_Z_EN: 1
; COMPUTE_PGM_RSRC2:TIDIG_COMP_CNT: 0
	.section	.text._ZL33flash_attn_stream_k_fixup_generalILi64ELi8ELi1EEvPfPK15HIP_vector_typeIfLj2EEiiiiS1_IjLj3EES5_S5_S5_,"axG",@progbits,_ZL33flash_attn_stream_k_fixup_generalILi64ELi8ELi1EEvPfPK15HIP_vector_typeIfLj2EEiiiiS1_IjLj3EES5_S5_S5_,comdat
	.globl	_ZL33flash_attn_stream_k_fixup_generalILi64ELi8ELi1EEvPfPK15HIP_vector_typeIfLj2EEiiiiS1_IjLj3EES5_S5_S5_ ; -- Begin function _ZL33flash_attn_stream_k_fixup_generalILi64ELi8ELi1EEvPfPK15HIP_vector_typeIfLj2EEiiiiS1_IjLj3EES5_S5_S5_
	.p2align	8
	.type	_ZL33flash_attn_stream_k_fixup_generalILi64ELi8ELi1EEvPfPK15HIP_vector_typeIfLj2EEiiiiS1_IjLj3EES5_S5_S5_,@function
_ZL33flash_attn_stream_k_fixup_generalILi64ELi8ELi1EEvPfPK15HIP_vector_typeIfLj2EEiiiiS1_IjLj3EES5_S5_S5_: ; @_ZL33flash_attn_stream_k_fixup_generalILi64ELi8ELi1EEvPfPK15HIP_vector_typeIfLj2EEiiiiS1_IjLj3EES5_S5_S5_
; %bb.0:
	s_clause 0x1
	s_load_b128 s[4:7], s[0:1], 0x10
	s_load_b32 s20, s[0:1], 0x50
	s_mov_b32 s2, 0
	s_waitcnt lgkmcnt(0)
	s_mul_hi_i32 s3, s7, s13
	s_mul_i32 s12, s7, s13
	s_cmp_lg_u64 s[2:3], 0
	s_cbranch_scc0 .LBB64_21
; %bb.1:
	v_cvt_f32_ubyte0_e32 v1, 0
	v_cvt_f32_u32_e32 v2, s20
	s_sub_u32 s10, 0, s20
	s_subb_u32 s11, 0, 0
	s_delay_alu instid0(VALU_DEP_1) | instskip(NEXT) | instid1(VALU_DEP_1)
	v_fmamk_f32 v1, v1, 0x4f800000, v2
	v_rcp_f32_e32 v1, v1
	s_waitcnt_depctr 0xfff
	v_mul_f32_e32 v1, 0x5f7ffffc, v1
	s_delay_alu instid0(VALU_DEP_1) | instskip(NEXT) | instid1(VALU_DEP_1)
	v_mul_f32_e32 v2, 0x2f800000, v1
	v_trunc_f32_e32 v2, v2
	s_delay_alu instid0(VALU_DEP_1) | instskip(SKIP_1) | instid1(VALU_DEP_2)
	v_fmamk_f32 v1, v2, 0xcf800000, v1
	v_cvt_u32_f32_e32 v2, v2
	v_cvt_u32_f32_e32 v1, v1
	s_delay_alu instid0(VALU_DEP_2) | instskip(NEXT) | instid1(VALU_DEP_2)
	v_readfirstlane_b32 s8, v2
	v_readfirstlane_b32 s9, v1
	s_delay_alu instid0(VALU_DEP_2) | instskip(NEXT) | instid1(VALU_DEP_1)
	s_mul_i32 s16, s10, s8
	s_mul_hi_u32 s18, s10, s9
	s_mul_i32 s17, s11, s9
	s_add_i32 s16, s18, s16
	s_mul_i32 s19, s10, s9
	s_add_i32 s16, s16, s17
	s_mul_hi_u32 s18, s9, s19
	s_mul_hi_u32 s21, s8, s19
	s_mul_i32 s17, s8, s19
	s_mul_hi_u32 s19, s9, s16
	s_mul_i32 s9, s9, s16
	s_mul_hi_u32 s22, s8, s16
	s_add_u32 s9, s18, s9
	s_addc_u32 s18, 0, s19
	s_add_u32 s9, s9, s17
	s_mul_i32 s16, s8, s16
	s_addc_u32 s9, s18, s21
	s_addc_u32 s17, s22, 0
	s_add_u32 s9, s9, s16
	s_addc_u32 s16, 0, s17
	v_add_co_u32 v1, s9, v1, s9
	s_delay_alu instid0(VALU_DEP_1) | instskip(SKIP_1) | instid1(VALU_DEP_1)
	s_cmp_lg_u32 s9, 0
	s_addc_u32 s8, s8, s16
	v_readfirstlane_b32 s9, v1
	s_mul_i32 s16, s10, s8
	s_delay_alu instid0(VALU_DEP_1)
	s_mul_hi_u32 s17, s10, s9
	s_mul_i32 s11, s11, s9
	s_add_i32 s16, s17, s16
	s_mul_i32 s10, s10, s9
	s_add_i32 s16, s16, s11
	s_mul_hi_u32 s17, s8, s10
	s_mul_i32 s18, s8, s10
	s_mul_hi_u32 s10, s9, s10
	s_mul_hi_u32 s19, s9, s16
	s_mul_i32 s9, s9, s16
	s_mul_hi_u32 s11, s8, s16
	s_add_u32 s9, s10, s9
	s_addc_u32 s10, 0, s19
	s_add_u32 s9, s9, s18
	s_mul_i32 s16, s8, s16
	s_addc_u32 s9, s10, s17
	s_addc_u32 s10, s11, 0
	s_add_u32 s9, s9, s16
	s_addc_u32 s10, 0, s10
	v_add_co_u32 v1, s9, v1, s9
	s_delay_alu instid0(VALU_DEP_1) | instskip(SKIP_2) | instid1(SALU_CYCLE_1)
	s_cmp_lg_u32 s9, 0
	s_addc_u32 s16, s8, s10
	s_ashr_i32 s8, s3, 31
	s_add_u32 s10, s12, s8
	s_addc_u32 s11, s3, s8
	v_readfirstlane_b32 s3, v1
	s_mov_b32 s9, s8
	s_delay_alu instid0(SALU_CYCLE_1) | instskip(NEXT) | instid1(SALU_CYCLE_1)
	s_xor_b64 s[10:11], s[10:11], s[8:9]
	s_mul_i32 s18, s10, s16
	s_delay_alu instid0(VALU_DEP_1)
	s_mul_hi_u32 s19, s10, s3
	s_mul_hi_u32 s17, s10, s16
	;; [unrolled: 1-line block ×3, first 2 shown]
	s_mul_i32 s3, s11, s3
	s_add_u32 s18, s19, s18
	s_addc_u32 s17, 0, s17
	s_mul_hi_u32 s21, s11, s16
	s_add_u32 s3, s18, s3
	s_mul_i32 s16, s11, s16
	s_addc_u32 s3, s17, s22
	s_addc_u32 s17, s21, 0
	s_add_u32 s3, s3, s16
	s_addc_u32 s16, 0, s17
	s_mul_i32 s18, s20, s3
	s_add_u32 s17, s3, 1
	v_sub_co_u32 v1, s10, s10, s18
	s_mul_hi_u32 s18, s20, s3
	s_addc_u32 s19, s16, 0
	s_mul_i32 s21, s20, s16
	s_delay_alu instid0(VALU_DEP_1)
	v_sub_co_u32 v2, s22, v1, s20
	s_add_u32 s23, s3, 2
	s_addc_u32 s24, s16, 0
	s_add_i32 s18, s18, s21
	s_cmp_lg_u32 s10, 0
	v_readfirstlane_b32 s10, v2
	s_subb_u32 s11, s11, s18
	s_cmp_lg_u32 s22, 0
	s_subb_u32 s18, s11, 0
	s_delay_alu instid0(VALU_DEP_1) | instskip(SKIP_4) | instid1(SALU_CYCLE_1)
	s_cmp_ge_u32 s10, s20
	s_cselect_b32 s10, -1, 0
	s_cmp_eq_u32 s18, 0
	v_readfirstlane_b32 s18, v1
	s_cselect_b32 s10, s10, -1
	s_cmp_lg_u32 s10, 0
	s_cselect_b32 s10, s23, s17
	s_cselect_b32 s17, s24, s19
	s_cmp_ge_u32 s18, s20
	s_cselect_b32 s18, -1, 0
	s_cmp_eq_u32 s11, 0
	s_cselect_b32 s11, s18, -1
	s_delay_alu instid0(SALU_CYCLE_1) | instskip(SKIP_2) | instid1(SALU_CYCLE_1)
	s_cmp_lg_u32 s11, 0
	s_cselect_b32 s11, s17, s16
	s_cselect_b32 s10, s10, s3
	s_xor_b64 s[10:11], s[10:11], s[8:9]
	s_delay_alu instid0(SALU_CYCLE_1)
	s_sub_u32 s16, s10, s8
	s_load_b128 s[8:11], s[0:1], 0x44
	s_and_not1_b32 vcc_lo, exec_lo, s2
	s_cbranch_vccnz .LBB64_3
.LBB64_2:
	v_cvt_f32_u32_e32 v1, s20
	s_sub_i32 s3, 0, s20
	s_delay_alu instid0(VALU_DEP_1) | instskip(SKIP_2) | instid1(VALU_DEP_1)
	v_rcp_iflag_f32_e32 v1, v1
	s_waitcnt_depctr 0xfff
	v_mul_f32_e32 v1, 0x4f7ffffe, v1
	v_cvt_u32_f32_e32 v1, v1
	s_delay_alu instid0(VALU_DEP_1) | instskip(NEXT) | instid1(VALU_DEP_1)
	v_readfirstlane_b32 s2, v1
	s_mul_i32 s3, s3, s2
	s_delay_alu instid0(SALU_CYCLE_1) | instskip(NEXT) | instid1(SALU_CYCLE_1)
	s_mul_hi_u32 s3, s2, s3
	s_add_i32 s2, s2, s3
	s_delay_alu instid0(SALU_CYCLE_1) | instskip(NEXT) | instid1(SALU_CYCLE_1)
	s_mul_hi_u32 s2, s12, s2
	s_mul_i32 s3, s2, s20
	s_waitcnt lgkmcnt(0)
	s_add_i32 s11, s2, 1
	s_sub_i32 s3, s12, s3
	s_delay_alu instid0(SALU_CYCLE_1)
	s_sub_i32 s12, s3, s20
	s_cmp_ge_u32 s3, s20
	s_cselect_b32 s2, s11, s2
	s_cselect_b32 s3, s12, s3
	s_add_i32 s11, s2, 1
	s_cmp_ge_u32 s3, s20
	s_cselect_b32 s16, s11, s2
.LBB64_3:
	s_waitcnt lgkmcnt(0)
	s_add_i32 s11, s13, 1
	s_mov_b32 s2, 0
	s_mul_hi_i32 s3, s7, s11
	s_mul_i32 s11, s7, s11
	s_cmp_lg_u64 s[2:3], 0
	s_cbranch_scc0 .LBB64_22
; %bb.4:
	v_cvt_f32_ubyte0_e32 v1, 0
	v_cvt_f32_u32_e32 v2, s20
	s_sub_u32 s18, 0, s20
	s_subb_u32 s19, 0, 0
	s_delay_alu instid0(VALU_DEP_1) | instskip(NEXT) | instid1(VALU_DEP_1)
	v_fmamk_f32 v1, v1, 0x4f800000, v2
	v_rcp_f32_e32 v1, v1
	s_waitcnt_depctr 0xfff
	v_mul_f32_e32 v1, 0x5f7ffffc, v1
	s_delay_alu instid0(VALU_DEP_1) | instskip(NEXT) | instid1(VALU_DEP_1)
	v_mul_f32_e32 v2, 0x2f800000, v1
	v_trunc_f32_e32 v2, v2
	s_delay_alu instid0(VALU_DEP_1) | instskip(SKIP_1) | instid1(VALU_DEP_2)
	v_fmamk_f32 v1, v2, 0xcf800000, v1
	v_cvt_u32_f32_e32 v2, v2
	v_cvt_u32_f32_e32 v1, v1
	s_delay_alu instid0(VALU_DEP_2) | instskip(NEXT) | instid1(VALU_DEP_2)
	v_readfirstlane_b32 s12, v2
	v_readfirstlane_b32 s17, v1
	s_delay_alu instid0(VALU_DEP_2) | instskip(NEXT) | instid1(VALU_DEP_1)
	s_mul_i32 s21, s18, s12
	s_mul_hi_u32 s23, s18, s17
	s_mul_i32 s22, s19, s17
	s_add_i32 s21, s23, s21
	s_mul_i32 s24, s18, s17
	s_add_i32 s21, s21, s22
	s_mul_hi_u32 s23, s17, s24
	s_mul_hi_u32 s25, s12, s24
	s_mul_i32 s22, s12, s24
	s_mul_hi_u32 s24, s17, s21
	s_mul_i32 s17, s17, s21
	s_mul_hi_u32 s26, s12, s21
	s_add_u32 s17, s23, s17
	s_addc_u32 s23, 0, s24
	s_add_u32 s17, s17, s22
	s_mul_i32 s21, s12, s21
	s_addc_u32 s17, s23, s25
	s_addc_u32 s22, s26, 0
	s_add_u32 s17, s17, s21
	s_addc_u32 s21, 0, s22
	v_add_co_u32 v1, s17, v1, s17
	s_delay_alu instid0(VALU_DEP_1) | instskip(SKIP_1) | instid1(VALU_DEP_1)
	s_cmp_lg_u32 s17, 0
	s_addc_u32 s12, s12, s21
	v_readfirstlane_b32 s17, v1
	s_mul_i32 s21, s18, s12
	s_delay_alu instid0(VALU_DEP_1)
	s_mul_hi_u32 s22, s18, s17
	s_mul_i32 s19, s19, s17
	s_add_i32 s21, s22, s21
	s_mul_i32 s18, s18, s17
	s_add_i32 s21, s21, s19
	s_mul_hi_u32 s22, s12, s18
	s_mul_i32 s23, s12, s18
	s_mul_hi_u32 s18, s17, s18
	s_mul_hi_u32 s24, s17, s21
	s_mul_i32 s17, s17, s21
	s_mul_hi_u32 s19, s12, s21
	s_add_u32 s17, s18, s17
	s_addc_u32 s18, 0, s24
	s_add_u32 s17, s17, s23
	s_mul_i32 s21, s12, s21
	s_addc_u32 s17, s18, s22
	s_addc_u32 s18, s19, 0
	s_add_u32 s17, s17, s21
	s_addc_u32 s18, 0, s18
	v_add_co_u32 v1, s17, v1, s17
	s_delay_alu instid0(VALU_DEP_1) | instskip(SKIP_2) | instid1(SALU_CYCLE_1)
	s_cmp_lg_u32 s17, 0
	s_addc_u32 s12, s12, s18
	s_ashr_i32 s18, s3, 31
	s_add_u32 s22, s11, s18
	s_addc_u32 s23, s3, s18
	v_readfirstlane_b32 s3, v1
	s_mov_b32 s19, s18
	s_delay_alu instid0(SALU_CYCLE_1) | instskip(NEXT) | instid1(SALU_CYCLE_1)
	s_xor_b64 s[22:23], s[22:23], s[18:19]
	s_mul_i32 s21, s22, s12
	s_delay_alu instid0(VALU_DEP_1)
	s_mul_hi_u32 s24, s22, s3
	s_mul_hi_u32 s17, s22, s12
	;; [unrolled: 1-line block ×3, first 2 shown]
	s_mul_i32 s3, s23, s3
	s_add_u32 s21, s24, s21
	s_addc_u32 s17, 0, s17
	s_mul_hi_u32 s25, s23, s12
	s_add_u32 s3, s21, s3
	s_mul_i32 s12, s23, s12
	s_addc_u32 s3, s17, s26
	s_addc_u32 s17, s25, 0
	s_add_u32 s3, s3, s12
	s_addc_u32 s12, 0, s17
	s_mul_i32 s21, s20, s3
	s_add_u32 s17, s3, 1
	v_sub_co_u32 v1, s21, s22, s21
	s_mul_hi_u32 s22, s20, s3
	s_addc_u32 s24, s12, 0
	s_mul_i32 s25, s20, s12
	s_delay_alu instid0(VALU_DEP_1)
	v_sub_co_u32 v2, s26, v1, s20
	s_add_u32 s27, s3, 2
	s_addc_u32 s28, s12, 0
	s_add_i32 s22, s22, s25
	s_cmp_lg_u32 s21, 0
	v_readfirstlane_b32 s21, v2
	s_subb_u32 s22, s23, s22
	s_cmp_lg_u32 s26, 0
	s_subb_u32 s23, s22, 0
	s_delay_alu instid0(VALU_DEP_1) | instskip(SKIP_4) | instid1(SALU_CYCLE_1)
	s_cmp_ge_u32 s21, s20
	s_cselect_b32 s21, -1, 0
	s_cmp_eq_u32 s23, 0
	v_readfirstlane_b32 s23, v1
	s_cselect_b32 s21, s21, -1
	s_cmp_lg_u32 s21, 0
	s_cselect_b32 s17, s27, s17
	s_cselect_b32 s21, s28, s24
	s_cmp_ge_u32 s23, s20
	s_cselect_b32 s23, -1, 0
	s_cmp_eq_u32 s22, 0
	s_cselect_b32 s22, s23, -1
	s_delay_alu instid0(SALU_CYCLE_1) | instskip(SKIP_2) | instid1(SALU_CYCLE_1)
	s_cmp_lg_u32 s22, 0
	s_cselect_b32 s23, s21, s12
	s_cselect_b32 s22, s17, s3
	s_xor_b64 s[22:23], s[22:23], s[18:19]
	s_delay_alu instid0(SALU_CYCLE_1)
	s_sub_u32 s18, s22, s18
	s_and_not1_b32 vcc_lo, exec_lo, s2
	s_cbranch_vccnz .LBB64_6
.LBB64_5:
	v_cvt_f32_u32_e32 v1, s20
	s_sub_i32 s3, 0, s20
	s_delay_alu instid0(VALU_DEP_1) | instskip(SKIP_2) | instid1(VALU_DEP_1)
	v_rcp_iflag_f32_e32 v1, v1
	s_waitcnt_depctr 0xfff
	v_mul_f32_e32 v1, 0x4f7ffffe, v1
	v_cvt_u32_f32_e32 v1, v1
	s_delay_alu instid0(VALU_DEP_1) | instskip(NEXT) | instid1(VALU_DEP_1)
	v_readfirstlane_b32 s2, v1
	s_mul_i32 s3, s3, s2
	s_delay_alu instid0(SALU_CYCLE_1) | instskip(NEXT) | instid1(SALU_CYCLE_1)
	s_mul_hi_u32 s3, s2, s3
	s_add_i32 s2, s2, s3
	s_delay_alu instid0(SALU_CYCLE_1) | instskip(NEXT) | instid1(SALU_CYCLE_1)
	s_mul_hi_u32 s2, s11, s2
	s_mul_i32 s3, s2, s20
	s_delay_alu instid0(SALU_CYCLE_1)
	s_sub_i32 s3, s11, s3
	s_add_i32 s11, s2, 1
	s_sub_i32 s12, s3, s20
	s_cmp_ge_u32 s3, s20
	s_cselect_b32 s2, s11, s2
	s_cselect_b32 s3, s12, s3
	s_add_i32 s11, s2, 1
	s_cmp_ge_u32 s3, s20
	s_cselect_b32 s18, s11, s2
.LBB64_6:
	s_delay_alu instid0(SALU_CYCLE_1) | instskip(SKIP_3) | instid1(SALU_CYCLE_1)
	s_cmp_eq_u32 s16, s18
	s_mul_hi_u32 s2, s16, s8
	s_cselect_b32 s3, -1, 0
	s_add_i32 s2, s2, s16
	s_lshr_b32 s11, s2, s9
	s_delay_alu instid0(SALU_CYCLE_1) | instskip(NEXT) | instid1(SALU_CYCLE_1)
	s_mul_i32 s2, s11, s10
	s_cmp_eq_u32 s2, s16
	s_mul_hi_u32 s2, s18, s8
	s_cselect_b32 s12, -1, 0
	s_add_i32 s2, s2, s18
	s_delay_alu instid0(SALU_CYCLE_1) | instskip(NEXT) | instid1(SALU_CYCLE_1)
	s_lshr_b32 s2, s2, s9
	s_cmp_eq_u32 s11, s2
	s_mul_i32 s2, s2, s10
	s_cselect_b32 s17, -1, 0
	s_cmp_lg_u32 s2, s18
	s_cselect_b32 s2, -1, 0
	s_or_b32 s3, s3, s12
	s_and_b32 s2, s17, s2
	s_delay_alu instid0(SALU_CYCLE_1) | instskip(NEXT) | instid1(SALU_CYCLE_1)
	s_or_b32 s2, s3, s2
	s_and_b32 vcc_lo, exec_lo, s2
	s_cbranch_vccnz .LBB64_24
; %bb.7:
	s_load_b256 s[24:31], s[0:1], 0x20
	s_waitcnt lgkmcnt(0)
	s_mul_hi_u32 s2, s16, s24
	s_delay_alu instid0(SALU_CYCLE_1) | instskip(NEXT) | instid1(SALU_CYCLE_1)
	s_add_i32 s2, s2, s16
	s_lshr_b32 s18, s2, s25
	s_load_b32 s2, s[0:1], 0x40
	s_mul_i32 s3, s18, s26
	s_delay_alu instid0(SALU_CYCLE_1) | instskip(NEXT) | instid1(SALU_CYCLE_1)
	s_sub_i32 s3, s16, s3
	s_mul_hi_u32 s12, s3, s27
	s_delay_alu instid0(SALU_CYCLE_1) | instskip(NEXT) | instid1(SALU_CYCLE_1)
	s_add_i32 s12, s3, s12
	s_lshr_b32 s21, s12, s28
	s_delay_alu instid0(SALU_CYCLE_1) | instskip(NEXT) | instid1(SALU_CYCLE_1)
	s_mul_i32 s12, s21, s29
	s_sub_i32 s3, s3, s12
	s_delay_alu instid0(SALU_CYCLE_1) | instskip(NEXT) | instid1(SALU_CYCLE_1)
	s_mul_hi_u32 s12, s3, s30
	s_add_i32 s12, s3, s12
	s_delay_alu instid0(SALU_CYCLE_1) | instskip(SKIP_3) | instid1(SALU_CYCLE_1)
	s_lshr_b32 s22, s12, s31
	s_mov_b32 s12, 0
	s_waitcnt lgkmcnt(0)
	s_mul_i32 s2, s22, s2
	s_sub_i32 s2, s3, s2
	s_delay_alu instid0(SALU_CYCLE_1) | instskip(NEXT) | instid1(SALU_CYCLE_1)
	s_mul_hi_u32 s3, s2, s8
	s_add_i32 s2, s2, s3
	s_delay_alu instid0(SALU_CYCLE_1) | instskip(NEXT) | instid1(SALU_CYCLE_1)
	s_lshr_b32 s23, s2, s9
	s_lshl_b32 s2, s23, 3
	s_delay_alu instid0(SALU_CYCLE_1) | instskip(NEXT) | instid1(SALU_CYCLE_1)
	s_add_i32 s2, s2, s14
	s_cmp_lt_i32 s2, s4
	s_cselect_b32 s2, -1, 0
	s_add_i32 s3, s22, s15
	s_delay_alu instid0(SALU_CYCLE_1) | instskip(SKIP_1) | instid1(SALU_CYCLE_1)
	s_cmp_lt_i32 s3, s6
	s_cselect_b32 s3, -1, 0
	s_and_b32 s2, s2, s3
	s_delay_alu instid0(SALU_CYCLE_1)
	s_and_not1_b32 vcc_lo, exec_lo, s2
	s_cbranch_vccnz .LBB64_24
; %bb.8:
	s_load_b128 s[0:3], s[0:1], 0x0
	s_lshl_b32 s24, s20, 5
	s_mov_b32 s25, s12
	s_add_i32 s17, s14, s15
	s_lshl_b64 s[24:25], s[24:25], 2
	s_mul_i32 s4, s18, s4
	s_mul_i32 s21, s21, s6
	v_cvt_f32_ubyte0_e32 v4, 0
	v_cvt_f32_u32_e32 v5, s20
	s_waitcnt lgkmcnt(0)
	s_add_u32 s18, s2, s24
	s_addc_u32 s19, s3, s25
	s_add_i32 s4, s4, s14
	s_delay_alu instid0(SALU_CYCLE_1) | instskip(SKIP_4) | instid1(SALU_CYCLE_1)
	s_mul_i32 s4, s4, s5
	s_mul_i32 s5, s5, s23
	s_add_i32 s4, s4, s15
	s_lshl_b32 s5, s5, 9
	s_add_i32 s4, s4, s21
	s_add_i32 s4, s4, s22
	s_delay_alu instid0(SALU_CYCLE_1) | instskip(NEXT) | instid1(SALU_CYCLE_1)
	s_lshl_b32 s4, s4, 6
	s_add_i32 s5, s5, s4
	s_delay_alu instid0(SALU_CYCLE_1) | instskip(SKIP_1) | instid1(VALU_DEP_2)
	v_or_b32_e32 v1, s5, v0
	v_lshl_or_b32 v0, s17, 6, v0
	v_ashrrev_i32_e32 v2, 31, v1
	s_delay_alu instid0(VALU_DEP_1) | instskip(NEXT) | instid1(VALU_DEP_1)
	v_lshlrev_b64 v[1:2], 2, v[1:2]
	v_add_co_u32 v1, vcc_lo, s0, v1
	s_delay_alu instid0(VALU_DEP_2) | instskip(SKIP_1) | instid1(SALU_CYCLE_1)
	v_add_co_ci_u32_e32 v2, vcc_lo, s1, v2, vcc_lo
	s_lshl_b32 s0, s13, 3
	s_add_i32 s0, s0, s17
	global_load_b32 v3, v[1:2], off
	s_ashr_i32 s1, s0, 31
	s_delay_alu instid0(SALU_CYCLE_1) | instskip(NEXT) | instid1(SALU_CYCLE_1)
	s_lshl_b64 s[0:1], s[0:1], 3
	s_add_u32 s0, s2, s0
	s_addc_u32 s1, s3, s1
	s_add_i32 s14, s13, -1
	s_load_b64 s[0:1], s[0:1], 0x0
	v_fmac_f32_e32 v5, 0x4f800000, v4
	s_sub_i32 s6, 0, s20
	s_waitcnt lgkmcnt(0)
	v_mov_b32_e32 v8, s0
	s_delay_alu instid0(VALU_DEP_2) | instskip(SKIP_2) | instid1(VALU_DEP_2)
	v_rcp_f32_e32 v4, v5
	v_cvt_f32_u32_e32 v5, s20
	v_mov_b32_e32 v7, s1
	v_rcp_iflag_f32_e32 v5, v5
	s_waitcnt_depctr 0xfff
	v_mul_f32_e32 v4, 0x5f7ffffc, v4
	s_delay_alu instid0(VALU_DEP_1) | instskip(SKIP_1) | instid1(VALU_DEP_2)
	v_mul_f32_e32 v6, 0x2f800000, v4
	v_mul_f32_e32 v9, 0x4f7ffffe, v5
	v_trunc_f32_e32 v6, v6
	s_delay_alu instid0(VALU_DEP_1) | instskip(SKIP_1) | instid1(VALU_DEP_4)
	v_fmac_f32_e32 v4, 0xcf800000, v6
	v_cvt_u32_f32_e32 v5, v6
	v_cvt_u32_f32_e32 v6, v9
	s_delay_alu instid0(VALU_DEP_3)
	v_cvt_u32_f32_e32 v4, v4
.LBB64_9:                               ; =>This Inner Loop Header: Depth=1
	s_mul_hi_i32 s13, s14, s7
	s_mul_i32 s4, s14, s7
	s_cmp_lg_u64 s[12:13], 0
	s_mov_b32 s5, -1
                                        ; implicit-def: $sgpr0_sgpr1
	s_cbranch_scc0 .LBB64_11
; %bb.10:                               ;   in Loop: Header=BB64_9 Depth=1
	v_readfirstlane_b32 s0, v4
	v_readfirstlane_b32 s1, v5
	s_sub_u32 s5, 0, s20
	s_subb_u32 s15, 0, 0
	s_delay_alu instid0(VALU_DEP_2) | instskip(NEXT) | instid1(VALU_DEP_1)
	s_mul_hi_u32 s21, s5, s0
	s_mul_i32 s22, s5, s1
	s_mul_i32 s23, s15, s0
	s_add_i32 s21, s21, s22
	s_mul_i32 s22, s5, s0
	s_add_i32 s21, s21, s23
	s_mul_hi_u32 s23, s0, s22
	s_mul_i32 s24, s0, s21
	s_mul_hi_u32 s0, s0, s21
	s_add_u32 s23, s23, s24
	s_mul_i32 s25, s1, s22
	s_addc_u32 s0, 0, s0
	s_mul_hi_u32 s22, s1, s22
	s_mul_hi_u32 s24, s1, s21
	s_add_u32 s23, s23, s25
	s_addc_u32 s0, s0, s22
	s_mul_i32 s21, s1, s21
	s_addc_u32 s22, s24, 0
	s_add_u32 s0, s0, s21
	s_addc_u32 s21, 0, s22
	v_add_co_u32 v9, s0, v4, s0
	s_delay_alu instid0(VALU_DEP_1) | instskip(SKIP_1) | instid1(VALU_DEP_1)
	s_cmp_lg_u32 s0, 0
	s_addc_u32 s1, s1, s21
	v_readfirstlane_b32 s0, v9
	s_mul_i32 s21, s5, s1
	s_delay_alu instid0(VALU_DEP_1)
	s_mul_hi_u32 s22, s5, s0
	s_mul_i32 s15, s15, s0
	s_add_i32 s21, s22, s21
	s_mul_i32 s5, s5, s0
	s_add_i32 s21, s21, s15
	s_mul_hi_u32 s15, s1, s5
	s_mul_i32 s23, s1, s5
	s_mul_i32 s24, s0, s21
	s_mul_hi_u32 s5, s0, s5
	s_mul_hi_u32 s0, s0, s21
	s_add_u32 s5, s5, s24
	s_addc_u32 s0, 0, s0
	s_mul_hi_u32 s22, s1, s21
	s_add_u32 s5, s5, s23
	s_addc_u32 s0, s0, s15
	s_mul_i32 s5, s1, s21
	s_addc_u32 s15, s22, 0
	s_add_u32 s0, s0, s5
	s_addc_u32 s5, 0, s15
	v_add_co_u32 v9, s0, v9, s0
	s_delay_alu instid0(VALU_DEP_1) | instskip(SKIP_2) | instid1(SALU_CYCLE_1)
	s_cmp_lg_u32 s0, 0
	s_addc_u32 s5, s1, s5
	s_ashr_i32 s0, s13, 31
	s_add_u32 s22, s4, s0
	s_addc_u32 s23, s13, s0
	v_readfirstlane_b32 s13, v9
	s_mov_b32 s1, s0
	s_delay_alu instid0(SALU_CYCLE_1) | instskip(NEXT) | instid1(SALU_CYCLE_1)
	s_xor_b64 s[22:23], s[22:23], s[0:1]
	s_mul_i32 s15, s22, s5
	s_delay_alu instid0(VALU_DEP_1)
	s_mul_hi_u32 s21, s22, s13
	s_mul_hi_u32 s24, s22, s5
	s_add_u32 s15, s21, s15
	s_mul_i32 s25, s23, s13
	s_addc_u32 s21, 0, s24
	s_mul_hi_u32 s13, s23, s13
	s_mul_hi_u32 s24, s23, s5
	s_add_u32 s15, s15, s25
	s_addc_u32 s13, s21, s13
	s_mul_i32 s5, s23, s5
	s_addc_u32 s15, s24, 0
	s_add_u32 s5, s13, s5
	s_addc_u32 s13, 0, s15
	s_mul_i32 s21, s20, s5
	s_add_u32 s15, s5, 1
	v_sub_co_u32 v9, s21, s22, s21
	s_addc_u32 s22, s13, 0
	s_mul_i32 s25, s20, s13
	s_mul_hi_u32 s27, s20, s5
	s_delay_alu instid0(VALU_DEP_1)
	v_sub_co_u32 v10, s26, v9, s20
	s_add_u32 s24, s5, 2
	s_addc_u32 s28, s13, 0
	s_add_i32 s27, s27, s25
	s_cmp_lg_u32 s21, 0
	v_readfirstlane_b32 s21, v10
	s_subb_u32 s23, s23, s27
	s_cmp_lg_u32 s26, 0
	s_subb_u32 s25, s23, 0
	s_delay_alu instid0(VALU_DEP_1) | instskip(SKIP_4) | instid1(SALU_CYCLE_1)
	s_cmp_ge_u32 s21, s20
	s_cselect_b32 s21, -1, 0
	s_cmp_eq_u32 s25, 0
	v_readfirstlane_b32 s25, v9
	s_cselect_b32 s21, s21, -1
	s_cmp_lg_u32 s21, 0
	s_cselect_b32 s15, s24, s15
	s_cselect_b32 s21, s28, s22
	s_cmp_ge_u32 s25, s20
	s_cselect_b32 s22, -1, 0
	s_cmp_eq_u32 s23, 0
	s_cselect_b32 s22, s22, -1
	s_delay_alu instid0(SALU_CYCLE_1) | instskip(SKIP_4) | instid1(SALU_CYCLE_1)
	s_cmp_lg_u32 s22, 0
	s_cselect_b32 s23, s21, s13
	s_cselect_b32 s22, s15, s5
	s_mov_b32 s5, 0
	s_xor_b64 s[22:23], s[22:23], s[0:1]
	s_sub_u32 s0, s22, s0
.LBB64_11:                              ;   in Loop: Header=BB64_9 Depth=1
	s_and_not1_b32 vcc_lo, exec_lo, s5
	s_cbranch_vccnz .LBB64_13
; %bb.12:                               ;   in Loop: Header=BB64_9 Depth=1
	v_readfirstlane_b32 s0, v6
	s_delay_alu instid0(VALU_DEP_1) | instskip(NEXT) | instid1(SALU_CYCLE_1)
	s_mul_i32 s1, s6, s0
	s_mul_hi_u32 s1, s0, s1
	s_delay_alu instid0(SALU_CYCLE_1) | instskip(NEXT) | instid1(SALU_CYCLE_1)
	s_add_i32 s0, s0, s1
	s_mul_hi_u32 s0, s4, s0
	s_delay_alu instid0(SALU_CYCLE_1) | instskip(NEXT) | instid1(SALU_CYCLE_1)
	s_mul_i32 s1, s0, s20
	s_sub_i32 s1, s4, s1
	s_add_i32 s4, s0, 1
	s_sub_i32 s5, s1, s20
	s_cmp_ge_u32 s1, s20
	s_cselect_b32 s0, s4, s0
	s_cselect_b32 s1, s5, s1
	s_add_i32 s4, s0, 1
	s_cmp_ge_u32 s1, s20
	s_cselect_b32 s0, s4, s0
.LBB64_13:                              ;   in Loop: Header=BB64_9 Depth=1
	s_delay_alu instid0(SALU_CYCLE_1)
	s_cmp_lg_u32 s16, s0
	s_cbranch_scc0 .LBB64_17
; %bb.14:                               ;   in Loop: Header=BB64_9 Depth=1
	s_add_i32 s1, s14, s20
	s_mov_b32 s5, s12
	s_lshl_b32 s1, s1, 3
	s_mov_b32 s15, s16
	s_add_i32 s4, s1, s17
	s_mul_hi_u32 s1, s0, s8
	s_lshl_b64 s[4:5], s[4:5], 3
	s_delay_alu instid0(SALU_CYCLE_1) | instskip(SKIP_2) | instid1(SALU_CYCLE_1)
	s_add_u32 s4, s2, s4
	s_addc_u32 s5, s3, s5
	s_add_i32 s1, s1, s0
	s_lshr_b32 s1, s1, s9
	s_delay_alu instid0(SALU_CYCLE_1) | instskip(NEXT) | instid1(SALU_CYCLE_1)
	s_mul_i32 s13, s1, s10
	s_cmp_eq_u32 s13, s0
	s_cselect_b32 s13, -1, 0
	s_cmp_lt_u32 s1, s11
	s_cselect_b32 s1, -1, 0
	s_delay_alu instid0(SALU_CYCLE_1)
	s_or_b32 s1, s1, s13
	s_mov_b32 s13, -1
	s_and_b32 vcc_lo, exec_lo, s1
	s_mov_b32 s1, s14
	s_cbranch_vccnz .LBB64_16
; %bb.15:                               ;   in Loop: Header=BB64_9 Depth=1
	s_add_i32 s1, s14, -1
	s_mov_b32 s13, 0
	s_mov_b32 s15, s0
.LBB64_16:                              ;   in Loop: Header=BB64_9 Depth=1
	v_lshl_add_u32 v9, s14, 9, v0
	s_load_b64 s[4:5], s[4:5], 0x0
	s_delay_alu instid0(VALU_DEP_1) | instskip(NEXT) | instid1(VALU_DEP_1)
	v_ashrrev_i32_e32 v10, 31, v9
	v_lshlrev_b64 v[9:10], 2, v[9:10]
	s_delay_alu instid0(VALU_DEP_1) | instskip(NEXT) | instid1(VALU_DEP_2)
	v_add_co_u32 v9, vcc_lo, s18, v9
	v_add_co_ci_u32_e32 v10, vcc_lo, s19, v10, vcc_lo
	s_waitcnt lgkmcnt(0)
	v_max_f32_e64 v11, s4, s4
	global_load_b32 v10, v[9:10], off
	v_max_f32_e32 v9, v8, v8
	s_delay_alu instid0(VALU_DEP_1) | instskip(NEXT) | instid1(VALU_DEP_1)
	v_max_f32_e32 v9, v9, v11
	v_sub_f32_e32 v12, v8, v9
	s_delay_alu instid0(VALU_DEP_1) | instskip(NEXT) | instid1(VALU_DEP_1)
	v_dual_mul_f32 v14, 0x3fb8aa3b, v12 :: v_dual_sub_f32 v11, s4, v9
	v_rndne_f32_e32 v18, v14
	s_delay_alu instid0(VALU_DEP_2) | instskip(SKIP_2) | instid1(VALU_DEP_4)
	v_mul_f32_e32 v13, 0x3fb8aa3b, v11
	v_fma_f32 v17, 0x3fb8aa3b, v12, -v14
	v_cmp_ngt_f32_e32 vcc_lo, 0xc2ce8ed0, v11
	v_sub_f32_e32 v14, v14, v18
	s_delay_alu instid0(VALU_DEP_4) | instskip(SKIP_2) | instid1(VALU_DEP_3)
	v_fma_f32 v15, 0x3fb8aa3b, v11, -v13
	v_rndne_f32_e32 v16, v13
	v_fmac_f32_e32 v17, 0x32a5705f, v12
	v_fmac_f32_e32 v15, 0x32a5705f, v11
	s_delay_alu instid0(VALU_DEP_2) | instskip(NEXT) | instid1(VALU_DEP_1)
	v_dual_sub_f32 v13, v13, v16 :: v_dual_add_f32 v14, v14, v17
	v_add_f32_e32 v13, v13, v15
	s_delay_alu instid0(VALU_DEP_2) | instskip(SKIP_2) | instid1(VALU_DEP_3)
	v_exp_f32_e32 v14, v14
	v_cvt_i32_f32_e32 v15, v16
	v_cvt_i32_f32_e32 v16, v18
	v_exp_f32_e32 v13, v13
	s_waitcnt_depctr 0xfff
	v_ldexp_f32 v14, v14, v16
	v_ldexp_f32 v13, v13, v15
	s_delay_alu instid0(VALU_DEP_1) | instskip(SKIP_1) | instid1(VALU_DEP_4)
	v_cndmask_b32_e32 v13, 0, v13, vcc_lo
	v_cmp_ngt_f32_e32 vcc_lo, 0xc2ce8ed0, v12
	v_cndmask_b32_e32 v14, 0, v14, vcc_lo
	v_cmp_nlt_f32_e32 vcc_lo, 0x42b17218, v11
	s_delay_alu instid0(VALU_DEP_4) | instskip(SKIP_1) | instid1(VALU_DEP_4)
	v_cndmask_b32_e32 v13, 0x7f800000, v13, vcc_lo
	v_cmp_nlt_f32_e32 vcc_lo, 0x42b17218, v12
	v_cndmask_b32_e32 v14, 0x7f800000, v14, vcc_lo
	v_cmp_le_f32_e32 vcc_lo, 0xc1a00000, v11
	s_delay_alu instid0(VALU_DEP_4) | instskip(SKIP_1) | instid1(VALU_DEP_4)
	v_cndmask_b32_e32 v11, 0, v13, vcc_lo
	v_cmp_le_f32_e32 vcc_lo, 0xc1a00000, v12
	v_cndmask_b32_e32 v12, 0, v14, vcc_lo
	s_waitcnt vmcnt(0)
	s_delay_alu instid0(VALU_DEP_3) | instskip(NEXT) | instid1(VALU_DEP_1)
	v_mul_f32_e32 v10, v10, v11
	v_dual_mul_f32 v11, s5, v11 :: v_dual_fmac_f32 v10, v3, v12
	s_delay_alu instid0(VALU_DEP_1)
	v_fmac_f32_e32 v11, v7, v12
	s_cbranch_execz .LBB64_18
	s_branch .LBB64_19
.LBB64_17:                              ;   in Loop: Header=BB64_9 Depth=1
                                        ; implicit-def: $sgpr13
                                        ; implicit-def: $vgpr10
                                        ; implicit-def: $vgpr9
                                        ; implicit-def: $vgpr11
                                        ; implicit-def: $sgpr1
                                        ; implicit-def: $sgpr15
.LBB64_18:                              ;   in Loop: Header=BB64_9 Depth=1
	v_mov_b32_e32 v11, v7
	s_waitcnt vmcnt(0)
	v_dual_mov_b32 v9, v8 :: v_dual_mov_b32 v10, v3
	s_add_i32 s1, s14, -1
	s_mov_b32 s13, 0
	s_mov_b32 s15, s16
.LBB64_19:                              ;   in Loop: Header=BB64_9 Depth=1
	s_and_not1_b32 vcc_lo, exec_lo, s13
	s_cbranch_vccz .LBB64_23
; %bb.20:                               ;   in Loop: Header=BB64_9 Depth=1
	v_dual_mov_b32 v7, v11 :: v_dual_mov_b32 v8, v9
	s_waitcnt vmcnt(0)
	v_mov_b32_e32 v3, v10
	s_mov_b32 s16, s15
	s_mov_b32 s14, s1
	s_branch .LBB64_9
.LBB64_21:
                                        ; implicit-def: $sgpr16_sgpr17
	s_load_b128 s[8:11], s[0:1], 0x44
	s_branch .LBB64_2
.LBB64_22:
                                        ; implicit-def: $sgpr18_sgpr19
	s_branch .LBB64_5
.LBB64_23:
	v_div_scale_f32 v0, null, v11, v11, v10
	s_waitcnt vmcnt(0)
	s_delay_alu instid0(VALU_DEP_1) | instskip(SKIP_2) | instid1(VALU_DEP_1)
	v_rcp_f32_e32 v3, v0
	s_waitcnt_depctr 0xfff
	v_fma_f32 v4, -v0, v3, 1.0
	v_fmac_f32_e32 v3, v4, v3
	v_div_scale_f32 v4, vcc_lo, v10, v11, v10
	s_delay_alu instid0(VALU_DEP_1) | instskip(NEXT) | instid1(VALU_DEP_1)
	v_mul_f32_e32 v5, v4, v3
	v_fma_f32 v6, -v0, v5, v4
	s_delay_alu instid0(VALU_DEP_1) | instskip(NEXT) | instid1(VALU_DEP_1)
	v_fmac_f32_e32 v5, v6, v3
	v_fma_f32 v0, -v0, v5, v4
	s_delay_alu instid0(VALU_DEP_1) | instskip(NEXT) | instid1(VALU_DEP_1)
	v_div_fmas_f32 v0, v0, v3, v5
	v_div_fixup_f32 v0, v0, v11, v10
	global_store_b32 v[1:2], v0, off
.LBB64_24:
	s_nop 0
	s_sendmsg sendmsg(MSG_DEALLOC_VGPRS)
	s_endpgm
	.section	.rodata,"a",@progbits
	.p2align	6, 0x0
	.amdhsa_kernel _ZL33flash_attn_stream_k_fixup_generalILi64ELi8ELi1EEvPfPK15HIP_vector_typeIfLj2EEiiiiS1_IjLj3EES5_S5_S5_
		.amdhsa_group_segment_fixed_size 0
		.amdhsa_private_segment_fixed_size 0
		.amdhsa_kernarg_size 336
		.amdhsa_user_sgpr_count 13
		.amdhsa_user_sgpr_dispatch_ptr 0
		.amdhsa_user_sgpr_queue_ptr 0
		.amdhsa_user_sgpr_kernarg_segment_ptr 1
		.amdhsa_user_sgpr_dispatch_id 0
		.amdhsa_user_sgpr_private_segment_size 0
		.amdhsa_wavefront_size32 1
		.amdhsa_uses_dynamic_stack 0
		.amdhsa_enable_private_segment 0
		.amdhsa_system_sgpr_workgroup_id_x 1
		.amdhsa_system_sgpr_workgroup_id_y 1
		.amdhsa_system_sgpr_workgroup_id_z 1
		.amdhsa_system_sgpr_workgroup_info 0
		.amdhsa_system_vgpr_workitem_id 0
		.amdhsa_next_free_vgpr 19
		.amdhsa_next_free_sgpr 32
		.amdhsa_reserve_vcc 1
		.amdhsa_float_round_mode_32 0
		.amdhsa_float_round_mode_16_64 0
		.amdhsa_float_denorm_mode_32 3
		.amdhsa_float_denorm_mode_16_64 3
		.amdhsa_dx10_clamp 1
		.amdhsa_ieee_mode 1
		.amdhsa_fp16_overflow 0
		.amdhsa_workgroup_processor_mode 1
		.amdhsa_memory_ordered 1
		.amdhsa_forward_progress 0
		.amdhsa_shared_vgpr_count 0
		.amdhsa_exception_fp_ieee_invalid_op 0
		.amdhsa_exception_fp_denorm_src 0
		.amdhsa_exception_fp_ieee_div_zero 0
		.amdhsa_exception_fp_ieee_overflow 0
		.amdhsa_exception_fp_ieee_underflow 0
		.amdhsa_exception_fp_ieee_inexact 0
		.amdhsa_exception_int_div_zero 0
	.end_amdhsa_kernel
	.section	.text._ZL33flash_attn_stream_k_fixup_generalILi64ELi8ELi1EEvPfPK15HIP_vector_typeIfLj2EEiiiiS1_IjLj3EES5_S5_S5_,"axG",@progbits,_ZL33flash_attn_stream_k_fixup_generalILi64ELi8ELi1EEvPfPK15HIP_vector_typeIfLj2EEiiiiS1_IjLj3EES5_S5_S5_,comdat
.Lfunc_end64:
	.size	_ZL33flash_attn_stream_k_fixup_generalILi64ELi8ELi1EEvPfPK15HIP_vector_typeIfLj2EEiiiiS1_IjLj3EES5_S5_S5_, .Lfunc_end64-_ZL33flash_attn_stream_k_fixup_generalILi64ELi8ELi1EEvPfPK15HIP_vector_typeIfLj2EEiiiiS1_IjLj3EES5_S5_S5_
                                        ; -- End function
	.section	.AMDGPU.csdata,"",@progbits
; Kernel info:
; codeLenInByte = 3220
; NumSgprs: 34
; NumVgprs: 19
; ScratchSize: 0
; MemoryBound: 0
; FloatMode: 240
; IeeeMode: 1
; LDSByteSize: 0 bytes/workgroup (compile time only)
; SGPRBlocks: 4
; VGPRBlocks: 2
; NumSGPRsForWavesPerEU: 34
; NumVGPRsForWavesPerEU: 19
; Occupancy: 16
; WaveLimiterHint : 0
; COMPUTE_PGM_RSRC2:SCRATCH_EN: 0
; COMPUTE_PGM_RSRC2:USER_SGPR: 13
; COMPUTE_PGM_RSRC2:TRAP_HANDLER: 0
; COMPUTE_PGM_RSRC2:TGID_X_EN: 1
; COMPUTE_PGM_RSRC2:TGID_Y_EN: 1
; COMPUTE_PGM_RSRC2:TGID_Z_EN: 1
; COMPUTE_PGM_RSRC2:TIDIG_COMP_CNT: 0
	.section	.text._ZL15flash_attn_tileILi64ELi64ELi4ELi1ELb0EEvPKcS1_S1_S1_S1_PKiPfP15HIP_vector_typeIfLj2EEffffjfiS5_IjLj3EEiiiiiiiiiiiliiliiiiil,"axG",@progbits,_ZL15flash_attn_tileILi64ELi64ELi4ELi1ELb0EEvPKcS1_S1_S1_S1_PKiPfP15HIP_vector_typeIfLj2EEffffjfiS5_IjLj3EEiiiiiiiiiiiliiliiiiil,comdat
	.globl	_ZL15flash_attn_tileILi64ELi64ELi4ELi1ELb0EEvPKcS1_S1_S1_S1_PKiPfP15HIP_vector_typeIfLj2EEffffjfiS5_IjLj3EEiiiiiiiiiiiliiliiiiil ; -- Begin function _ZL15flash_attn_tileILi64ELi64ELi4ELi1ELb0EEvPKcS1_S1_S1_S1_PKiPfP15HIP_vector_typeIfLj2EEffffjfiS5_IjLj3EEiiiiiiiiiiiliiliiiiil
	.p2align	8
	.type	_ZL15flash_attn_tileILi64ELi64ELi4ELi1ELb0EEvPKcS1_S1_S1_S1_PKiPfP15HIP_vector_typeIfLj2EEffffjfiS5_IjLj3EEiiiiiiiiiiiliiliiiiil,@function
_ZL15flash_attn_tileILi64ELi64ELi4ELi1ELb0EEvPKcS1_S1_S1_S1_PKiPfP15HIP_vector_typeIfLj2EEffffjfiS5_IjLj3EEiiiiiiiiiiiliiliiiiil: ; @_ZL15flash_attn_tileILi64ELi64ELi4ELi1ELb0EEvPKcS1_S1_S1_S1_PKiPfP15HIP_vector_typeIfLj2EEffffjfiS5_IjLj3EEiiiiiiiiiiiliiliiiiil
; %bb.0:
	s_clause 0x3
	s_load_b128 s[8:11], s[0:1], 0x5c
	s_load_b64 s[42:43], s[0:1], 0x80
	s_load_b512 s[16:31], s[0:1], 0x0
	s_load_b64 s[44:45], s[0:1], 0xb8
	s_mov_b64 s[40:41], 0
	s_waitcnt lgkmcnt(0)
	v_cvt_f32_u32_e32 v1, s11
	s_sub_i32 s3, 0, s11
	s_delay_alu instid0(VALU_DEP_1) | instskip(SKIP_2) | instid1(VALU_DEP_1)
	v_rcp_iflag_f32_e32 v1, v1
	s_waitcnt_depctr 0xfff
	v_mul_f32_e32 v1, 0x4f7ffffe, v1
	v_cvt_u32_f32_e32 v1, v1
	s_delay_alu instid0(VALU_DEP_1) | instskip(NEXT) | instid1(VALU_DEP_1)
	v_readfirstlane_b32 s2, v1
	s_mul_i32 s3, s3, s2
	s_delay_alu instid0(SALU_CYCLE_1) | instskip(NEXT) | instid1(SALU_CYCLE_1)
	s_mul_hi_u32 s3, s2, s3
	s_add_i32 s2, s2, s3
	s_delay_alu instid0(SALU_CYCLE_1) | instskip(NEXT) | instid1(SALU_CYCLE_1)
	s_mul_hi_u32 s2, s15, s2
	s_mul_i32 s3, s2, s11
	s_add_i32 s4, s2, 1
	s_sub_i32 s3, s15, s3
	s_delay_alu instid0(SALU_CYCLE_1)
	s_sub_i32 s5, s3, s11
	s_cmp_ge_u32 s3, s11
	s_cselect_b32 s2, s4, s2
	s_cselect_b32 s3, s5, s3
	s_add_i32 s4, s2, 1
	s_cmp_ge_u32 s3, s11
	s_cselect_b32 s12, s4, s2
	s_abs_i32 s2, s43
	s_abs_i32 s6, s11
	v_cvt_f32_u32_e32 v1, s2
	s_sub_i32 s4, 0, s2
	s_mul_i32 s5, s12, s11
	s_delay_alu instid0(SALU_CYCLE_1) | instskip(NEXT) | instid1(VALU_DEP_1)
	s_sub_i32 s34, s15, s5
	v_rcp_iflag_f32_e32 v1, v1
	s_waitcnt_depctr 0xfff
	v_mul_f32_e32 v1, 0x4f7ffffe, v1
	s_delay_alu instid0(VALU_DEP_1) | instskip(NEXT) | instid1(VALU_DEP_1)
	v_cvt_u32_f32_e32 v1, v1
	v_readfirstlane_b32 s3, v1
	s_delay_alu instid0(VALU_DEP_1) | instskip(NEXT) | instid1(SALU_CYCLE_1)
	s_mul_i32 s4, s4, s3
	s_mul_hi_u32 s4, s3, s4
	s_delay_alu instid0(SALU_CYCLE_1) | instskip(SKIP_4) | instid1(SALU_CYCLE_1)
	s_add_i32 s3, s3, s4
	s_xor_b32 s4, s11, s43
	s_mul_hi_u32 s3, s6, s3
	s_ashr_i32 s4, s4, 31
	s_mul_i32 s5, s3, s2
	s_sub_i32 s5, s6, s5
	s_add_i32 s6, s3, 1
	s_sub_i32 s7, s5, s2
	s_cmp_ge_u32 s5, s2
	s_cselect_b32 s3, s6, s3
	s_cselect_b32 s5, s7, s5
	s_add_i32 s6, s3, 1
	s_cmp_ge_u32 s5, s2
	s_cselect_b32 s2, s6, s3
	s_abs_i32 s43, s34
	s_xor_b32 s2, s2, s4
	s_delay_alu instid0(SALU_CYCLE_1) | instskip(NEXT) | instid1(SALU_CYCLE_1)
	s_sub_i32 s46, s2, s4
	s_abs_i32 s33, s46
	s_delay_alu instid0(SALU_CYCLE_1) | instskip(SKIP_1) | instid1(VALU_DEP_1)
	v_cvt_f32_u32_e32 v1, s33
	s_sub_i32 s3, 0, s33
	v_rcp_iflag_f32_e32 v1, v1
	s_waitcnt_depctr 0xfff
	v_mul_f32_e32 v1, 0x4f7ffffe, v1
	s_delay_alu instid0(VALU_DEP_1) | instskip(NEXT) | instid1(VALU_DEP_1)
	v_cvt_u32_f32_e32 v1, v1
	v_readfirstlane_b32 s2, v1
	s_delay_alu instid0(VALU_DEP_1) | instskip(NEXT) | instid1(SALU_CYCLE_1)
	s_mul_i32 s3, s3, s2
	s_mul_hi_u32 s3, s2, s3
	s_delay_alu instid0(SALU_CYCLE_1)
	s_add_i32 s2, s2, s3
	s_cmp_eq_u64 s[22:23], 0
	s_cbranch_scc1 .LBB65_2
; %bb.1:
	s_abs_i32 s3, s44
	s_abs_i32 s6, s12
	v_cvt_f32_u32_e32 v1, s3
	s_sub_i32 s5, 0, s3
	s_delay_alu instid0(VALU_DEP_1) | instskip(SKIP_2) | instid1(VALU_DEP_1)
	v_rcp_iflag_f32_e32 v1, v1
	s_waitcnt_depctr 0xfff
	v_mul_f32_e32 v1, 0x4f7ffffe, v1
	v_cvt_u32_f32_e32 v1, v1
	s_delay_alu instid0(VALU_DEP_1) | instskip(NEXT) | instid1(VALU_DEP_1)
	v_readfirstlane_b32 s4, v1
	s_mul_i32 s5, s5, s4
	s_delay_alu instid0(SALU_CYCLE_1) | instskip(NEXT) | instid1(SALU_CYCLE_1)
	s_mul_hi_u32 s5, s4, s5
	s_add_i32 s7, s4, s5
	s_load_b64 s[4:5], s[0:1], 0xc8
	s_mul_hi_u32 s7, s6, s7
	s_delay_alu instid0(SALU_CYCLE_1) | instskip(NEXT) | instid1(SALU_CYCLE_1)
	s_mul_i32 s7, s7, s3
	s_sub_i32 s6, s6, s7
	s_ashr_i32 s7, s12, 31
	s_sub_i32 s15, s6, s3
	s_cmp_ge_u32 s6, s3
	s_cselect_b32 s6, s15, s6
	s_delay_alu instid0(SALU_CYCLE_1) | instskip(SKIP_2) | instid1(SALU_CYCLE_1)
	s_sub_i32 s15, s6, s3
	s_cmp_ge_u32 s6, s3
	s_cselect_b32 s3, s15, s6
	s_xor_b32 s3, s3, s7
	s_delay_alu instid0(SALU_CYCLE_1)
	s_sub_i32 s3, s3, s7
	s_waitcnt lgkmcnt(0)
	s_mul_i32 s5, s3, s5
	s_mul_hi_u32 s6, s3, s4
	s_ashr_i32 s7, s3, 31
	s_add_i32 s5, s6, s5
	s_mul_i32 s7, s7, s4
	s_mul_i32 s3, s3, s4
	s_add_i32 s5, s5, s7
	s_add_u32 s40, s22, s3
	s_addc_u32 s41, s23, s5
.LBB65_2:
	s_clause 0x1
	s_load_b128 s[36:39], s[0:1], 0x40
	s_load_b32 s3, s[0:1], 0x50
	v_mov_b32_e32 v29, 1.0
	s_waitcnt lgkmcnt(0)
	v_cmp_le_f32_e64 s4, s37, 0
	s_mul_hi_u32 s37, s43, s2
	s_delay_alu instid0(VALU_DEP_1)
	s_and_b32 vcc_lo, exec_lo, s4
	s_cbranch_vccnz .LBB65_4
; %bb.3:
	s_sub_i32 s2, s34, s3
	s_add_i32 s4, s34, 1
	s_lshl_b32 s2, s2, 1
	v_mov_b32_e32 v1, s38
	s_or_b32 s2, s2, 1
	s_cmp_lt_u32 s34, s3
	s_cselect_b32 vcc_lo, -1, 0
	s_delay_alu instid0(VALU_DEP_1)
	v_cndmask_b32_e32 v3, s39, v1, vcc_lo
	s_and_b32 s3, vcc_lo, exec_lo
	s_cselect_b32 s2, s4, s2
	s_mov_b32 s3, 0x3e76c4e1
	v_cvt_f32_i32_e32 v1, s2
	v_cmp_neq_f32_e32 vcc_lo, 1.0, v3
	s_delay_alu instid0(VALU_DEP_2) | instskip(NEXT) | instid1(VALU_DEP_1)
	v_cndmask_b32_e32 v4, 1.0, v1, vcc_lo
	v_cmp_eq_f32_e32 vcc_lo, 0, v4
	v_cndmask_b32_e64 v5, |v3|, 1.0, vcc_lo
	s_delay_alu instid0(VALU_DEP_1) | instskip(NEXT) | instid1(VALU_DEP_1)
	v_frexp_mant_f32_e32 v1, v5
	v_cmp_gt_f32_e64 s2, 0x3f2aaaab, v1
	s_delay_alu instid0(VALU_DEP_1) | instskip(NEXT) | instid1(VALU_DEP_1)
	v_cndmask_b32_e64 v2, 1.0, 2.0, s2
	v_mul_f32_e32 v1, v1, v2
	s_delay_alu instid0(VALU_DEP_1) | instskip(SKIP_1) | instid1(VALU_DEP_2)
	v_add_f32_e32 v2, 1.0, v1
	v_add_f32_e32 v7, -1.0, v1
	v_rcp_f32_e32 v6, v2
	s_waitcnt_depctr 0xfff
	v_mul_f32_e32 v8, v7, v6
	s_delay_alu instid0(VALU_DEP_1) | instskip(NEXT) | instid1(VALU_DEP_1)
	v_dual_add_f32 v9, -1.0, v2 :: v_dual_mul_f32 v10, v2, v8
	v_sub_f32_e32 v1, v1, v9
	v_cndmask_b32_e64 v3, v3, 1.0, vcc_lo
	s_delay_alu instid0(VALU_DEP_3) | instskip(NEXT) | instid1(VALU_DEP_2)
	v_fma_f32 v2, v8, v2, -v10
	v_cmp_eq_f32_e64 s4, 0, v3
	s_delay_alu instid0(VALU_DEP_2) | instskip(NEXT) | instid1(VALU_DEP_1)
	v_fmac_f32_e32 v2, v8, v1
	v_add_f32_e32 v1, v10, v2
	s_delay_alu instid0(VALU_DEP_1) | instskip(NEXT) | instid1(VALU_DEP_1)
	v_dual_sub_f32 v10, v1, v10 :: v_dual_sub_f32 v9, v7, v1
	v_dual_sub_f32 v2, v10, v2 :: v_dual_sub_f32 v7, v7, v9
	s_delay_alu instid0(VALU_DEP_1) | instskip(NEXT) | instid1(VALU_DEP_1)
	v_sub_f32_e32 v1, v7, v1
	v_add_f32_e32 v1, v2, v1
	s_delay_alu instid0(VALU_DEP_1) | instskip(NEXT) | instid1(VALU_DEP_1)
	v_add_f32_e32 v1, v9, v1
	v_mul_f32_e32 v1, v6, v1
	s_delay_alu instid0(VALU_DEP_1) | instskip(NEXT) | instid1(VALU_DEP_1)
	v_add_f32_e32 v6, v8, v1
	v_sub_f32_e32 v2, v6, v8
	v_mul_f32_e32 v7, v6, v6
	s_delay_alu instid0(VALU_DEP_2) | instskip(NEXT) | instid1(VALU_DEP_2)
	v_sub_f32_e32 v8, v1, v2
	v_fma_f32 v9, v6, v6, -v7
	s_delay_alu instid0(VALU_DEP_2) | instskip(NEXT) | instid1(VALU_DEP_1)
	v_add_f32_e32 v1, v8, v8
	v_fmac_f32_e32 v9, v6, v1
	v_cvt_f64_f32_e32 v[1:2], v5
	s_delay_alu instid0(VALU_DEP_2) | instskip(NEXT) | instid1(VALU_DEP_1)
	v_add_f32_e32 v10, v7, v9
	v_fmaak_f32 v11, s3, v10, 0x3e91f4c4
	v_sub_f32_e32 v7, v10, v7
	v_mul_f32_e32 v14, v6, v10
	s_delay_alu instid0(VALU_DEP_3) | instskip(NEXT) | instid1(VALU_DEP_3)
	v_fmaak_f32 v11, v10, v11, 0x3ecccdef
	v_sub_f32_e32 v7, v9, v7
	s_delay_alu instid0(VALU_DEP_2) | instskip(NEXT) | instid1(VALU_DEP_1)
	v_mul_f32_e32 v12, v10, v11
	v_fma_f32 v9, v10, v11, -v12
	s_delay_alu instid0(VALU_DEP_1) | instskip(NEXT) | instid1(VALU_DEP_1)
	v_fmac_f32_e32 v9, v7, v11
	v_add_f32_e32 v11, v12, v9
	v_frexp_exp_i32_f64_e32 v1, v[1:2]
	s_delay_alu instid0(VALU_DEP_2) | instskip(NEXT) | instid1(VALU_DEP_1)
	v_sub_f32_e32 v12, v11, v12
	v_sub_f32_e32 v2, v9, v12
	v_fma_f32 v12, v10, v6, -v14
	s_delay_alu instid0(VALU_DEP_2) | instskip(NEXT) | instid1(VALU_DEP_2)
	v_add_f32_e32 v2, 0x31739010, v2
	v_dual_add_f32 v13, 0x3f2aaaaa, v11 :: v_dual_fmac_f32 v12, v10, v8
	v_ldexp_f32 v8, v8, 1
	s_delay_alu instid0(VALU_DEP_2) | instskip(NEXT) | instid1(VALU_DEP_1)
	v_dual_add_f32 v9, 0xbf2aaaaa, v13 :: v_dual_fmac_f32 v12, v7, v6
	v_sub_f32_e32 v9, v11, v9
	s_delay_alu instid0(VALU_DEP_1) | instskip(NEXT) | instid1(VALU_DEP_3)
	v_add_f32_e32 v2, v2, v9
	v_add_f32_e32 v9, v14, v12
	s_delay_alu instid0(VALU_DEP_2) | instskip(NEXT) | instid1(VALU_DEP_1)
	v_add_f32_e32 v7, v13, v2
	v_sub_f32_e32 v10, v13, v7
	s_delay_alu instid0(VALU_DEP_3) | instskip(SKIP_2) | instid1(VALU_DEP_4)
	v_mul_f32_e32 v11, v9, v7
	v_sub_f32_e32 v13, v9, v14
	v_subrev_co_ci_u32_e64 v1, s2, 0, v1, s2
	v_add_f32_e32 v2, v2, v10
	s_delay_alu instid0(VALU_DEP_4) | instskip(NEXT) | instid1(VALU_DEP_4)
	v_fma_f32 v10, v9, v7, -v11
	v_sub_f32_e32 v12, v12, v13
	s_delay_alu instid0(VALU_DEP_4) | instskip(NEXT) | instid1(VALU_DEP_3)
	v_cvt_f32_i32_e32 v1, v1
	v_fmac_f32_e32 v10, v9, v2
	v_ldexp_f32 v2, v6, 1
	s_delay_alu instid0(VALU_DEP_2) | instskip(NEXT) | instid1(VALU_DEP_1)
	v_fmac_f32_e32 v10, v12, v7
	v_add_f32_e32 v6, v11, v10
	s_delay_alu instid0(VALU_DEP_1) | instskip(NEXT) | instid1(VALU_DEP_1)
	v_add_f32_e32 v7, v2, v6
	v_dual_sub_f32 v2, v7, v2 :: v_dual_sub_f32 v9, v6, v11
	s_delay_alu instid0(VALU_DEP_1) | instskip(NEXT) | instid1(VALU_DEP_2)
	v_sub_f32_e32 v2, v6, v2
	v_sub_f32_e32 v9, v10, v9
	s_delay_alu instid0(VALU_DEP_1) | instskip(NEXT) | instid1(VALU_DEP_1)
	v_add_f32_e32 v6, v8, v9
	v_dual_mul_f32 v11, 0x3f317218, v1 :: v_dual_add_f32 v2, v6, v2
	s_delay_alu instid0(VALU_DEP_1) | instskip(NEXT) | instid1(VALU_DEP_2)
	v_fma_f32 v10, 0x3f317218, v1, -v11
	v_add_f32_e32 v8, v7, v2
	s_delay_alu instid0(VALU_DEP_1) | instskip(NEXT) | instid1(VALU_DEP_1)
	v_sub_f32_e32 v7, v8, v7
	v_dual_fmamk_f32 v1, v1, 0xb102e308, v10 :: v_dual_sub_f32 v2, v2, v7
	s_delay_alu instid0(VALU_DEP_1) | instskip(NEXT) | instid1(VALU_DEP_1)
	v_add_f32_e32 v6, v11, v1
	v_add_f32_e32 v9, v6, v8
	s_delay_alu instid0(VALU_DEP_1) | instskip(NEXT) | instid1(VALU_DEP_1)
	v_dual_sub_f32 v11, v6, v11 :: v_dual_sub_f32 v10, v9, v6
	v_sub_f32_e32 v12, v9, v10
	s_delay_alu instid0(VALU_DEP_2) | instskip(NEXT) | instid1(VALU_DEP_2)
	v_sub_f32_e32 v1, v1, v11
	v_dual_sub_f32 v7, v8, v10 :: v_dual_sub_f32 v6, v6, v12
	s_delay_alu instid0(VALU_DEP_2) | instskip(NEXT) | instid1(VALU_DEP_2)
	v_add_f32_e32 v8, v1, v2
	v_add_f32_e32 v6, v7, v6
	s_delay_alu instid0(VALU_DEP_1) | instskip(NEXT) | instid1(VALU_DEP_1)
	v_add_f32_e32 v6, v8, v6
	v_dual_sub_f32 v7, v8, v1 :: v_dual_add_f32 v10, v9, v6
	s_delay_alu instid0(VALU_DEP_1) | instskip(SKIP_1) | instid1(VALU_DEP_3)
	v_sub_f32_e32 v8, v8, v7
	v_sub_f32_e32 v2, v2, v7
	v_sub_f32_e32 v7, v10, v9
	s_delay_alu instid0(VALU_DEP_3) | instskip(NEXT) | instid1(VALU_DEP_1)
	v_sub_f32_e32 v1, v1, v8
	v_add_f32_e32 v1, v2, v1
	s_delay_alu instid0(VALU_DEP_3) | instskip(NEXT) | instid1(VALU_DEP_1)
	v_sub_f32_e32 v2, v6, v7
	v_add_f32_e32 v1, v1, v2
	s_delay_alu instid0(VALU_DEP_1) | instskip(NEXT) | instid1(VALU_DEP_1)
	v_add_f32_e32 v2, v10, v1
	v_mul_f32_e32 v7, v4, v2
	v_sub_f32_e32 v6, v2, v10
	s_delay_alu instid0(VALU_DEP_2) | instskip(NEXT) | instid1(VALU_DEP_2)
	v_fma_f32 v2, v4, v2, -v7
	v_sub_f32_e32 v1, v1, v6
	v_cmp_class_f32_e64 s2, v7, 0x204
	s_delay_alu instid0(VALU_DEP_2) | instskip(NEXT) | instid1(VALU_DEP_1)
	v_fmac_f32_e32 v2, v4, v1
	v_add_f32_e32 v1, v7, v2
	s_delay_alu instid0(VALU_DEP_1) | instskip(NEXT) | instid1(VALU_DEP_1)
	v_cndmask_b32_e64 v6, v1, v7, s2
	v_cmp_eq_f32_e64 s2, 0x42b17218, v6
	s_delay_alu instid0(VALU_DEP_1) | instskip(SKIP_1) | instid1(VALU_DEP_2)
	v_cndmask_b32_e64 v8, 0, 0x37000000, s2
	v_cmp_neq_f32_e64 s2, 0x7f800000, |v6|
	v_sub_f32_e32 v9, v6, v8
	v_trunc_f32_e32 v6, v4
	s_delay_alu instid0(VALU_DEP_2) | instskip(NEXT) | instid1(VALU_DEP_1)
	v_mul_f32_e32 v10, 0x3fb8aa3b, v9
	v_fma_f32 v11, 0x3fb8aa3b, v9, -v10
	v_rndne_f32_e32 v12, v10
	s_delay_alu instid0(VALU_DEP_1) | instskip(NEXT) | instid1(VALU_DEP_1)
	v_dual_fmamk_f32 v11, v9, 0x32a5705f, v11 :: v_dual_sub_f32 v10, v10, v12
	v_add_f32_e32 v10, v10, v11
	v_sub_f32_e32 v1, v1, v7
	v_cvt_i32_f32_e32 v7, v12
	s_delay_alu instid0(VALU_DEP_3) | instskip(NEXT) | instid1(VALU_DEP_2)
	v_exp_f32_e32 v10, v10
	v_sub_f32_e32 v1, v2, v1
	s_delay_alu instid0(VALU_DEP_1)
	v_cndmask_b32_e64 v1, 0, v1, s2
	v_cmp_ngt_f32_e64 s2, 0xc2ce8ed0, v9
	s_waitcnt_depctr 0xfff
	v_ldexp_f32 v2, v10, v7
	v_mul_f32_e32 v7, 0.5, v4
	v_add_f32_e32 v1, v8, v1
	s_delay_alu instid0(VALU_DEP_3) | instskip(NEXT) | instid1(VALU_DEP_3)
	v_cndmask_b32_e64 v2, 0, v2, s2
	v_trunc_f32_e32 v10, v7
	v_cmp_nlt_f32_e64 s2, 0x42b17218, v9
	s_delay_alu instid0(VALU_DEP_2) | instskip(NEXT) | instid1(VALU_DEP_2)
	v_cmp_neq_f32_e64 s3, v10, v7
	v_cndmask_b32_e64 v2, 0x7f800000, v2, s2
	v_cmp_eq_f32_e64 s2, v6, v4
	s_delay_alu instid0(VALU_DEP_2) | instskip(NEXT) | instid1(VALU_DEP_2)
	v_fma_f32 v1, v2, v1, v2
	s_and_b32 vcc_lo, s2, s3
	v_cmp_class_f32_e64 s3, v2, 0x204
	v_cndmask_b32_e32 v6, 1.0, v3, vcc_lo
	s_delay_alu instid0(VALU_DEP_2) | instskip(SKIP_1) | instid1(VALU_DEP_2)
	v_cndmask_b32_e64 v1, v1, v2, s3
	v_cmp_gt_f32_e64 s3, 0, v4
	v_bfi_b32 v1, 0x7fffffff, v1, v6
	v_cndmask_b32_e32 v6, 0, v3, vcc_lo
	s_delay_alu instid0(VALU_DEP_3)
	s_xor_b32 s3, s3, s4
	v_cmp_eq_f32_e32 vcc_lo, 0x7f800000, v5
	v_cndmask_b32_e64 v2, 0x7f800000, 0, s3
	v_cndmask_b32_e64 v4, 0x7fc00000, v1, s2
	v_cmp_gt_f32_e64 s2, 0, v3
	s_or_b32 vcc_lo, vcc_lo, s4
	s_delay_alu instid0(VALU_DEP_3) | instskip(NEXT) | instid1(VALU_DEP_2)
	v_bfi_b32 v2, 0x7fffffff, v2, v6
	v_cndmask_b32_e64 v1, v1, v4, s2
	s_delay_alu instid0(VALU_DEP_1) | instskip(SKIP_1) | instid1(VALU_DEP_2)
	v_cndmask_b32_e32 v1, v1, v2, vcc_lo
	v_cmp_o_f32_e32 vcc_lo, v3, v3
	v_cndmask_b32_e32 v29, 0x7fc00000, v1, vcc_lo
.LBB65_4:
	v_bfe_u32 v28, v0, 10, 10
	s_lshl_b32 s15, s13, 2
	s_load_b128 s[4:7], s[0:1], 0x70
	s_ashr_i32 s35, s34, 31
	s_ashr_i32 s38, s46, 31
	v_lshlrev_b32_e32 v20, 1, v28
	s_delay_alu instid0(VALU_DEP_1) | instskip(SKIP_1) | instid1(VALU_DEP_2)
	v_or_b32_e32 v18, 1, v20
	v_add_nc_u32_e32 v22, s15, v20
	v_add_nc_u32_e32 v19, s15, v18
	s_delay_alu instid0(VALU_DEP_2) | instskip(NEXT) | instid1(VALU_DEP_2)
	v_mul_hi_u32 v1, v22, s8
	v_mul_hi_u32 v2, v19, s8
	s_waitcnt lgkmcnt(0)
	s_mul_i32 s2, s12, s6
	s_mul_i32 s3, s34, s5
	s_delay_alu instid0(VALU_DEP_2)
	v_add_nc_u32_e32 v1, v22, v1
	s_ashr_i32 s5, s2, 31
	s_add_u32 s2, s16, s2
	s_addc_u32 s5, s17, s5
	v_add_nc_u32_e32 v2, v19, v2
	v_lshrrev_b32_e32 v1, s9, v1
	s_ashr_i32 s6, s3, 31
	s_add_u32 s2, s2, s3
	s_addc_u32 s3, s5, s6
	v_lshrrev_b32_e32 v2, s9, v2
	v_mul_lo_u32 v1, v1, s10
	s_ashr_i32 s5, s4, 31
	s_delay_alu instid0(SALU_CYCLE_1) | instskip(NEXT) | instid1(VALU_DEP_3)
	v_alignbit_b32 v5, s5, s4, 2
	v_mul_lo_u32 v3, v2, s10
	s_lshr_b32 s4, s5, 2
	s_cmp_eq_u64 s[26:27], 0
	s_delay_alu instid0(VALU_DEP_3) | instskip(NEXT) | instid1(VALU_DEP_2)
	v_sub_nc_u32_e32 v30, v22, v1
	v_sub_nc_u32_e32 v8, v19, v3
	s_delay_alu instid0(VALU_DEP_2) | instskip(NEXT) | instid1(VALU_DEP_2)
	v_mad_u64_u32 v[1:2], null, v5, v30, 0
	v_mad_u64_u32 v[3:4], null, v5, v8, 0
	s_delay_alu instid0(VALU_DEP_1) | instskip(NEXT) | instid1(VALU_DEP_2)
	v_mad_u64_u32 v[5:6], null, s4, v30, v[2:3]
	v_mov_b32_e32 v2, v4
	s_delay_alu instid0(VALU_DEP_1) | instskip(NEXT) | instid1(VALU_DEP_3)
	v_mad_u64_u32 v[6:7], null, s4, v8, v[2:3]
	v_dual_mov_b32 v2, v5 :: v_dual_and_b32 v21, 0x3ff, v0
	s_delay_alu instid0(VALU_DEP_1) | instskip(NEXT) | instid1(VALU_DEP_2)
	v_lshlrev_b64 v[0:1], 2, v[1:2]
	v_dual_mov_b32 v4, v6 :: v_dual_lshlrev_b32 v5, 3, v21
	v_lshlrev_b32_e32 v23, 2, v21
	s_delay_alu instid0(VALU_DEP_2) | instskip(NEXT) | instid1(VALU_DEP_3)
	v_lshlrev_b64 v[2:3], 2, v[3:4]
	v_add_co_u32 v5, s2, s2, v5
	s_delay_alu instid0(VALU_DEP_1) | instskip(SKIP_1) | instid1(VALU_DEP_3)
	v_add_co_ci_u32_e64 v6, null, s3, 0, s2
	v_lshlrev_b32_e32 v4, 5, v18
	v_add_co_u32 v0, vcc_lo, v5, v0
	s_delay_alu instid0(VALU_DEP_3)
	v_add_co_ci_u32_e32 v1, vcc_lo, v6, v1, vcc_lo
	v_add_co_u32 v2, vcc_lo, v5, v2
	v_add_co_ci_u32_e32 v3, vcc_lo, v6, v3, vcc_lo
	s_clause 0x1
	global_load_b64 v[0:1], v[0:1], off
	global_load_b64 v[2:3], v[2:3], off
	v_lshl_or_b32 v5, v28, 8, v23
	v_add_lshl_u32 v4, v4, v21, 2
	s_mov_b32 s3, 0
	s_waitcnt vmcnt(1)
	v_fma_mixlo_f16 v0, v0, s36, 0
	s_waitcnt vmcnt(0)
	v_fma_mixlo_f16 v2, v2, s36, 0
	s_delay_alu instid0(VALU_DEP_2) | instskip(NEXT) | instid1(VALU_DEP_2)
	v_fma_mixhi_f16 v0, v1, s36, 0
	v_fma_mixhi_f16 v2, v3, s36, 0
	ds_store_b32 v5, v0 offset:4608
	ds_store_b32 v4, v2 offset:4608
	s_waitcnt lgkmcnt(0)
	s_barrier
	buffer_gl0_inv
	s_cbranch_scc1 .LBB65_6
; %bb.5:
	s_load_b32 s2, s[0:1], 0xd0
	s_waitcnt lgkmcnt(0)
	s_mul_i32 s2, s2, s12
	s_delay_alu instid0(SALU_CYCLE_1) | instskip(NEXT) | instid1(SALU_CYCLE_1)
	s_add_i32 s2, s2, s13
	s_lshl_b64 s[2:3], s[2:3], 2
	s_delay_alu instid0(SALU_CYCLE_1)
	s_add_u32 s2, s26, s2
	s_addc_u32 s3, s27, s3
	s_load_b32 s42, s[2:3], 0x0
.LBB65_6:
	s_clause 0x2
	s_load_b64 s[2:3], s[0:1], 0x8c
	s_load_b128 s[4:7], s[0:1], 0x98
	s_load_b64 s[16:17], s[0:1], 0xa8
	s_ashr_i32 s36, s12, 31
	s_ashr_i32 s22, s45, 1
	s_mul_i32 s27, s37, s33
	v_mov_b32_e32 v32, 0
	v_mov_b32_e32 v26, 0
	v_lshrrev_b32_e32 v33, 3, v21
	v_mul_u32_u24_e32 v31, 0x90, v21
	v_mbcnt_lo_u32_b32 v25, -1, 0
	s_mov_b32 s26, 0xfeffffff
	s_waitcnt lgkmcnt(0)
	s_ashr_i32 s23, s2, 2
	s_mul_i32 s2, s12, s5
	s_mul_hi_u32 s5, s12, s4
	s_ashr_i32 s13, s6, 2
	s_mul_i32 s6, s36, s4
	s_add_i32 s2, s5, s2
	s_mul_i32 s4, s12, s4
	s_add_i32 s2, s2, s6
	s_add_u32 s4, s18, s4
	s_addc_u32 s2, s19, s2
	s_sub_i32 s6, s43, s27
	s_xor_b32 s5, s35, s38
	s_add_i32 s18, s37, 1
	s_sub_i32 s19, s6, s33
	s_cmp_ge_u32 s6, s33
	s_mul_i32 s17, s12, s17
	s_cselect_b32 s18, s18, s37
	s_cselect_b32 s6, s19, s6
	s_add_i32 s19, s18, 1
	s_cmp_ge_u32 s6, s33
	s_mul_i32 s36, s36, s16
	s_cselect_b32 s6, s19, s18
	s_mul_hi_u32 s18, s12, s16
	s_xor_b32 s6, s6, s5
	s_mul_i32 s16, s12, s16
	s_sub_i32 s6, s6, s5
	s_delay_alu instid0(SALU_CYCLE_1)
	s_mul_i32 s3, s6, s3
	s_mul_i32 s6, s6, s7
	s_ashr_i32 s5, s3, 31
	s_add_u32 s4, s4, s3
	s_addc_u32 s5, s2, s5
	s_add_i32 s2, s18, s17
	s_delay_alu instid0(SALU_CYCLE_1)
	s_add_i32 s2, s2, s36
	s_add_u32 s3, s20, s16
	s_addc_u32 s2, s21, s2
	s_ashr_i32 s7, s6, 31
	s_add_u32 s17, s3, s6
	s_addc_u32 s16, s2, s7
	s_lshl_b32 s18, s14, 5
	s_sub_i32 s6, s42, 32
	s_delay_alu instid0(SALU_CYCLE_1)
	s_cmp_ge_i32 s18, s6
	s_cbranch_scc1 .LBB65_15
; %bb.7:
	v_or_b32_e32 v2, 1, v22
	v_lshl_add_u32 v1, v28, 2, v33
	v_dual_mov_b32 v51, 0xfeffffff :: v_dual_and_b32 v26, 28, v23
	s_lshl_b32 s2, s23, 3
	s_delay_alu instid0(VALU_DEP_3) | instskip(NEXT) | instid1(VALU_DEP_3)
	v_mul_hi_u32 v3, s8, v2
	v_mul_lo_u32 v0, s23, v1
	v_mul_lo_u32 v10, s13, v1
	v_mov_b32_e32 v24, 0
	v_dual_mov_b32 v27, 0 :: v_dual_lshlrev_b32 v4, 2, v26
	s_cmp_lg_u64 s[40:41], 0
	v_lshl_add_u32 v36, v28, 7, 0x1400
	v_add_nc_u32_e32 v3, v2, v3
	s_cselect_b32 s7, -1, 0
	s_lshl_b32 s3, s13, 3
	v_mad_u32_u24 v37, 0x90, v1, v4
	v_lshl_or_b32 v38, v1, 7, v4
	v_lshrrev_b32_e32 v3, s9, v3
	v_dual_mov_b32 v49, 0 :: v_dual_add_nc_u32 v4, s2, v0
	v_add_nc_u32_e32 v12, s3, v10
	v_ashrrev_i32_e32 v1, 31, v0
	s_delay_alu instid0(VALU_DEP_4) | instskip(NEXT) | instid1(VALU_DEP_4)
	v_mul_lo_u32 v3, v3, s10
	v_add_nc_u32_e32 v6, s2, v4
	v_ashrrev_i32_e32 v11, 31, v10
	v_add_nc_u32_e32 v14, s3, v12
	v_ashrrev_i32_e32 v5, 31, v4
	v_ashrrev_i32_e32 v13, 31, v12
	v_add_nc_u32_e32 v8, s2, v6
	v_ashrrev_i32_e32 v7, 31, v6
	v_add_nc_u32_e32 v16, s3, v14
	v_sub_nc_u32_e32 v2, v2, v3
	v_ashrrev_i32_e32 v15, 31, v14
	v_ashrrev_i32_e32 v9, 31, v8
	v_mul_lo_u32 v35, v30, s22
	v_ashrrev_i32_e32 v17, 31, v16
	v_mul_lo_u32 v43, v2, s22
	v_lshlrev_b64 v[2:3], 2, v[0:1]
	v_lshlrev_b64 v[4:5], 2, v[4:5]
	;; [unrolled: 1-line block ×8, first 2 shown]
	v_lshl_add_u32 v34, v28, 8, 0x1200
	v_add_nc_u32_e32 v39, 0x480, v37
	v_add_nc_u32_e32 v40, 0x900, v37
	;; [unrolled: 1-line block ×6, first 2 shown]
	v_dual_mov_b32 v50, 0xfeffffff :: v_dual_add_nc_u32 v47, v36, v23
	v_lshlrev_b32_e32 v46, 2, v26
	v_mbcnt_lo_u32_b32 v48, -1, 0
	v_mov_b32_e32 v26, 0
	s_add_u32 s2, s0, 0xd0
	s_addc_u32 s3, s1, 0
.LBB65_8:                               ; =>This Inner Loop Header: Depth=1
	s_mul_hi_i32 s21, s18, s23
	s_mul_i32 s20, s18, s23
	s_delay_alu instid0(SALU_CYCLE_1) | instskip(NEXT) | instid1(SALU_CYCLE_1)
	s_lshl_b64 s[20:21], s[20:21], 2
	s_add_u32 s19, s4, s20
	s_addc_u32 s20, s5, s21
	v_add_co_u32 v0, vcc_lo, s19, v2
	v_add_co_ci_u32_e32 v1, vcc_lo, s20, v3, vcc_lo
	v_add_co_u32 v32, vcc_lo, s19, v4
	v_add_co_ci_u32_e32 v52, vcc_lo, s20, v5, vcc_lo
	s_delay_alu instid0(VALU_DEP_4) | instskip(NEXT) | instid1(VALU_DEP_4)
	v_add_co_u32 v0, vcc_lo, v0, v46
	v_add_co_ci_u32_e32 v1, vcc_lo, 0, v1, vcc_lo
	s_delay_alu instid0(VALU_DEP_4) | instskip(NEXT) | instid1(VALU_DEP_4)
	v_add_co_u32 v56, vcc_lo, v32, v46
	v_add_co_ci_u32_e32 v57, vcc_lo, 0, v52, vcc_lo
	v_add_co_u32 v32, vcc_lo, s19, v6
	v_add_co_ci_u32_e32 v52, vcc_lo, s20, v7, vcc_lo
	;; [unrolled: 2-line block ×3, first 2 shown]
	s_delay_alu instid0(VALU_DEP_4) | instskip(NEXT) | instid1(VALU_DEP_4)
	v_add_co_u32 v60, vcc_lo, v32, v46
	v_add_co_ci_u32_e32 v61, vcc_lo, 0, v52, vcc_lo
	s_delay_alu instid0(VALU_DEP_4) | instskip(NEXT) | instid1(VALU_DEP_4)
	v_add_co_u32 v64, vcc_lo, v53, v46
	v_add_co_ci_u32_e32 v65, vcc_lo, 0, v54, vcc_lo
	s_clause 0x3
	global_load_b128 v[52:55], v[0:1], off
	global_load_b128 v[56:59], v[56:57], off
	;; [unrolled: 1-line block ×4, first 2 shown]
	v_dual_mov_b32 v1, 0 :: v_dual_mov_b32 v0, 0
	v_mov_b32_e32 v32, 0
	s_and_not1_b32 vcc_lo, exec_lo, s7
	s_waitcnt vmcnt(3)
	ds_store_b128 v37, v[52:55]
	s_waitcnt vmcnt(2)
	ds_store_b128 v39, v[56:59]
	;; [unrolled: 2-line block ×4, first 2 shown]
	s_waitcnt lgkmcnt(0)
	s_barrier
	buffer_gl0_inv
	ds_load_b128 v[52:55], v31
	ds_load_b128 v[56:59], v34
	ds_load_b128 v[60:63], v34 offset:128
	s_waitcnt lgkmcnt(1)
	;;#ASMSTART
	v_dot2_f32_f16 v1, v52, v56, v1
	;;#ASMEND
	;;#ASMSTART
	v_dot2_f32_f16 v1, v53, v57, v1
	;;#ASMEND
	;;#ASMSTART
	v_dot2_f32_f16 v1, v54, v58, v1
	;;#ASMEND
	;;#ASMSTART
	v_dot2_f32_f16 v1, v55, v59, v1
	;;#ASMEND
	s_waitcnt lgkmcnt(0)
	;;#ASMSTART
	v_dot2_f32_f16 v0, v52, v60, v0
	;;#ASMEND
	;;#ASMSTART
	v_dot2_f32_f16 v0, v53, v61, v0
	;;#ASMEND
	;;#ASMSTART
	v_dot2_f32_f16 v0, v54, v62, v0
	;;#ASMEND
	;;#ASMSTART
	v_dot2_f32_f16 v0, v55, v63, v0
	;;#ASMEND
	ds_load_b128 v[52:55], v31 offset:16
	ds_load_b128 v[56:59], v34 offset:16
	ds_load_b128 v[60:63], v34 offset:144
	s_waitcnt lgkmcnt(1)
	;;#ASMSTART
	v_dot2_f32_f16 v1, v52, v56, v1
	;;#ASMEND
	;;#ASMSTART
	v_dot2_f32_f16 v1, v53, v57, v1
	;;#ASMEND
	;;#ASMSTART
	v_dot2_f32_f16 v1, v54, v58, v1
	;;#ASMEND
	;;#ASMSTART
	v_dot2_f32_f16 v1, v55, v59, v1
	;;#ASMEND
	s_waitcnt lgkmcnt(0)
	;;#ASMSTART
	v_dot2_f32_f16 v0, v52, v60, v0
	;;#ASMEND
	;;#ASMSTART
	v_dot2_f32_f16 v0, v53, v61, v0
	;;#ASMEND
	;;#ASMSTART
	v_dot2_f32_f16 v0, v54, v62, v0
	;;#ASMEND
	;;#ASMSTART
	v_dot2_f32_f16 v0, v55, v63, v0
	;;#ASMEND
	ds_load_b128 v[52:55], v31 offset:32
	ds_load_b128 v[56:59], v34 offset:32
	;; [unrolled: 29-line block ×7, first 2 shown]
	ds_load_b128 v[63:66], v34 offset:240
	s_waitcnt lgkmcnt(1)
	;;#ASMSTART
	v_dot2_f32_f16 v1, v52, v59, v1
	;;#ASMEND
	v_add_nc_u32_e32 v58, s18, v21
	;;#ASMSTART
	v_dot2_f32_f16 v1, v53, v60, v1
	;;#ASMEND
	;;#ASMSTART
	v_dot2_f32_f16 v1, v54, v61, v1
	;;#ASMEND
	;; [unrolled: 3-line block ×3, first 2 shown]
	s_waitcnt lgkmcnt(0)
	;;#ASMSTART
	v_dot2_f32_f16 v0, v52, v63, v0
	;;#ASMEND
	;;#ASMSTART
	v_dot2_f32_f16 v0, v53, v64, v0
	;;#ASMEND
	;; [unrolled: 3-line block ×4, first 2 shown]
	s_cbranch_vccnz .LBB65_10
; %bb.9:                                ;   in Loop: Header=BB65_8 Depth=1
	v_add_nc_u32_e32 v52, v58, v35
	s_delay_alu instid0(VALU_DEP_1) | instskip(NEXT) | instid1(VALU_DEP_1)
	v_ashrrev_i32_e32 v53, 31, v52
	v_lshlrev_b64 v[52:53], 1, v[52:53]
	s_delay_alu instid0(VALU_DEP_1) | instskip(NEXT) | instid1(VALU_DEP_2)
	v_add_co_u32 v52, vcc_lo, s40, v52
	v_add_co_ci_u32_e32 v53, vcc_lo, s41, v53, vcc_lo
	flat_load_u16 v32, v[52:53]
	s_waitcnt vmcnt(0) lgkmcnt(0)
	v_cvt_f32_f16_e32 v32, v32
	s_delay_alu instid0(VALU_DEP_1)
	v_mul_f32_e32 v32, v29, v32
.LBB65_10:                              ;   in Loop: Header=BB65_8 Depth=1
	v_xor_b32_e32 v52, 16, v48
	s_delay_alu instid0(VALU_DEP_2) | instskip(SKIP_1) | instid1(VALU_DEP_3)
	v_dual_add_f32 v32, v1, v32 :: v_dual_max_f32 v53, v50, v50
	v_xor_b32_e32 v54, 8, v48
	v_cmp_gt_i32_e32 vcc_lo, 32, v52
	v_cndmask_b32_e32 v1, v48, v52, vcc_lo
	s_delay_alu instid0(VALU_DEP_4) | instskip(NEXT) | instid1(VALU_DEP_4)
	v_add_f32_e32 v52, 0x40051340, v32
	v_cmp_gt_i32_e32 vcc_lo, 32, v54
	s_delay_alu instid0(VALU_DEP_3) | instskip(NEXT) | instid1(VALU_DEP_3)
	v_lshlrev_b32_e32 v1, 2, v1
	v_dual_max_f32 v53, v53, v52 :: v_dual_cndmask_b32 v54, v48, v54
	ds_bpermute_b32 v52, v1, v53
	s_waitcnt lgkmcnt(0)
	v_dual_max_f32 v55, v52, v52 :: v_dual_lshlrev_b32 v52, 2, v54
	s_delay_alu instid0(VALU_DEP_1)
	v_max_f32_e32 v54, v53, v55
	v_xor_b32_e32 v55, 4, v48
	ds_bpermute_b32 v53, v52, v54
	v_cmp_gt_i32_e32 vcc_lo, 32, v55
	s_waitcnt lgkmcnt(0)
	v_dual_cndmask_b32 v55, v48, v55 :: v_dual_max_f32 v56, v53, v53
	s_delay_alu instid0(VALU_DEP_1) | instskip(NEXT) | instid1(VALU_DEP_2)
	v_lshlrev_b32_e32 v53, 2, v55
	v_max_f32_e32 v55, v54, v56
	v_xor_b32_e32 v56, 2, v48
	s_delay_alu instid0(VALU_DEP_1) | instskip(SKIP_4) | instid1(VALU_DEP_1)
	v_cmp_gt_i32_e32 vcc_lo, 32, v56
	v_cndmask_b32_e32 v56, v48, v56, vcc_lo
	ds_bpermute_b32 v54, v53, v55
	s_waitcnt lgkmcnt(0)
	v_dual_max_f32 v57, v54, v54 :: v_dual_lshlrev_b32 v54, 2, v56
	v_max_f32_e32 v55, v55, v57
	v_xor_b32_e32 v57, 1, v48
	ds_bpermute_b32 v56, v54, v55
	v_cmp_gt_i32_e32 vcc_lo, 32, v57
	v_cndmask_b32_e32 v57, v48, v57, vcc_lo
	s_and_not1_b32 vcc_lo, exec_lo, s7
	s_waitcnt lgkmcnt(0)
	s_delay_alu instid0(VALU_DEP_1) | instskip(NEXT) | instid1(VALU_DEP_1)
	v_dual_max_f32 v59, v56, v56 :: v_dual_lshlrev_b32 v56, 2, v57
	v_max_f32_e32 v55, v55, v59
	ds_bpermute_b32 v57, v56, v55
	s_cbranch_vccnz .LBB65_12
; %bb.11:                               ;   in Loop: Header=BB65_8 Depth=1
	v_add_nc_u32_e32 v58, v58, v43
	s_delay_alu instid0(VALU_DEP_1) | instskip(NEXT) | instid1(VALU_DEP_1)
	v_ashrrev_i32_e32 v59, 31, v58
	v_lshlrev_b64 v[58:59], 1, v[58:59]
	s_delay_alu instid0(VALU_DEP_1) | instskip(NEXT) | instid1(VALU_DEP_2)
	v_add_co_u32 v58, vcc_lo, s40, v58
	v_add_co_ci_u32_e32 v59, vcc_lo, s41, v59, vcc_lo
	flat_load_u16 v58, v[58:59]
	s_waitcnt vmcnt(0) lgkmcnt(0)
	v_cvt_f32_f16_e32 v58, v58
	s_delay_alu instid0(VALU_DEP_1)
	v_mul_f32_e32 v58, v29, v58
	s_branch .LBB65_13
.LBB65_12:                              ;   in Loop: Header=BB65_8 Depth=1
	v_mov_b32_e32 v58, 0
.LBB65_13:                              ;   in Loop: Header=BB65_8 Depth=1
	s_mul_hi_i32 s21, s18, s13
	s_mul_i32 s20, s18, s13
	s_waitcnt lgkmcnt(0)
	s_lshl_b64 s[20:21], s[20:21], 2
	s_barrier
	s_add_u32 s19, s17, s20
	s_addc_u32 s20, s16, s21
	v_add_co_u32 v59, vcc_lo, s19, v10
	v_add_co_ci_u32_e32 v60, vcc_lo, s20, v11, vcc_lo
	v_add_co_u32 v61, vcc_lo, s19, v12
	v_add_co_ci_u32_e32 v62, vcc_lo, s20, v13, vcc_lo
	s_delay_alu instid0(VALU_DEP_4) | instskip(NEXT) | instid1(VALU_DEP_4)
	v_add_co_u32 v59, vcc_lo, v59, v46
	v_add_co_ci_u32_e32 v60, vcc_lo, 0, v60, vcc_lo
	s_delay_alu instid0(VALU_DEP_4) | instskip(NEXT) | instid1(VALU_DEP_4)
	v_add_co_u32 v63, vcc_lo, v61, v46
	v_add_co_ci_u32_e32 v64, vcc_lo, 0, v62, vcc_lo
	v_add_co_u32 v61, vcc_lo, s19, v14
	v_add_co_ci_u32_e32 v62, vcc_lo, s20, v15, vcc_lo
	v_add_co_u32 v65, vcc_lo, s19, v16
	v_add_co_ci_u32_e32 v66, vcc_lo, s20, v17, vcc_lo
	s_delay_alu instid0(VALU_DEP_4) | instskip(NEXT) | instid1(VALU_DEP_4)
	v_add_co_u32 v67, vcc_lo, v61, v46
	v_add_co_ci_u32_e32 v68, vcc_lo, 0, v62, vcc_lo
	s_delay_alu instid0(VALU_DEP_4) | instskip(NEXT) | instid1(VALU_DEP_4)
	v_add_co_u32 v71, vcc_lo, v65, v46
	v_add_co_ci_u32_e32 v72, vcc_lo, 0, v66, vcc_lo
	buffer_gl0_inv
	s_clause 0x3
	global_load_b128 v[59:62], v[59:60], off
	global_load_b128 v[63:66], v[63:64], off
	;; [unrolled: 1-line block ×4, first 2 shown]
	v_add_f32_e32 v58, v0, v58
	s_delay_alu instid0(VALU_DEP_1) | instskip(NEXT) | instid1(VALU_DEP_1)
	v_dual_max_f32 v0, v51, v51 :: v_dual_add_f32 v75, 0x40051340, v58
	v_max_f32_e32 v0, v0, v75
	ds_bpermute_b32 v1, v1, v0
	s_waitcnt lgkmcnt(0)
	v_max_f32_e32 v1, v1, v1
	s_delay_alu instid0(VALU_DEP_1) | instskip(SKIP_4) | instid1(VALU_DEP_1)
	v_max_f32_e32 v0, v0, v1
	ds_bpermute_b32 v1, v52, v0
	v_max_f32_e32 v52, v57, v57
	s_waitcnt lgkmcnt(0)
	v_max_f32_e32 v1, v1, v1
	v_max_f32_e32 v0, v0, v1
	ds_bpermute_b32 v1, v53, v0
	v_max_f32_e32 v53, v55, v55
	s_waitcnt lgkmcnt(0)
	v_max_f32_e32 v1, v1, v1
	s_delay_alu instid0(VALU_DEP_1) | instskip(SKIP_3) | instid1(VALU_DEP_1)
	v_max_f32_e32 v0, v0, v1
	ds_bpermute_b32 v1, v54, v0
	s_waitcnt lgkmcnt(0)
	v_max_f32_e32 v1, v1, v1
	v_max_f32_e32 v1, v0, v1
	ds_bpermute_b32 v0, v56, v1
	s_waitcnt lgkmcnt(0)
	v_max_f32_e32 v54, v0, v0
	v_max_f32_e32 v0, v53, v52
	s_delay_alu instid0(VALU_DEP_1) | instskip(NEXT) | instid1(VALU_DEP_1)
	v_dual_max_f32 v1, v1, v54 :: v_dual_sub_f32 v32, v32, v0
	v_mul_f32_e32 v53, 0x3fb8aa3b, v32
	v_cmp_ngt_f32_e32 vcc_lo, 0xc2ce8ed0, v32
	s_delay_alu instid0(VALU_DEP_2) | instskip(SKIP_1) | instid1(VALU_DEP_2)
	v_fma_f32 v55, 0x3fb8aa3b, v32, -v53
	v_rndne_f32_e32 v56, v53
	v_dual_sub_f32 v52, v58, v1 :: v_dual_fmac_f32 v55, 0x32a5705f, v32
	s_delay_alu instid0(VALU_DEP_2) | instskip(NEXT) | instid1(VALU_DEP_2)
	v_sub_f32_e32 v53, v53, v56
	v_mul_f32_e32 v54, 0x3fb8aa3b, v52
	v_cvt_i32_f32_e32 v56, v56
	s_delay_alu instid0(VALU_DEP_3) | instskip(NEXT) | instid1(VALU_DEP_3)
	v_add_f32_e32 v53, v53, v55
	v_fma_f32 v57, 0x3fb8aa3b, v52, -v54
	v_rndne_f32_e32 v58, v54
	v_sub_f32_e32 v55, v50, v0
	s_delay_alu instid0(VALU_DEP_4) | instskip(NEXT) | instid1(VALU_DEP_2)
	v_exp_f32_e32 v53, v53
	v_dual_fmac_f32 v57, 0x32a5705f, v52 :: v_dual_sub_f32 v54, v54, v58
	v_cvt_i32_f32_e32 v58, v58
	s_waitcnt_depctr 0xfff
	v_ldexp_f32 v53, v53, v56
	v_sub_f32_e32 v56, v51, v1
	v_add_f32_e32 v50, v54, v57
	s_delay_alu instid0(VALU_DEP_3) | instskip(SKIP_1) | instid1(VALU_DEP_2)
	v_dual_mul_f32 v54, 0x3fb8aa3b, v55 :: v_dual_cndmask_b32 v51, 0, v53
	v_cmp_ngt_f32_e32 vcc_lo, 0xc2ce8ed0, v52
	v_fma_f32 v57, 0x3fb8aa3b, v55, -v54
	v_rndne_f32_e32 v75, v54
	s_delay_alu instid0(VALU_DEP_2) | instskip(SKIP_3) | instid1(VALU_DEP_1)
	v_fmac_f32_e32 v57, 0x32a5705f, v55
	v_exp_f32_e32 v50, v50
	s_waitcnt_depctr 0xfff
	v_ldexp_f32 v50, v50, v58
	v_dual_mul_f32 v53, 0x3fb8aa3b, v56 :: v_dual_cndmask_b32 v50, 0, v50
	v_cmp_nlt_f32_e32 vcc_lo, 0x42b17218, v32
	s_delay_alu instid0(VALU_DEP_2) | instskip(SKIP_2) | instid1(VALU_DEP_3)
	v_rndne_f32_e32 v77, v53
	v_cndmask_b32_e32 v76, 0x7f800000, v51, vcc_lo
	v_fma_f32 v51, 0x3fb8aa3b, v56, -v53
	v_sub_f32_e32 v53, v53, v77
	v_cmp_nlt_f32_e32 vcc_lo, 0x42b17218, v52
	s_delay_alu instid0(VALU_DEP_4) | instskip(NEXT) | instid1(VALU_DEP_4)
	v_cvt_f16_f32_e32 v52, v76
	v_fmac_f32_e32 v51, 0x32a5705f, v56
	v_cndmask_b32_e32 v32, 0x7f800000, v50, vcc_lo
	v_sub_f32_e32 v50, v54, v75
	v_cmp_ngt_f32_e32 vcc_lo, 0xc2ce8ed0, v55
	s_delay_alu instid0(VALU_DEP_2) | instskip(NEXT) | instid1(VALU_DEP_4)
	v_dual_add_f32 v50, v50, v57 :: v_dual_add_f32 v51, v53, v51
	v_cvt_f16_f32_e32 v54, v32
	s_delay_alu instid0(VALU_DEP_2) | instskip(NEXT) | instid1(VALU_DEP_1)
	v_exp_f32_e32 v57, v50
	v_pack_b32_f16 v52, v52, v54
	v_cvt_i32_f32_e32 v54, v75
	v_exp_f32_e32 v75, v51
	ds_store_b32 v47, v52
	s_waitcnt vmcnt(3)
	ds_store_b128 v38, v[59:62]
	s_waitcnt vmcnt(2)
	ds_store_b128 v42, v[63:66]
	;; [unrolled: 2-line block ×4, first 2 shown]
	v_cvt_i32_f32_e32 v60, v77
	v_ldexp_f32 v54, v57, v54
	s_waitcnt lgkmcnt(0)
	s_barrier
	buffer_gl0_inv
	ds_load_2addr_b32 v[58:59], v23 offset1:32
	ds_load_b128 v[50:53], v36
	v_ldexp_f32 v57, v75, v60
	v_cndmask_b32_e32 v54, 0, v54, vcc_lo
	v_cmp_ngt_f32_e32 vcc_lo, 0xc2ce8ed0, v56
	ds_load_2addr_b32 v[60:61], v23 offset0:64 offset1:96
	ds_load_2addr_b32 v[62:63], v23 offset0:128 offset1:160
	v_dual_cndmask_b32 v57, 0, v57 :: v_dual_add_nc_u32 v70, 0x400, v23
	v_cmp_nlt_f32_e32 vcc_lo, 0x42b17218, v55
	v_cndmask_b32_e32 v68, 0x7f800000, v54, vcc_lo
	v_cmp_nlt_f32_e32 vcc_lo, 0x42b17218, v56
	s_delay_alu instid0(VALU_DEP_2)
	v_cvt_f16_f32_e32 v64, v68
	v_cndmask_b32_e32 v69, 0x7f800000, v57, vcc_lo
	s_waitcnt lgkmcnt(2)
	v_pk_mul_f16 v65, v58, v50 op_sel_hi:[1,0]
	v_pk_mul_f16 v50, v58, v50 op_sel:[0,1]
	ds_load_b128 v[54:57], v36 offset:16
	v_fma_f32 v27, v27, v68, v76
	v_cvt_f16_f32_e32 v66, v69
	v_pk_fma_f16 v26, v64, v26, v65 op_sel_hi:[0,1,1]
	ds_load_2addr_b32 v[64:65], v23 offset0:192 offset1:224
	v_fmac_f32_e32 v32, v49, v69
	v_pk_fma_f16 v24, v24, v66, v50 op_sel_hi:[1,0,1]
	v_pk_fma_f16 v26, v59, v51, v26 op_sel_hi:[1,0,1]
	ds_load_2addr_b32 v[66:67], v70 offset1:32
	v_pk_fma_f16 v24, v59, v51, v24 op_sel:[0,1,0]
	s_waitcnt lgkmcnt(4)
	v_pk_fma_f16 v26, v60, v52, v26 op_sel_hi:[1,0,1]
	s_delay_alu instid0(VALU_DEP_2) | instskip(NEXT) | instid1(VALU_DEP_2)
	v_pk_fma_f16 v24, v60, v52, v24 op_sel:[0,1,0]
	v_pk_fma_f16 v26, v61, v53, v26 op_sel_hi:[1,0,1]
	s_delay_alu instid0(VALU_DEP_2)
	v_pk_fma_f16 v24, v61, v53, v24 op_sel:[0,1,0]
	ds_load_b128 v[50:53], v36 offset:32
	s_waitcnt lgkmcnt(3)
	v_pk_fma_f16 v26, v62, v54, v26 op_sel_hi:[1,0,1]
	ds_load_b128 v[58:61], v36 offset:48
	v_pk_fma_f16 v24, v62, v54, v24 op_sel:[0,1,0]
	v_pk_fma_f16 v26, v63, v55, v26 op_sel_hi:[1,0,1]
	s_delay_alu instid0(VALU_DEP_2)
	v_pk_fma_f16 v24, v63, v55, v24 op_sel:[0,1,0]
	ds_load_2addr_b32 v[54:55], v70 offset0:64 offset1:96
	s_waitcnt lgkmcnt(4)
	v_pk_fma_f16 v26, v64, v56, v26 op_sel_hi:[1,0,1]
	ds_load_2addr_b32 v[62:63], v70 offset0:192 offset1:224
	v_pk_fma_f16 v24, v64, v56, v24 op_sel:[0,1,0]
	v_pk_fma_f16 v26, v65, v57, v26 op_sel_hi:[1,0,1]
	s_delay_alu instid0(VALU_DEP_2)
	v_pk_fma_f16 v24, v65, v57, v24 op_sel:[0,1,0]
	ds_load_2addr_b32 v[56:57], v70 offset0:128 offset1:160
	s_waitcnt lgkmcnt(4)
	v_pk_fma_f16 v26, v66, v50, v26 op_sel_hi:[1,0,1]
	v_pk_fma_f16 v24, v66, v50, v24 op_sel:[0,1,0]
	v_add_nc_u32_e32 v66, 0x800, v23
	s_delay_alu instid0(VALU_DEP_3) | instskip(NEXT) | instid1(VALU_DEP_3)
	v_pk_fma_f16 v26, v67, v51, v26 op_sel_hi:[1,0,1]
	v_pk_fma_f16 v24, v67, v51, v24 op_sel:[0,1,0]
	ds_load_2addr_b32 v[64:65], v66 offset1:32
	s_waitcnt lgkmcnt(3)
	v_pk_fma_f16 v26, v54, v52, v26 op_sel_hi:[1,0,1]
	v_pk_fma_f16 v24, v54, v52, v24 op_sel:[0,1,0]
	s_delay_alu instid0(VALU_DEP_2) | instskip(NEXT) | instid1(VALU_DEP_2)
	v_pk_fma_f16 v26, v55, v53, v26 op_sel_hi:[1,0,1]
	v_pk_fma_f16 v24, v55, v53, v24 op_sel:[0,1,0]
	ds_load_b128 v[50:53], v36 offset:64
	s_waitcnt lgkmcnt(2)
	v_pk_fma_f16 v26, v56, v58, v26 op_sel_hi:[1,0,1]
	v_pk_fma_f16 v24, v56, v58, v24 op_sel:[0,1,0]
	s_delay_alu instid0(VALU_DEP_2) | instskip(NEXT) | instid1(VALU_DEP_2)
	v_pk_fma_f16 v26, v57, v59, v26 op_sel_hi:[1,0,1]
	v_pk_fma_f16 v24, v57, v59, v24 op_sel:[0,1,0]
	ds_load_2addr_b32 v[58:59], v66 offset0:64 offset1:96
	v_pk_fma_f16 v26, v62, v60, v26 op_sel_hi:[1,0,1]
	v_pk_fma_f16 v24, v62, v60, v24 op_sel:[0,1,0]
	s_delay_alu instid0(VALU_DEP_2) | instskip(NEXT) | instid1(VALU_DEP_2)
	v_pk_fma_f16 v26, v63, v61, v26 op_sel_hi:[1,0,1]
	v_pk_fma_f16 v24, v63, v61, v24 op_sel:[0,1,0]
	ds_load_2addr_b32 v[60:61], v66 offset0:128 offset1:160
	ds_load_b128 v[54:57], v36 offset:80
	s_waitcnt lgkmcnt(3)
	v_pk_fma_f16 v26, v64, v50, v26 op_sel_hi:[1,0,1]
	ds_load_2addr_b32 v[62:63], v66 offset0:192 offset1:224
	v_pk_fma_f16 v24, v64, v50, v24 op_sel:[0,1,0]
	v_add_nc_u32_e32 v64, 0xc00, v23
	v_pk_fma_f16 v26, v65, v51, v26 op_sel_hi:[1,0,1]
	s_delay_alu instid0(VALU_DEP_3) | instskip(SKIP_1) | instid1(VALU_DEP_2)
	v_pk_fma_f16 v24, v65, v51, v24 op_sel:[0,1,0]
	s_waitcnt lgkmcnt(3)
	v_pk_fma_f16 v26, v58, v52, v26 op_sel_hi:[1,0,1]
	s_delay_alu instid0(VALU_DEP_2) | instskip(NEXT) | instid1(VALU_DEP_2)
	v_pk_fma_f16 v24, v58, v52, v24 op_sel:[0,1,0]
	v_pk_fma_f16 v26, v59, v53, v26 op_sel_hi:[1,0,1]
	s_delay_alu instid0(VALU_DEP_2)
	v_pk_fma_f16 v24, v59, v53, v24 op_sel:[0,1,0]
	ds_load_2addr_b32 v[58:59], v64 offset1:32
	s_waitcnt lgkmcnt(2)
	v_pk_fma_f16 v26, v60, v54, v26 op_sel_hi:[1,0,1]
	ds_load_b128 v[50:53], v36 offset:96
	v_pk_fma_f16 v24, v60, v54, v24 op_sel:[0,1,0]
	v_pk_fma_f16 v26, v61, v55, v26 op_sel_hi:[1,0,1]
	s_delay_alu instid0(VALU_DEP_2) | instskip(SKIP_4) | instid1(VALU_DEP_2)
	v_pk_fma_f16 v24, v61, v55, v24 op_sel:[0,1,0]
	ds_load_2addr_b32 v[60:61], v64 offset0:64 offset1:96
	s_waitcnt lgkmcnt(3)
	v_pk_fma_f16 v26, v62, v56, v26 op_sel_hi:[1,0,1]
	v_pk_fma_f16 v24, v62, v56, v24 op_sel:[0,1,0]
	v_pk_fma_f16 v26, v63, v57, v26 op_sel_hi:[1,0,1]
	s_delay_alu instid0(VALU_DEP_2)
	v_pk_fma_f16 v24, v63, v57, v24 op_sel:[0,1,0]
	ds_load_2addr_b32 v[62:63], v64 offset0:128 offset1:160
	ds_load_b128 v[54:57], v36 offset:112
	s_waitcnt lgkmcnt(3)
	v_pk_fma_f16 v26, v58, v50, v26 op_sel_hi:[1,0,1]
	v_pk_fma_f16 v24, v58, v50, v24 op_sel:[0,1,0]
	s_delay_alu instid0(VALU_DEP_2) | instskip(NEXT) | instid1(VALU_DEP_2)
	v_pk_fma_f16 v26, v59, v51, v26 op_sel_hi:[1,0,1]
	v_pk_fma_f16 v24, v59, v51, v24 op_sel:[0,1,0]
	ds_load_2addr_b32 v[50:51], v64 offset0:192 offset1:224
	s_waitcnt lgkmcnt(0)
	v_pk_fma_f16 v26, v60, v52, v26 op_sel_hi:[1,0,1]
	s_barrier
	v_pk_fma_f16 v24, v60, v52, v24 op_sel:[0,1,0]
	buffer_gl0_inv
	s_load_b32 s19, s[2:3], 0x4
	v_pk_fma_f16 v26, v61, v53, v26 op_sel_hi:[1,0,1]
	v_pk_fma_f16 v24, v61, v53, v24 op_sel:[0,1,0]
	s_delay_alu instid0(VALU_DEP_2) | instskip(NEXT) | instid1(VALU_DEP_2)
	v_pk_fma_f16 v26, v62, v54, v26 op_sel_hi:[1,0,1]
	v_pk_fma_f16 v24, v62, v54, v24 op_sel:[0,1,0]
	s_delay_alu instid0(VALU_DEP_2) | instskip(NEXT) | instid1(VALU_DEP_2)
	;; [unrolled: 3-line block ×3, first 2 shown]
	v_pk_fma_f16 v26, v50, v56, v26 op_sel_hi:[1,0,1]
	v_pk_fma_f16 v24, v50, v56, v24 op_sel:[0,1,0]
	s_waitcnt lgkmcnt(0)
	s_lshl_b32 s19, s19, 5
	s_delay_alu instid0(VALU_DEP_2)
	v_pk_fma_f16 v26, v51, v57, v26 op_sel_hi:[1,0,1]
	s_add_i32 s18, s19, s18
	v_pk_fma_f16 v24, v51, v57, v24 op_sel:[0,1,0]
	s_cmp_lt_i32 s18, s6
	s_cbranch_scc0 .LBB65_16
; %bb.14:                               ;   in Loop: Header=BB65_8 Depth=1
	v_dual_mov_b32 v50, v0 :: v_dual_mov_b32 v51, v1
	v_mov_b32_e32 v49, v32
	s_branch .LBB65_8
.LBB65_15:
	s_mov_b32 s27, s26
	s_delay_alu instid0(SALU_CYCLE_1)
	v_dual_mov_b32 v0, s26 :: v_dual_mov_b32 v1, s27
	v_dual_mov_b32 v27, 0 :: v_dual_mov_b32 v24, 0
.LBB65_16:
	v_lshlrev_b32_e32 v8, 1, v21
	s_cmp_gt_i32 s42, s18
	s_cbranch_scc1 .LBB65_18
; %bb.17:
	v_mbcnt_lo_u32_b32 v2, -1, 0
	v_mov_b32_e32 v14, 32
	s_delay_alu instid0(VALU_DEP_2)
	v_xor_b32_e32 v11, 16, v2
	v_xor_b32_e32 v10, 8, v2
	;; [unrolled: 1-line block ×5, first 2 shown]
	s_cbranch_execz .LBB65_19
	s_branch .LBB65_30
.LBB65_18:
                                        ; implicit-def: $vgpr2
                                        ; implicit-def: $vgpr14
                                        ; implicit-def: $vgpr11
                                        ; implicit-def: $vgpr10
                                        ; implicit-def: $vgpr12
                                        ; implicit-def: $vgpr13
                                        ; implicit-def: $vgpr15
.LBB65_19:
	v_lshl_add_u32 v5, v28, 2, v33
	s_mov_b32 s36, 0
	s_mul_hi_i32 s3, s18, s23
	s_mul_i32 s2, s18, s23
	s_mov_b32 s37, s36
	v_mul_lo_u32 v2, s23, v5
	s_mov_b32 s38, s36
	v_dual_mov_b32 v33, s36 :: v_dual_and_b32 v4, 28, v23
	s_lshl_b64 s[2:3], s[2:3], 2
	s_sub_i32 s19, s42, s18
	s_mov_b64 s[6:7], src_private_base
	s_add_u32 s6, s4, s2
	s_delay_alu instid0(VALU_DEP_2) | instskip(SKIP_3) | instid1(VALU_DEP_3)
	v_ashrrev_i32_e32 v3, 31, v2
	s_addc_u32 s5, s5, s3
	v_dual_mov_b32 v35, s38 :: v_dual_lshlrev_b32 v4, 2, v4
	v_cmp_gt_i32_e64 s2, s19, v5
	v_lshlrev_b64 v[6:7], 2, v[2:3]
	v_mov_b32_e32 v16, 0
	v_mov_b32_e32 v34, s37
	s_clause 0x1
	scratch_store_b32 off, v16, off
	scratch_store_b96 off, v[33:35], off offset:4
	v_add_co_u32 v3, vcc_lo, s6, v6
	v_add_co_ci_u32_e32 v6, vcc_lo, s5, v7, vcc_lo
	s_lshl_b32 s20, s23, 3
	s_delay_alu instid0(VALU_DEP_2) | instskip(NEXT) | instid1(VALU_DEP_2)
	v_add_co_u32 v3, vcc_lo, v3, v4
	v_add_co_ci_u32_e32 v6, vcc_lo, 0, v6, vcc_lo
	v_add_nc_u32_e32 v2, s20, v2
	v_mad_u32_u24 v17, 0x90, v5, v4
	s_cmp_lg_u64 s[40:41], 0
	s_delay_alu instid0(VALU_DEP_3)
	v_cndmask_b32_e64 v7, s7, v6, s2
	v_cndmask_b32_e64 v6, 0, v3, s2
	v_ashrrev_i32_e32 v3, 31, v2
	flat_load_b128 v[9:12], v[6:7]
	v_lshlrev_b64 v[6:7], 2, v[2:3]
	v_add_nc_u32_e32 v2, s20, v2
	s_delay_alu instid0(VALU_DEP_2) | instskip(NEXT) | instid1(VALU_DEP_3)
	v_add_co_u32 v3, vcc_lo, s6, v6
	v_add_co_ci_u32_e32 v6, vcc_lo, s5, v7, vcc_lo
	v_add_nc_u32_e32 v7, 8, v5
	s_delay_alu instid0(VALU_DEP_3) | instskip(NEXT) | instid1(VALU_DEP_3)
	v_add_co_u32 v3, vcc_lo, v3, v4
	v_add_co_ci_u32_e32 v6, vcc_lo, 0, v6, vcc_lo
	s_delay_alu instid0(VALU_DEP_3)
	v_cmp_gt_i32_e64 s3, s19, v7
	s_clause 0x1
	scratch_store_b32 off, v16, off
	scratch_store_b96 off, v[33:35], off offset:4
	v_cndmask_b32_e64 v14, s7, v6, s3
	v_cndmask_b32_e64 v13, 0, v3, s3
	v_ashrrev_i32_e32 v3, 31, v2
	s_waitcnt vmcnt(0) lgkmcnt(0)
	ds_store_b128 v17, v[9:12]
	flat_load_b128 v[10:13], v[13:14]
	v_lshlrev_b64 v[14:15], 2, v[2:3]
	v_add_nc_u32_e32 v9, 16, v5
	s_clause 0x1
	scratch_store_b32 off, v16, off
	scratch_store_b96 off, v[33:35], off offset:4
	v_add_nc_u32_e32 v2, s20, v2
	s_cselect_b32 s20, -1, 0
	v_add_co_u32 v3, vcc_lo, s6, v14
	v_add_co_ci_u32_e32 v6, vcc_lo, s5, v15, vcc_lo
	v_cmp_gt_i32_e64 s4, s19, v9
	s_delay_alu instid0(VALU_DEP_3) | instskip(NEXT) | instid1(VALU_DEP_3)
	v_add_co_u32 v3, vcc_lo, v3, v4
	v_add_co_ci_u32_e32 v6, vcc_lo, 0, v6, vcc_lo
	s_delay_alu instid0(VALU_DEP_2) | instskip(SKIP_1) | instid1(VALU_DEP_3)
	v_cndmask_b32_e64 v14, 0, v3, s4
	v_ashrrev_i32_e32 v3, 31, v2
	v_cndmask_b32_e64 v15, s7, v6, s4
	v_add_nc_u32_e32 v6, 24, v5
	s_delay_alu instid0(VALU_DEP_3) | instskip(NEXT) | instid1(VALU_DEP_1)
	v_lshlrev_b64 v[2:3], 2, v[2:3]
	v_add_co_u32 v2, vcc_lo, s6, v2
	s_delay_alu instid0(VALU_DEP_2) | instskip(NEXT) | instid1(VALU_DEP_4)
	v_add_co_ci_u32_e32 v3, vcc_lo, s5, v3, vcc_lo
	v_cmp_gt_i32_e64 s5, s19, v6
	s_delay_alu instid0(VALU_DEP_3) | instskip(NEXT) | instid1(VALU_DEP_3)
	v_add_co_u32 v2, vcc_lo, v2, v4
	v_add_co_ci_u32_e32 v3, vcc_lo, 0, v3, vcc_lo
	v_cmp_gt_i32_e64 s6, s19, v21
	s_delay_alu instid0(VALU_DEP_3) | instskip(NEXT) | instid1(VALU_DEP_3)
	v_cndmask_b32_e64 v2, 0, v2, s5
	v_cndmask_b32_e64 v3, s7, v3, s5
	s_waitcnt vmcnt(0) lgkmcnt(0)
	ds_store_b128 v17, v[10:13] offset:1152
	flat_load_b128 v[10:13], v[14:15]
	s_clause 0x1
	scratch_store_b32 off, v16, off
	scratch_store_b96 off, v[33:35], off offset:4
	s_waitcnt vmcnt(0) lgkmcnt(0)
	ds_store_b128 v17, v[10:13] offset:2304
	flat_load_b128 v[10:13], v[2:3]
	v_lshlrev_b32_e32 v2, 8, v28
	v_add_nc_u32_e32 v3, s18, v21
	s_waitcnt vmcnt(0) lgkmcnt(0)
	ds_store_b128 v17, v[10:13] offset:3456
	s_waitcnt lgkmcnt(0)
	s_waitcnt_vscnt null, 0x0
	s_barrier
	buffer_gl0_inv
	ds_load_b128 v[10:13], v31
	ds_load_b128 v[33:36], v2 offset:4608
	ds_load_b128 v[37:40], v2 offset:4736
	v_mov_b32_e32 v17, 0
	s_waitcnt lgkmcnt(1)
	;;#ASMSTART
	v_dot2_f32_f16 v17, v10, v33, v17
	;;#ASMEND
	;;#ASMSTART
	v_dot2_f32_f16 v17, v11, v34, v17
	;;#ASMEND
	;;#ASMSTART
	v_dot2_f32_f16 v17, v12, v35, v17
	;;#ASMEND
	;;#ASMSTART
	v_dot2_f32_f16 v17, v13, v36, v17
	;;#ASMEND
	s_waitcnt lgkmcnt(0)
	;;#ASMSTART
	v_dot2_f32_f16 v16, v10, v37, v16
	;;#ASMEND
	;;#ASMSTART
	v_dot2_f32_f16 v16, v11, v38, v16
	;;#ASMEND
	;;#ASMSTART
	v_dot2_f32_f16 v16, v12, v39, v16
	;;#ASMEND
	;;#ASMSTART
	v_dot2_f32_f16 v16, v13, v40, v16
	;;#ASMEND
	ds_load_b128 v[10:13], v31 offset:16
	ds_load_b128 v[33:36], v2 offset:4624
	ds_load_b128 v[37:40], v2 offset:4752
	s_waitcnt lgkmcnt(1)
	;;#ASMSTART
	v_dot2_f32_f16 v17, v10, v33, v17
	;;#ASMEND
	;;#ASMSTART
	v_dot2_f32_f16 v17, v11, v34, v17
	;;#ASMEND
	;;#ASMSTART
	v_dot2_f32_f16 v17, v12, v35, v17
	;;#ASMEND
	;;#ASMSTART
	v_dot2_f32_f16 v17, v13, v36, v17
	;;#ASMEND
	s_waitcnt lgkmcnt(0)
	;;#ASMSTART
	v_dot2_f32_f16 v16, v10, v37, v16
	;;#ASMEND
	;;#ASMSTART
	v_dot2_f32_f16 v16, v11, v38, v16
	;;#ASMEND
	;;#ASMSTART
	v_dot2_f32_f16 v16, v12, v39, v16
	;;#ASMEND
	;;#ASMSTART
	v_dot2_f32_f16 v16, v13, v40, v16
	;;#ASMEND
	ds_load_b128 v[10:13], v31 offset:32
	ds_load_b128 v[33:36], v2 offset:4640
	ds_load_b128 v[37:40], v2 offset:4768
	;; [unrolled: 29-line block ×7, first 2 shown]
	v_mov_b32_e32 v2, v0
	s_waitcnt lgkmcnt(1)
	;;#ASMSTART
	v_dot2_f32_f16 v17, v10, v33, v17
	;;#ASMEND
	v_cndmask_b32_e64 v31, 0, 1, s20
	;;#ASMSTART
	v_dot2_f32_f16 v17, v11, v34, v17
	;;#ASMEND
	;;#ASMSTART
	v_dot2_f32_f16 v17, v12, v35, v17
	;;#ASMEND
	;; [unrolled: 3-line block ×3, first 2 shown]
	s_waitcnt lgkmcnt(0)
	;;#ASMSTART
	v_dot2_f32_f16 v16, v10, v37, v16
	;;#ASMEND
	;;#ASMSTART
	v_dot2_f32_f16 v16, v11, v38, v16
	;;#ASMEND
	;; [unrolled: 3-line block ×4, first 2 shown]
	s_and_saveexec_b32 s7, s6
	s_cbranch_execz .LBB65_24
; %bb.20:
	s_and_not1_b32 vcc_lo, exec_lo, s20
	s_cbranch_vccnz .LBB65_22
; %bb.21:
	v_mad_u64_u32 v[10:11], null, v30, s22, v[3:4]
	s_delay_alu instid0(VALU_DEP_1) | instskip(NEXT) | instid1(VALU_DEP_1)
	v_ashrrev_i32_e32 v11, 31, v10
	v_lshlrev_b64 v[10:11], 1, v[10:11]
	s_delay_alu instid0(VALU_DEP_1) | instskip(NEXT) | instid1(VALU_DEP_2)
	v_add_co_u32 v10, vcc_lo, s40, v10
	v_add_co_ci_u32_e32 v11, vcc_lo, s41, v11, vcc_lo
	flat_load_u16 v2, v[10:11]
	s_waitcnt vmcnt(0) lgkmcnt(0)
	v_cvt_f32_f16_e32 v2, v2
	s_delay_alu instid0(VALU_DEP_1)
	v_mul_f32_e32 v2, v29, v2
	s_branch .LBB65_23
.LBB65_22:
	v_mov_b32_e32 v2, 0
.LBB65_23:
	s_delay_alu instid0(VALU_DEP_1) | instskip(NEXT) | instid1(VALU_DEP_1)
	v_dual_add_f32 v17, v17, v2 :: v_dual_max_f32 v10, v0, v0
	v_add_f32_e32 v2, 0x40051340, v17
	s_delay_alu instid0(VALU_DEP_1)
	v_max_f32_e32 v2, v10, v2
.LBB65_24:
	s_or_b32 exec_lo, exec_lo, s7
	v_xor_b32_e32 v11, 16, v25
	s_delay_alu instid0(VALU_DEP_1) | instskip(SKIP_1) | instid1(VALU_DEP_1)
	v_cmp_gt_i32_e32 vcc_lo, 32, v11
	v_cndmask_b32_e32 v10, v25, v11, vcc_lo
	v_lshlrev_b32_e32 v30, 2, v10
	v_xor_b32_e32 v10, 8, v25
	ds_bpermute_b32 v12, v30, v2
	v_cmp_gt_i32_e32 vcc_lo, 32, v10
	v_max_f32_e32 v2, v2, v2
	s_waitcnt lgkmcnt(0)
	v_dual_cndmask_b32 v13, v25, v10 :: v_dual_max_f32 v12, v12, v12
	s_delay_alu instid0(VALU_DEP_1)
	v_dual_max_f32 v2, v2, v12 :: v_dual_lshlrev_b32 v33, 2, v13
	v_xor_b32_e32 v12, 4, v25
	ds_bpermute_b32 v13, v33, v2
	v_cmp_gt_i32_e32 vcc_lo, 32, v12
	v_cndmask_b32_e32 v14, v25, v12, vcc_lo
	s_waitcnt lgkmcnt(0)
	s_delay_alu instid0(VALU_DEP_1) | instskip(NEXT) | instid1(VALU_DEP_1)
	v_dual_max_f32 v13, v13, v13 :: v_dual_lshlrev_b32 v34, 2, v14
	v_max_f32_e32 v2, v2, v13
	v_xor_b32_e32 v13, 2, v25
	ds_bpermute_b32 v14, v34, v2
	v_cmp_gt_i32_e32 vcc_lo, 32, v13
	v_cndmask_b32_e32 v15, v25, v13, vcc_lo
	s_delay_alu instid0(VALU_DEP_1) | instskip(SKIP_1) | instid1(VALU_DEP_1)
	v_lshlrev_b32_e32 v35, 2, v15
	v_xor_b32_e32 v15, 1, v25
	v_cmp_gt_i32_e32 vcc_lo, 32, v15
	s_waitcnt lgkmcnt(0)
	v_max_f32_e32 v14, v14, v14
	v_cndmask_b32_e32 v36, v25, v15, vcc_lo
	s_delay_alu instid0(VALU_DEP_2) | instskip(NEXT) | instid1(VALU_DEP_2)
	v_max_f32_e32 v2, v2, v14
	v_lshlrev_b32_e32 v36, 2, v36
	ds_bpermute_b32 v14, v35, v2
	s_waitcnt lgkmcnt(0)
	v_max_f32_e32 v14, v14, v14
	s_delay_alu instid0(VALU_DEP_1) | instskip(SKIP_3) | instid1(VALU_DEP_1)
	v_max_f32_e32 v2, v2, v14
	ds_bpermute_b32 v14, v36, v2
	s_waitcnt lgkmcnt(0)
	v_dual_max_f32 v37, v14, v14 :: v_dual_mov_b32 v14, 32
	v_dual_max_f32 v2, v2, v37 :: v_dual_mov_b32 v37, v1
	s_and_saveexec_b32 s7, s6
	s_cbranch_execz .LBB65_29
; %bb.25:
	v_cmp_ne_u32_e32 vcc_lo, 1, v31
	s_cbranch_vccnz .LBB65_27
; %bb.26:
	v_or_b32_e32 v31, 1, v22
	s_delay_alu instid0(VALU_DEP_1) | instskip(NEXT) | instid1(VALU_DEP_1)
	v_mul_hi_u32 v37, s8, v31
	v_add_nc_u32_e32 v37, v31, v37
	s_delay_alu instid0(VALU_DEP_1) | instskip(NEXT) | instid1(VALU_DEP_1)
	v_lshrrev_b32_e32 v37, s9, v37
	v_mul_lo_u32 v37, v37, s10
	s_delay_alu instid0(VALU_DEP_1) | instskip(NEXT) | instid1(VALU_DEP_1)
	v_sub_nc_u32_e32 v31, v31, v37
	v_mad_u64_u32 v[37:38], null, v31, s22, v[3:4]
	s_delay_alu instid0(VALU_DEP_1) | instskip(NEXT) | instid1(VALU_DEP_1)
	v_ashrrev_i32_e32 v38, 31, v37
	v_lshlrev_b64 v[37:38], 1, v[37:38]
	s_delay_alu instid0(VALU_DEP_1) | instskip(NEXT) | instid1(VALU_DEP_2)
	v_add_co_u32 v37, vcc_lo, s40, v37
	v_add_co_ci_u32_e32 v38, vcc_lo, s41, v38, vcc_lo
	flat_load_u16 v3, v[37:38]
	s_waitcnt vmcnt(0) lgkmcnt(0)
	v_cvt_f32_f16_e32 v3, v3
	s_delay_alu instid0(VALU_DEP_1)
	v_mul_f32_e32 v3, v29, v3
	s_branch .LBB65_28
.LBB65_27:
	v_mov_b32_e32 v3, 0
.LBB65_28:
	s_delay_alu instid0(VALU_DEP_1) | instskip(NEXT) | instid1(VALU_DEP_1)
	v_dual_add_f32 v16, v16, v3 :: v_dual_max_f32 v29, v1, v1
	v_add_f32_e32 v3, 0x40051340, v16
	s_delay_alu instid0(VALU_DEP_1)
	v_max_f32_e32 v37, v29, v3
.LBB65_29:
	s_or_b32 exec_lo, exec_lo, s7
	ds_bpermute_b32 v3, v30, v37
	s_mov_b32 s20, 0
	v_lshlrev_b32_e32 v39, 7, v28
	s_mov_b32 s21, s20
	s_mov_b32 s22, s20
	s_mov_b64 s[6:7], src_private_base
	s_mul_hi_i32 s9, s18, s13
	s_mul_i32 s8, s18, s13
	s_waitcnt lgkmcnt(0)
	s_lshl_b64 s[8:9], s[8:9], 2
	s_barrier
	s_add_u32 s8, s17, s8
	s_addc_u32 s9, s16, s9
	buffer_gl0_inv
	v_lshl_or_b32 v7, v7, 7, v4
	v_lshl_or_b32 v9, v9, 7, v4
	v_sub_f32_e32 v30, v17, v2
	v_dual_max_f32 v29, v37, v37 :: v_dual_mov_b32 v38, 0
	v_max_f32_e32 v3, v3, v3
	s_delay_alu instid0(VALU_DEP_3) | instskip(NEXT) | instid1(VALU_DEP_2)
	v_cmp_ngt_f32_e32 vcc_lo, 0xc2ce8ed0, v30
	v_max_f32_e32 v3, v29, v3
	ds_bpermute_b32 v29, v33, v3
	s_waitcnt lgkmcnt(0)
	v_max_f32_e32 v29, v29, v29
	s_delay_alu instid0(VALU_DEP_1) | instskip(SKIP_3) | instid1(VALU_DEP_1)
	v_max_f32_e32 v3, v3, v29
	ds_bpermute_b32 v29, v34, v3
	s_waitcnt lgkmcnt(0)
	v_max_f32_e32 v29, v29, v29
	v_max_f32_e32 v3, v3, v29
	ds_bpermute_b32 v29, v35, v3
	s_waitcnt lgkmcnt(0)
	v_max_f32_e32 v29, v29, v29
	s_delay_alu instid0(VALU_DEP_1) | instskip(SKIP_4) | instid1(VALU_DEP_1)
	v_max_f32_e32 v3, v3, v29
	ds_bpermute_b32 v29, v36, v3
	v_add3_u32 v36, 0x1400, v39, v23
	s_waitcnt lgkmcnt(0)
	v_max_f32_e32 v29, v29, v29
	v_max_f32_e32 v3, v3, v29
	s_delay_alu instid0(VALU_DEP_1) | instskip(NEXT) | instid1(VALU_DEP_1)
	v_dual_sub_f32 v31, v16, v3 :: v_dual_mul_f32 v16, 0x3fb8aa3b, v30
	v_cmp_nlt_f32_e64 s6, 0x42b17218, v31
	s_delay_alu instid0(VALU_DEP_2) | instskip(SKIP_1) | instid1(VALU_DEP_1)
	v_fma_f32 v29, 0x3fb8aa3b, v30, -v16
	v_rndne_f32_e32 v33, v16
	v_dual_fmac_f32 v29, 0x32a5705f, v30 :: v_dual_sub_f32 v16, v16, v33
	s_delay_alu instid0(VALU_DEP_1) | instskip(NEXT) | instid1(VALU_DEP_1)
	v_dual_mul_f32 v17, 0x3fb8aa3b, v31 :: v_dual_add_f32 v16, v16, v29
	v_fma_f32 v34, 0x3fb8aa3b, v31, -v17
	v_rndne_f32_e32 v35, v17
	s_delay_alu instid0(VALU_DEP_3) | instskip(NEXT) | instid1(VALU_DEP_2)
	v_exp_f32_e32 v28, v16
	v_fmac_f32_e32 v34, 0x32a5705f, v31
	s_delay_alu instid0(VALU_DEP_2) | instskip(SKIP_2) | instid1(VALU_DEP_3)
	v_sub_f32_e32 v17, v17, v35
	v_mul_lo_u32 v16, s13, v5
	v_lshl_or_b32 v5, v5, 7, v4
	v_add_f32_e32 v17, v17, v34
	s_delay_alu instid0(VALU_DEP_1)
	v_exp_f32_e32 v29, v17
	v_cvt_i32_f32_e32 v17, v33
	v_cvt_i32_f32_e32 v33, v35
	s_delay_alu instid0(TRANS32_DEP_2) | instid1(VALU_DEP_2)
	v_ldexp_f32 v28, v28, v17
	v_ashrrev_i32_e32 v17, 31, v16
	s_waitcnt_depctr 0xfff
	v_ldexp_f32 v33, v29, v33
	v_cndmask_b32_e32 v34, 0, v28, vcc_lo
	v_cmp_ngt_f32_e32 vcc_lo, 0xc2ce8ed0, v31
	v_lshlrev_b64 v[28:29], 2, v[16:17]
	s_delay_alu instid0(VALU_DEP_4) | instskip(SKIP_1) | instid1(VALU_DEP_2)
	v_cndmask_b32_e32 v17, 0, v33, vcc_lo
	v_cmp_nlt_f32_e32 vcc_lo, 0x42b17218, v30
	v_cndmask_b32_e64 v17, 0x7f800000, v17, s6
	v_cndmask_b32_e32 v30, 0x7f800000, v34, vcc_lo
	v_cmp_gt_u32_e32 vcc_lo, s19, v21
	v_add_co_u32 v28, s6, s8, v28
	s_delay_alu instid0(VALU_DEP_1) | instskip(NEXT) | instid1(VALU_DEP_4)
	v_add_co_ci_u32_e64 v29, s6, s9, v29, s6
	v_dual_cndmask_b32 v40, 0, v30 :: v_dual_cndmask_b32 v41, 0, v17
	s_delay_alu instid0(VALU_DEP_3) | instskip(NEXT) | instid1(VALU_DEP_3)
	v_add_co_u32 v17, vcc_lo, v28, v4
	v_add_co_ci_u32_e32 v28, vcc_lo, 0, v29, vcc_lo
	s_delay_alu instid0(VALU_DEP_3) | instskip(NEXT) | instid1(VALU_DEP_4)
	v_cvt_f16_f32_e32 v30, v40
	v_cvt_f16_f32_e32 v31, v41
	v_dual_mov_b32 v35, s22 :: v_dual_mov_b32 v34, s21
	v_mov_b32_e32 v33, s20
	v_cndmask_b32_e64 v29, s7, v28, s2
	s_delay_alu instid0(VALU_DEP_4)
	v_pack_b32_f16 v30, v30, v31
	v_cndmask_b32_e64 v28, 0, v17, s2
	s_clause 0x1
	scratch_store_b32 off, v38, off
	scratch_store_b96 off, v[33:35], off offset:4
	s_lshl_b32 s2, s13, 3
	ds_store_b32 v36, v30
	flat_load_b128 v[28:31], v[28:29]
	v_add_nc_u32_e32 v16, s2, v16
	s_clause 0x1
	scratch_store_b32 off, v38, off
	scratch_store_b96 off, v[33:35], off offset:4
	v_ashrrev_i32_e32 v17, 31, v16
	s_delay_alu instid0(VALU_DEP_1) | instskip(SKIP_1) | instid1(VALU_DEP_2)
	v_lshlrev_b64 v[36:37], 2, v[16:17]
	v_add_nc_u32_e32 v16, s2, v16
	v_add_co_u32 v17, vcc_lo, s8, v36
	s_delay_alu instid0(VALU_DEP_3) | instskip(NEXT) | instid1(VALU_DEP_2)
	v_add_co_ci_u32_e32 v36, vcc_lo, s9, v37, vcc_lo
	v_add_co_u32 v17, vcc_lo, v17, v4
	s_delay_alu instid0(VALU_DEP_2) | instskip(NEXT) | instid1(VALU_DEP_1)
	v_add_co_ci_u32_e32 v36, vcc_lo, 0, v36, vcc_lo
	v_cndmask_b32_e64 v37, s7, v36, s3
	s_delay_alu instid0(VALU_DEP_3)
	v_cndmask_b32_e64 v36, 0, v17, s3
	v_ashrrev_i32_e32 v17, 31, v16
	s_waitcnt vmcnt(0) lgkmcnt(0)
	ds_store_b128 v5, v[28:31]
	flat_load_b128 v[28:31], v[36:37]
	v_lshlrev_b64 v[36:37], 2, v[16:17]
	s_clause 0x1
	scratch_store_b32 off, v38, off
	scratch_store_b96 off, v[33:35], off offset:4
	v_add_nc_u32_e32 v16, s2, v16
	v_add_co_u32 v5, vcc_lo, s8, v36
	v_add_co_ci_u32_e32 v17, vcc_lo, s9, v37, vcc_lo
	s_delay_alu instid0(VALU_DEP_2) | instskip(NEXT) | instid1(VALU_DEP_2)
	v_add_co_u32 v5, vcc_lo, v5, v4
	v_add_co_ci_u32_e32 v17, vcc_lo, 0, v17, vcc_lo
	s_delay_alu instid0(VALU_DEP_2) | instskip(NEXT) | instid1(VALU_DEP_2)
	v_cndmask_b32_e64 v36, 0, v5, s4
	v_cndmask_b32_e64 v37, s7, v17, s4
	v_ashrrev_i32_e32 v17, 31, v16
	s_delay_alu instid0(VALU_DEP_1) | instskip(NEXT) | instid1(VALU_DEP_1)
	v_lshlrev_b64 v[16:17], 2, v[16:17]
	v_add_co_u32 v5, vcc_lo, s8, v16
	s_waitcnt vmcnt(0) lgkmcnt(0)
	ds_store_b128 v7, v[28:31]
	flat_load_b128 v[28:31], v[36:37]
	v_add_co_ci_u32_e32 v7, vcc_lo, s9, v17, vcc_lo
	v_add_co_u32 v5, vcc_lo, v5, v4
	s_clause 0x1
	scratch_store_b32 off, v38, off
	scratch_store_b96 off, v[33:35], off offset:4
	v_add_co_ci_u32_e32 v7, vcc_lo, 0, v7, vcc_lo
	v_cndmask_b32_e64 v16, 0, v5, s5
	v_sub_f32_e32 v33, v1, v3
	v_lshl_or_b32 v4, v6, 7, v4
	s_delay_alu instid0(VALU_DEP_4) | instskip(NEXT) | instid1(VALU_DEP_3)
	v_cndmask_b32_e64 v17, s7, v7, s5
	v_mul_f32_e32 v1, 0x3fb8aa3b, v33
	s_waitcnt vmcnt(0) lgkmcnt(0)
	ds_store_b128 v9, v[28:31]
	flat_load_b128 v[28:31], v[16:17]
	v_sub_f32_e32 v9, v0, v2
	v_fma_f32 v16, 0x3fb8aa3b, v33, -v1
	v_rndne_f32_e32 v17, v1
	s_delay_alu instid0(VALU_DEP_3) | instskip(NEXT) | instid1(VALU_DEP_3)
	v_mul_f32_e32 v0, 0x3fb8aa3b, v9
	v_fmac_f32_e32 v16, 0x32a5705f, v33
	s_delay_alu instid0(VALU_DEP_3)
	v_sub_f32_e32 v1, v1, v17
	v_cvt_i32_f32_e32 v17, v17
	v_cmp_ngt_f32_e32 vcc_lo, 0xc2ce8ed0, v9
	v_fma_f32 v5, 0x3fb8aa3b, v9, -v0
	v_rndne_f32_e32 v7, v0
	v_add_f32_e32 v1, v1, v16
	s_delay_alu instid0(VALU_DEP_2) | instskip(SKIP_1) | instid1(VALU_DEP_3)
	v_dual_fmac_f32 v5, 0x32a5705f, v9 :: v_dual_sub_f32 v0, v0, v7
	v_cvt_i32_f32_e32 v16, v7
	v_exp_f32_e32 v35, v1
	s_delay_alu instid0(VALU_DEP_2) | instskip(NEXT) | instid1(VALU_DEP_1)
	v_add_f32_e32 v0, v0, v5
	v_exp_f32_e32 v34, v0
	s_waitcnt_depctr 0xfff
	v_ldexp_f32 v17, v35, v17
	v_ldexp_f32 v16, v34, v16
	s_delay_alu instid0(VALU_DEP_1)
	v_cndmask_b32_e32 v16, 0, v16, vcc_lo
	v_cmp_ngt_f32_e32 vcc_lo, 0xc2ce8ed0, v33
	s_waitcnt vmcnt(0) lgkmcnt(0)
	ds_store_b128 v4, v[28:31]
	s_waitcnt lgkmcnt(0)
	s_waitcnt_vscnt null, 0x0
	s_barrier
	buffer_gl0_inv
	ds_load_2addr_b32 v[0:1], v23 offset1:32
	ds_load_b128 v[4:7], v39 offset:5120
	v_cndmask_b32_e32 v28, 0, v17, vcc_lo
	v_cmp_nlt_f32_e32 vcc_lo, 0x42b17218, v9
	v_cndmask_b32_e32 v9, 0x7f800000, v16, vcc_lo
	ds_load_2addr_b32 v[16:17], v23 offset0:64 offset1:96
	v_fmac_f32_e32 v40, v27, v9
	v_cmp_nlt_f32_e32 vcc_lo, 0x42b17218, v33
	v_cvt_f16_f32_e32 v35, v9
	ds_load_2addr_b32 v[33:34], v23 offset0:128 offset1:160
	v_dual_mov_b32 v27, v40 :: v_dual_cndmask_b32 v42, 0x7f800000, v28
	ds_load_b128 v[28:31], v39 offset:5136
	s_waitcnt lgkmcnt(3)
	v_pk_mul_f16 v36, v0, v4 op_sel_hi:[1,0]
	v_pk_mul_f16 v0, v0, v4 op_sel:[0,1]
	v_cvt_f16_f32_e32 v37, v42
	s_delay_alu instid0(VALU_DEP_3) | instskip(NEXT) | instid1(VALU_DEP_2)
	v_pk_fma_f16 v4, v35, v26, v36 op_sel_hi:[0,1,1]
	v_pk_fma_f16 v0, v24, v37, v0 op_sel_hi:[1,0,1]
	v_add_nc_u32_e32 v24, 0x400, v23
	s_delay_alu instid0(VALU_DEP_3) | instskip(SKIP_1) | instid1(VALU_DEP_4)
	v_pk_fma_f16 v4, v1, v5, v4 op_sel_hi:[1,0,1]
	v_fmac_f32_e32 v41, v32, v42
	v_pk_fma_f16 v5, v1, v5, v0 op_sel:[0,1,0]
	ds_load_2addr_b32 v[0:1], v23 offset0:192 offset1:224
	s_waitcnt lgkmcnt(3)
	v_pk_fma_f16 v4, v16, v6, v4 op_sel_hi:[1,0,1]
	ds_load_2addr_b32 v[37:38], v24 offset1:32
	v_mov_b32_e32 v32, v41
	v_pk_fma_f16 v5, v16, v6, v5 op_sel:[0,1,0]
	v_pk_fma_f16 v4, v17, v7, v4 op_sel_hi:[1,0,1]
	s_delay_alu instid0(VALU_DEP_2) | instskip(SKIP_1) | instid1(VALU_DEP_2)
	v_pk_fma_f16 v16, v17, v7, v5 op_sel:[0,1,0]
	s_waitcnt lgkmcnt(2)
	v_pk_fma_f16 v17, v33, v28, v4 op_sel_hi:[1,0,1]
	ds_load_b128 v[4:7], v39 offset:5152
	v_pk_fma_f16 v16, v33, v28, v16 op_sel:[0,1,0]
	v_pk_fma_f16 v26, v34, v29, v17 op_sel_hi:[1,0,1]
	s_delay_alu instid0(VALU_DEP_2)
	v_pk_fma_f16 v28, v34, v29, v16 op_sel:[0,1,0]
	ds_load_b128 v[33:36], v39 offset:5168
	ds_load_2addr_b32 v[16:17], v24 offset0:64 offset1:96
	s_waitcnt lgkmcnt(4)
	v_pk_fma_f16 v26, v0, v30, v26 op_sel_hi:[1,0,1]
	v_pk_fma_f16 v0, v0, v30, v28 op_sel:[0,1,0]
	s_delay_alu instid0(VALU_DEP_2) | instskip(NEXT) | instid1(VALU_DEP_2)
	v_pk_fma_f16 v26, v1, v31, v26 op_sel_hi:[1,0,1]
	v_pk_fma_f16 v28, v1, v31, v0 op_sel:[0,1,0]
	ds_load_2addr_b32 v[0:1], v24 offset0:128 offset1:160
	s_waitcnt lgkmcnt(3)
	v_pk_fma_f16 v26, v37, v4, v26 op_sel_hi:[1,0,1]
	v_pk_fma_f16 v4, v37, v4, v28 op_sel:[0,1,0]
	ds_load_2addr_b32 v[28:29], v24 offset0:192 offset1:224
	v_add_nc_u32_e32 v24, 0x800, v23
	v_pk_fma_f16 v26, v38, v5, v26 op_sel_hi:[1,0,1]
	v_pk_fma_f16 v4, v38, v5, v4 op_sel:[0,1,0]
	s_waitcnt lgkmcnt(2)
	s_delay_alu instid0(VALU_DEP_2) | instskip(NEXT) | instid1(VALU_DEP_2)
	v_pk_fma_f16 v5, v16, v6, v26 op_sel_hi:[1,0,1]
	v_pk_fma_f16 v4, v16, v6, v4 op_sel:[0,1,0]
	s_delay_alu instid0(VALU_DEP_2) | instskip(NEXT) | instid1(VALU_DEP_2)
	v_pk_fma_f16 v5, v17, v7, v5 op_sel_hi:[1,0,1]
	v_pk_fma_f16 v26, v17, v7, v4 op_sel:[0,1,0]
	ds_load_2addr_b32 v[16:17], v24 offset1:32
	s_waitcnt lgkmcnt(2)
	v_pk_fma_f16 v30, v0, v33, v5 op_sel_hi:[1,0,1]
	ds_load_b128 v[4:7], v39 offset:5184
	v_pk_fma_f16 v0, v0, v33, v26 op_sel:[0,1,0]
	v_pk_fma_f16 v26, v1, v34, v30 op_sel_hi:[1,0,1]
	s_delay_alu instid0(VALU_DEP_2) | instskip(SKIP_4) | instid1(VALU_DEP_2)
	v_pk_fma_f16 v30, v1, v34, v0 op_sel:[0,1,0]
	ds_load_2addr_b32 v[0:1], v24 offset0:64 offset1:96
	s_waitcnt lgkmcnt(3)
	v_pk_fma_f16 v26, v28, v35, v26 op_sel_hi:[1,0,1]
	v_pk_fma_f16 v28, v28, v35, v30 op_sel:[0,1,0]
	v_pk_fma_f16 v26, v29, v36, v26 op_sel_hi:[1,0,1]
	s_delay_alu instid0(VALU_DEP_2)
	v_pk_fma_f16 v35, v29, v36, v28 op_sel:[0,1,0]
	ds_load_2addr_b32 v[33:34], v24 offset0:128 offset1:160
	ds_load_b128 v[28:31], v39 offset:5200
	s_waitcnt lgkmcnt(3)
	v_pk_fma_f16 v26, v16, v4, v26 op_sel_hi:[1,0,1]
	v_pk_fma_f16 v4, v16, v4, v35 op_sel:[0,1,0]
	s_delay_alu instid0(VALU_DEP_2) | instskip(NEXT) | instid1(VALU_DEP_2)
	v_pk_fma_f16 v16, v17, v5, v26 op_sel_hi:[1,0,1]
	v_pk_fma_f16 v4, v17, v5, v4 op_sel:[0,1,0]
	v_add_nc_u32_e32 v26, 0xc00, v23
	s_waitcnt lgkmcnt(2)
	s_delay_alu instid0(VALU_DEP_3) | instskip(SKIP_3) | instid1(VALU_DEP_2)
	v_pk_fma_f16 v5, v0, v6, v16 op_sel_hi:[1,0,1]
	ds_load_2addr_b32 v[16:17], v24 offset0:192 offset1:224
	v_pk_fma_f16 v0, v0, v6, v4 op_sel:[0,1,0]
	v_pk_fma_f16 v4, v1, v7, v5 op_sel_hi:[1,0,1]
	v_pk_fma_f16 v23, v1, v7, v0 op_sel:[0,1,0]
	ds_load_2addr_b32 v[0:1], v26 offset1:32
	s_waitcnt lgkmcnt(2)
	v_pk_fma_f16 v24, v33, v28, v4 op_sel_hi:[1,0,1]
	ds_load_b128 v[4:7], v39 offset:5216
	v_pk_fma_f16 v23, v33, v28, v23 op_sel:[0,1,0]
	v_pk_fma_f16 v28, v34, v29, v24 op_sel_hi:[1,0,1]
	s_delay_alu instid0(VALU_DEP_2) | instskip(SKIP_4) | instid1(VALU_DEP_2)
	v_pk_fma_f16 v29, v34, v29, v23 op_sel:[0,1,0]
	ds_load_2addr_b32 v[23:24], v26 offset0:64 offset1:96
	s_waitcnt lgkmcnt(3)
	v_pk_fma_f16 v28, v16, v30, v28 op_sel_hi:[1,0,1]
	v_pk_fma_f16 v16, v16, v30, v29 op_sel:[0,1,0]
	v_pk_fma_f16 v33, v17, v31, v28 op_sel_hi:[1,0,1]
	s_delay_alu instid0(VALU_DEP_2)
	v_pk_fma_f16 v34, v17, v31, v16 op_sel:[0,1,0]
	ds_load_2addr_b32 v[16:17], v26 offset0:128 offset1:160
	ds_load_b128 v[28:31], v39 offset:5232
	s_waitcnt lgkmcnt(3)
	v_pk_fma_f16 v33, v0, v4, v33 op_sel_hi:[1,0,1]
	v_pk_fma_f16 v0, v0, v4, v34 op_sel:[0,1,0]
	s_delay_alu instid0(VALU_DEP_2) | instskip(NEXT) | instid1(VALU_DEP_2)
	v_pk_fma_f16 v33, v1, v5, v33 op_sel_hi:[1,0,1]
	v_pk_fma_f16 v0, v1, v5, v0 op_sel:[0,1,0]
	ds_load_2addr_b32 v[4:5], v26 offset0:192 offset1:224
	s_waitcnt lgkmcnt(0)
	s_barrier
	v_pk_fma_f16 v1, v23, v6, v33 op_sel_hi:[1,0,1]
	v_pk_fma_f16 v0, v23, v6, v0 op_sel:[0,1,0]
	buffer_gl0_inv
	v_pk_fma_f16 v1, v24, v7, v1 op_sel_hi:[1,0,1]
	v_pk_fma_f16 v0, v24, v7, v0 op_sel:[0,1,0]
	s_delay_alu instid0(VALU_DEP_2) | instskip(NEXT) | instid1(VALU_DEP_2)
	v_pk_fma_f16 v1, v16, v28, v1 op_sel_hi:[1,0,1]
	v_pk_fma_f16 v0, v16, v28, v0 op_sel:[0,1,0]
	s_delay_alu instid0(VALU_DEP_2) | instskip(NEXT) | instid1(VALU_DEP_2)
	;; [unrolled: 3-line block ×3, first 2 shown]
	v_pk_fma_f16 v6, v4, v30, v1 op_sel_hi:[1,0,1]
	v_pk_fma_f16 v4, v4, v30, v0 op_sel:[0,1,0]
	v_dual_mov_b32 v0, v2 :: v_dual_mov_b32 v1, v3
	v_mov_b32_e32 v2, v25
	s_delay_alu instid0(VALU_DEP_4) | instskip(NEXT) | instid1(VALU_DEP_4)
	v_pk_fma_f16 v26, v5, v31, v6 op_sel_hi:[1,0,1]
	v_pk_fma_f16 v24, v5, v31, v4 op_sel:[0,1,0]
.LBB65_30:
	v_cmp_lt_i32_e32 vcc_lo, v11, v14
	s_cmp_eq_u64 s[24:25], 0
	s_cselect_b32 s2, -1, 0
	s_cmp_lg_u32 s14, 0
	v_cndmask_b32_e32 v3, v2, v11, vcc_lo
	v_cmp_lt_i32_e32 vcc_lo, v10, v14
	s_cselect_b32 s3, -1, 0
	s_delay_alu instid0(SALU_CYCLE_1) | instskip(NEXT) | instid1(VALU_DEP_2)
	s_or_b32 s2, s3, s2
	v_lshlrev_b32_e32 v3, 2, v3
	v_cndmask_b32_e32 v5, v2, v10, vcc_lo
	v_cmp_lt_i32_e32 vcc_lo, v12, v14
	ds_bpermute_b32 v4, v3, v27
	s_waitcnt lgkmcnt(0)
	v_dual_add_f32 v4, v27, v4 :: v_dual_lshlrev_b32 v5, 2, v5
	ds_bpermute_b32 v6, v5, v4
	s_waitcnt lgkmcnt(0)
	v_add_f32_e32 v4, v4, v6
	ds_bpermute_b32 v3, v3, v32
	v_cndmask_b32_e32 v7, v2, v12, vcc_lo
	v_cmp_lt_i32_e32 vcc_lo, v13, v14
	s_delay_alu instid0(VALU_DEP_2)
	v_lshlrev_b32_e32 v7, 2, v7
	s_waitcnt lgkmcnt(0)
	v_add_f32_e32 v3, v32, v3
	ds_bpermute_b32 v5, v5, v3
	s_waitcnt lgkmcnt(0)
	v_add_f32_e32 v3, v3, v5
	ds_bpermute_b32 v5, v7, v4
	ds_bpermute_b32 v6, v7, v3
	v_cndmask_b32_e32 v7, v2, v13, vcc_lo
	v_cmp_lt_i32_e32 vcc_lo, v15, v14
	s_delay_alu instid0(VALU_DEP_2) | instskip(SKIP_2) | instid1(VALU_DEP_1)
	v_lshlrev_b32_e32 v7, 2, v7
	v_cndmask_b32_e32 v2, v2, v15, vcc_lo
	s_and_b32 vcc_lo, exec_lo, s2
	v_lshlrev_b32_e32 v2, 2, v2
	s_waitcnt lgkmcnt(0)
	v_dual_add_f32 v4, v4, v5 :: v_dual_add_f32 v3, v3, v6
	ds_bpermute_b32 v5, v7, v4
	ds_bpermute_b32 v6, v7, v3
	s_waitcnt lgkmcnt(0)
	v_dual_add_f32 v4, v4, v5 :: v_dual_add_f32 v3, v3, v6
	ds_bpermute_b32 v5, v2, v4
	ds_bpermute_b32 v6, v2, v3
	s_waitcnt lgkmcnt(0)
	v_dual_add_f32 v2, v4, v5 :: v_dual_add_f32 v3, v3, v6
	s_cbranch_vccnz .LBB65_33
; %bb.31:
	s_lshl_b64 s[2:3], s[34:35], 2
	v_dual_mov_b32 v4, 0 :: v_dual_max_f32 v5, v0, v0
	s_add_u32 s2, s24, s2
	s_addc_u32 s3, s25, s3
	global_load_b32 v4, v4, s[2:3]
	s_waitcnt vmcnt(0)
	v_max_f32_e32 v7, v4, v4
	s_delay_alu instid0(VALU_DEP_1) | instskip(NEXT) | instid1(VALU_DEP_1)
	v_max_f32_e32 v6, v5, v7
	v_dual_max_f32 v9, v1, v1 :: v_dual_sub_f32 v0, v0, v6
	v_sub_f32_e32 v5, v4, v6
	s_delay_alu instid0(VALU_DEP_2) | instskip(NEXT) | instid1(VALU_DEP_2)
	v_cmp_ngt_f32_e32 vcc_lo, 0xc2ce8ed0, v0
	v_dual_mul_f32 v10, 0x3fb8aa3b, v5 :: v_dual_max_f32 v7, v9, v7
	s_delay_alu instid0(VALU_DEP_1) | instskip(NEXT) | instid1(VALU_DEP_2)
	v_rndne_f32_e32 v16, v10
	v_dual_sub_f32 v9, v4, v7 :: v_dual_mul_f32 v4, 0x3fb8aa3b, v0
	s_delay_alu instid0(VALU_DEP_1) | instskip(NEXT) | instid1(VALU_DEP_2)
	v_mul_f32_e32 v12, 0x3fb8aa3b, v9
	v_rndne_f32_e32 v14, v4
	v_sub_f32_e32 v1, v1, v7
	v_fma_f32 v13, 0x3fb8aa3b, v0, -v4
	v_fma_f32 v15, 0x3fb8aa3b, v5, -v10
	v_rndne_f32_e32 v27, v12
	s_delay_alu instid0(VALU_DEP_4) | instskip(NEXT) | instid1(VALU_DEP_4)
	v_dual_sub_f32 v4, v4, v14 :: v_dual_mul_f32 v11, 0x3fb8aa3b, v1
	v_fmac_f32_e32 v13, 0x32a5705f, v0
	v_sub_f32_e32 v10, v10, v16
	v_fma_f32 v25, 0x3fb8aa3b, v9, -v12
	v_sub_f32_e32 v12, v12, v27
	v_rndne_f32_e32 v23, v11
	v_fma_f32 v17, 0x3fb8aa3b, v1, -v11
	v_add_f32_e32 v4, v4, v13
	v_cvt_i32_f32_e32 v13, v14
	v_cvt_i32_f32_e32 v14, v16
	v_sub_f32_e32 v11, v11, v23
	v_cvt_i32_f32_e32 v16, v27
	v_exp_f32_e32 v4, v4
	s_waitcnt_depctr 0xfff
	v_ldexp_f32 v4, v4, v13
	s_delay_alu instid0(VALU_DEP_1) | instskip(NEXT) | instid1(VALU_DEP_1)
	v_dual_fmac_f32 v15, 0x32a5705f, v5 :: v_dual_cndmask_b32 v4, 0, v4
	v_dual_fmac_f32 v17, 0x32a5705f, v1 :: v_dual_add_f32 v10, v10, v15
	v_cmp_ngt_f32_e32 vcc_lo, 0xc2ce8ed0, v5
	v_cvt_i32_f32_e32 v15, v23
	s_delay_alu instid0(VALU_DEP_3) | instskip(SKIP_2) | instid1(VALU_DEP_1)
	v_exp_f32_e32 v10, v10
	s_waitcnt_depctr 0xfff
	v_ldexp_f32 v10, v10, v14
	v_dual_fmac_f32 v25, 0x32a5705f, v9 :: v_dual_cndmask_b32 v10, 0, v10
	v_cmp_ngt_f32_e32 vcc_lo, 0xc2ce8ed0, v1
	s_delay_alu instid0(VALU_DEP_2) | instskip(NEXT) | instid1(VALU_DEP_1)
	v_add_f32_e32 v12, v12, v25
	v_exp_f32_e32 v12, v12
	s_waitcnt_depctr 0xfff
	v_ldexp_f32 v12, v12, v16
	v_add_f32_e32 v11, v11, v17
	s_delay_alu instid0(VALU_DEP_1) | instskip(SKIP_2) | instid1(VALU_DEP_1)
	v_exp_f32_e32 v11, v11
	s_waitcnt_depctr 0xfff
	v_ldexp_f32 v11, v11, v15
	v_cndmask_b32_e32 v11, 0, v11, vcc_lo
	v_cmp_ngt_f32_e32 vcc_lo, 0xc2ce8ed0, v9
	v_cndmask_b32_e32 v12, 0, v12, vcc_lo
	v_cmp_nlt_f32_e32 vcc_lo, 0x42b17218, v0
	v_cndmask_b32_e32 v0, 0x7f800000, v4, vcc_lo
	v_cmp_nlt_f32_e32 vcc_lo, 0x42b17218, v5
	;; [unrolled: 2-line block ×4, first 2 shown]
	v_cndmask_b32_e32 v5, 0x7f800000, v12, vcc_lo
	s_delay_alu instid0(VALU_DEP_1) | instskip(SKIP_2) | instid1(VALU_DEP_2)
	v_dual_fmac_f32 v5, v3, v1 :: v_dual_fmac_f32 v4, v2, v0
	v_cvt_f16_f32_e32 v0, v0
	v_cvt_f16_f32_e32 v2, v1
	v_pk_mul_f16 v26, v26, v0 op_sel_hi:[1,0]
	v_mov_b32_e32 v0, v6
	s_delay_alu instid0(VALU_DEP_3)
	v_pk_mul_f16 v24, v24, v2 op_sel_hi:[1,0]
	v_dual_mov_b32 v2, v4 :: v_dual_mov_b32 v3, v5
	v_mov_b32_e32 v1, v7
	s_mov_b32 s2, exec_lo
	v_cmpx_gt_i32_e64 s10, v22
	s_cbranch_execnz .LBB65_34
.LBB65_32:
	s_nop 0
	s_sendmsg sendmsg(MSG_DEALLOC_VGPRS)
	s_endpgm
.LBB65_33:
	s_delay_alu instid0(VALU_DEP_1)
	v_dual_mov_b32 v4, v2 :: v_dual_mov_b32 v5, v3
	s_mov_b32 s2, exec_lo
	v_cmpx_gt_i32_e64 s10, v22
	s_cbranch_execz .LBB65_32
.LBB65_34:
	s_load_b32 s1, s[0:1], 0xd4
	v_mov_b32_e32 v9, 1.0
	s_waitcnt lgkmcnt(0)
	s_cmp_lg_u32 s1, 1
	s_cselect_b32 s4, -1, 0
	s_cmp_eq_u32 s1, 1
	s_cselect_b32 s2, -1, 0
	s_and_b32 vcc_lo, exec_lo, s4
	s_cbranch_vccnz .LBB65_36
; %bb.35:
	v_div_scale_f32 v6, null, v4, v4, 1.0
	s_delay_alu instid0(VALU_DEP_1) | instskip(SKIP_2) | instid1(VALU_DEP_1)
	v_rcp_f32_e32 v7, v6
	s_waitcnt_depctr 0xfff
	v_fma_f32 v9, -v6, v7, 1.0
	v_fmac_f32_e32 v7, v9, v7
	v_div_scale_f32 v9, vcc_lo, 1.0, v4, 1.0
	s_delay_alu instid0(VALU_DEP_1) | instskip(NEXT) | instid1(VALU_DEP_1)
	v_mul_f32_e32 v10, v9, v7
	v_fma_f32 v11, -v6, v10, v9
	s_delay_alu instid0(VALU_DEP_1) | instskip(NEXT) | instid1(VALU_DEP_1)
	v_fmac_f32_e32 v10, v11, v7
	v_fma_f32 v6, -v6, v10, v9
	s_delay_alu instid0(VALU_DEP_1) | instskip(NEXT) | instid1(VALU_DEP_1)
	v_div_fmas_f32 v6, v6, v7, v10
	v_div_fixup_f32 v9, v6, v4, 1.0
.LBB65_36:
	s_mul_i32 s3, s12, s10
	v_cmp_eq_u32_e32 vcc_lo, 0, v21
	s_add_i32 s3, s3, s15
	s_delay_alu instid0(SALU_CYCLE_1) | instskip(NEXT) | instid1(VALU_DEP_1)
	v_add_nc_u32_e32 v4, s3, v20
	v_mad_u64_u32 v[10:11], null, v4, s11, s[34:35]
	v_mov_b32_e32 v11, 0
	v_lshrrev_b32_e32 v4, 16, v26
	s_delay_alu instid0(VALU_DEP_1) | instskip(NEXT) | instid1(VALU_DEP_4)
	v_cvt_f32_f16_e32 v4, v4
	v_mad_u64_u32 v[6:7], null, s1, v10, s[14:15]
	v_cvt_f32_f16_e32 v7, v26
	s_delay_alu instid0(VALU_DEP_3) | instskip(NEXT) | instid1(VALU_DEP_2)
	v_mul_f32_e32 v13, v9, v4
	v_mul_f32_e32 v12, v9, v7
	s_delay_alu instid0(VALU_DEP_4) | instskip(NEXT) | instid1(VALU_DEP_1)
	v_lshl_add_u32 v10, v6, 6, v8
	v_lshlrev_b64 v[10:11], 2, v[10:11]
	s_delay_alu instid0(VALU_DEP_1) | instskip(NEXT) | instid1(VALU_DEP_1)
	v_add_co_u32 v9, s0, s28, v10
	v_add_co_ci_u32_e64 v10, s0, s29, v11, s0
	s_and_b32 s0, vcc_lo, s4
	global_store_b64 v[9:10], v[12:13], off
	s_and_saveexec_b32 s4, s0
	s_cbranch_execz .LBB65_38
; %bb.37:
	v_ashrrev_i32_e32 v7, 31, v6
	v_dual_mov_b32 v9, v0 :: v_dual_mov_b32 v10, v2
	s_delay_alu instid0(VALU_DEP_2) | instskip(NEXT) | instid1(VALU_DEP_1)
	v_lshlrev_b64 v[6:7], 3, v[6:7]
	v_add_co_u32 v6, vcc_lo, s30, v6
	s_delay_alu instid0(VALU_DEP_2)
	v_add_co_ci_u32_e32 v7, vcc_lo, s31, v7, vcc_lo
	global_store_b64 v[6:7], v[9:10], off
.LBB65_38:
	s_or_b32 exec_lo, exec_lo, s4
	v_cmp_gt_i32_e32 vcc_lo, s10, v19
	s_and_b32 exec_lo, exec_lo, vcc_lo
	s_cbranch_execz .LBB65_32
; %bb.39:
	v_mov_b32_e32 v0, 1.0
	s_and_not1_b32 vcc_lo, exec_lo, s2
	s_cbranch_vccnz .LBB65_41
; %bb.40:
	v_div_scale_f32 v0, null, v5, v5, 1.0
	s_delay_alu instid0(VALU_DEP_1) | instskip(SKIP_2) | instid1(VALU_DEP_1)
	v_rcp_f32_e32 v2, v0
	s_waitcnt_depctr 0xfff
	v_fma_f32 v4, -v0, v2, 1.0
	v_fmac_f32_e32 v2, v4, v2
	v_div_scale_f32 v4, vcc_lo, 1.0, v5, 1.0
	s_delay_alu instid0(VALU_DEP_1) | instskip(NEXT) | instid1(VALU_DEP_1)
	v_mul_f32_e32 v6, v4, v2
	v_fma_f32 v7, -v0, v6, v4
	s_delay_alu instid0(VALU_DEP_1) | instskip(NEXT) | instid1(VALU_DEP_1)
	v_fmac_f32_e32 v6, v7, v2
	v_fma_f32 v0, -v0, v6, v4
	s_delay_alu instid0(VALU_DEP_1) | instskip(NEXT) | instid1(VALU_DEP_1)
	v_div_fmas_f32 v0, v0, v2, v6
	v_div_fixup_f32 v0, v0, v5, 1.0
.LBB65_41:
	v_add_nc_u32_e32 v2, s3, v18
	s_delay_alu instid0(VALU_DEP_1) | instskip(SKIP_2) | instid1(VALU_DEP_2)
	v_mad_u64_u32 v[6:7], null, v2, s11, s[34:35]
	v_lshrrev_b32_e32 v2, 16, v24
	v_cvt_f32_f16_e32 v7, v24
	v_cvt_f32_f16_e32 v2, v2
	s_delay_alu instid0(VALU_DEP_2) | instskip(SKIP_2) | instid1(VALU_DEP_2)
	v_mul_f32_e32 v7, v0, v7
	v_mad_u64_u32 v[4:5], null, s1, v6, s[14:15]
	v_mov_b32_e32 v6, 0
	v_lshl_add_u32 v5, v4, 6, v8
	v_mul_f32_e32 v8, v0, v2
	s_delay_alu instid0(VALU_DEP_2) | instskip(NEXT) | instid1(VALU_DEP_1)
	v_lshlrev_b64 v[5:6], 2, v[5:6]
	v_add_co_u32 v5, vcc_lo, s28, v5
	s_delay_alu instid0(VALU_DEP_2)
	v_add_co_ci_u32_e32 v6, vcc_lo, s29, v6, vcc_lo
	global_store_b64 v[5:6], v[7:8], off
	s_and_b32 exec_lo, exec_lo, s0
	s_cbranch_execz .LBB65_32
; %bb.42:
	v_ashrrev_i32_e32 v5, 31, v4
	v_mov_b32_e32 v2, v1
	s_delay_alu instid0(VALU_DEP_2) | instskip(NEXT) | instid1(VALU_DEP_1)
	v_lshlrev_b64 v[4:5], 3, v[4:5]
	v_add_co_u32 v4, vcc_lo, s30, v4
	s_delay_alu instid0(VALU_DEP_2)
	v_add_co_ci_u32_e32 v5, vcc_lo, s31, v5, vcc_lo
	global_store_b64 v[4:5], v[2:3], off
	s_nop 0
	s_sendmsg sendmsg(MSG_DEALLOC_VGPRS)
	s_endpgm
	.section	.rodata,"a",@progbits
	.p2align	6, 0x0
	.amdhsa_kernel _ZL15flash_attn_tileILi64ELi64ELi4ELi1ELb0EEvPKcS1_S1_S1_S1_PKiPfP15HIP_vector_typeIfLj2EEffffjfiS5_IjLj3EEiiiiiiiiiiiliiliiiiil
		.amdhsa_group_segment_fixed_size 5376
		.amdhsa_private_segment_fixed_size 32
		.amdhsa_kernarg_size 464
		.amdhsa_user_sgpr_count 13
		.amdhsa_user_sgpr_dispatch_ptr 0
		.amdhsa_user_sgpr_queue_ptr 0
		.amdhsa_user_sgpr_kernarg_segment_ptr 1
		.amdhsa_user_sgpr_dispatch_id 0
		.amdhsa_user_sgpr_private_segment_size 0
		.amdhsa_wavefront_size32 1
		.amdhsa_uses_dynamic_stack 0
		.amdhsa_enable_private_segment 1
		.amdhsa_system_sgpr_workgroup_id_x 1
		.amdhsa_system_sgpr_workgroup_id_y 1
		.amdhsa_system_sgpr_workgroup_id_z 1
		.amdhsa_system_sgpr_workgroup_info 0
		.amdhsa_system_vgpr_workitem_id 1
		.amdhsa_next_free_vgpr 78
		.amdhsa_next_free_sgpr 47
		.amdhsa_reserve_vcc 1
		.amdhsa_float_round_mode_32 0
		.amdhsa_float_round_mode_16_64 0
		.amdhsa_float_denorm_mode_32 3
		.amdhsa_float_denorm_mode_16_64 3
		.amdhsa_dx10_clamp 1
		.amdhsa_ieee_mode 1
		.amdhsa_fp16_overflow 0
		.amdhsa_workgroup_processor_mode 1
		.amdhsa_memory_ordered 1
		.amdhsa_forward_progress 0
		.amdhsa_shared_vgpr_count 0
		.amdhsa_exception_fp_ieee_invalid_op 0
		.amdhsa_exception_fp_denorm_src 0
		.amdhsa_exception_fp_ieee_div_zero 0
		.amdhsa_exception_fp_ieee_overflow 0
		.amdhsa_exception_fp_ieee_underflow 0
		.amdhsa_exception_fp_ieee_inexact 0
		.amdhsa_exception_int_div_zero 0
	.end_amdhsa_kernel
	.section	.text._ZL15flash_attn_tileILi64ELi64ELi4ELi1ELb0EEvPKcS1_S1_S1_S1_PKiPfP15HIP_vector_typeIfLj2EEffffjfiS5_IjLj3EEiiiiiiiiiiiliiliiiiil,"axG",@progbits,_ZL15flash_attn_tileILi64ELi64ELi4ELi1ELb0EEvPKcS1_S1_S1_S1_PKiPfP15HIP_vector_typeIfLj2EEffffjfiS5_IjLj3EEiiiiiiiiiiiliiliiiiil,comdat
.Lfunc_end65:
	.size	_ZL15flash_attn_tileILi64ELi64ELi4ELi1ELb0EEvPKcS1_S1_S1_S1_PKiPfP15HIP_vector_typeIfLj2EEffffjfiS5_IjLj3EEiiiiiiiiiiiliiliiiiil, .Lfunc_end65-_ZL15flash_attn_tileILi64ELi64ELi4ELi1ELb0EEvPKcS1_S1_S1_S1_PKiPfP15HIP_vector_typeIfLj2EEffffjfiS5_IjLj3EEiiiiiiiiiiiliiliiiiil
                                        ; -- End function
	.section	.AMDGPU.csdata,"",@progbits
; Kernel info:
; codeLenInByte = 13028
; NumSgprs: 49
; NumVgprs: 78
; ScratchSize: 32
; MemoryBound: 0
; FloatMode: 240
; IeeeMode: 1
; LDSByteSize: 5376 bytes/workgroup (compile time only)
; SGPRBlocks: 6
; VGPRBlocks: 9
; NumSGPRsForWavesPerEU: 49
; NumVGPRsForWavesPerEU: 78
; Occupancy: 12
; WaveLimiterHint : 1
; COMPUTE_PGM_RSRC2:SCRATCH_EN: 1
; COMPUTE_PGM_RSRC2:USER_SGPR: 13
; COMPUTE_PGM_RSRC2:TRAP_HANDLER: 0
; COMPUTE_PGM_RSRC2:TGID_X_EN: 1
; COMPUTE_PGM_RSRC2:TGID_Y_EN: 1
; COMPUTE_PGM_RSRC2:TGID_Z_EN: 1
; COMPUTE_PGM_RSRC2:TIDIG_COMP_CNT: 1
	.section	.text._ZL33flash_attn_stream_k_fixup_uniformILi64ELi4ELi1EEvPfPK15HIP_vector_typeIfLj2EEiiiiiiS1_IjLj3EES5_S5_,"axG",@progbits,_ZL33flash_attn_stream_k_fixup_uniformILi64ELi4ELi1EEvPfPK15HIP_vector_typeIfLj2EEiiiiiiS1_IjLj3EES5_S5_,comdat
	.globl	_ZL33flash_attn_stream_k_fixup_uniformILi64ELi4ELi1EEvPfPK15HIP_vector_typeIfLj2EEiiiiiiS1_IjLj3EES5_S5_ ; -- Begin function _ZL33flash_attn_stream_k_fixup_uniformILi64ELi4ELi1EEvPfPK15HIP_vector_typeIfLj2EEiiiiiiS1_IjLj3EES5_S5_
	.p2align	8
	.type	_ZL33flash_attn_stream_k_fixup_uniformILi64ELi4ELi1EEvPfPK15HIP_vector_typeIfLj2EEiiiiiiS1_IjLj3EES5_S5_,@function
_ZL33flash_attn_stream_k_fixup_uniformILi64ELi4ELi1EEvPfPK15HIP_vector_typeIfLj2EEiiiiiiS1_IjLj3EES5_S5_: ; @_ZL33flash_attn_stream_k_fixup_uniformILi64ELi4ELi1EEvPfPK15HIP_vector_typeIfLj2EEiiiiiiS1_IjLj3EES5_S5_
; %bb.0:
	s_clause 0x1
	s_load_b256 s[4:11], s[0:1], 0x1c
	s_load_b128 s[16:19], s[0:1], 0x3c
	s_waitcnt lgkmcnt(0)
	s_mul_hi_u32 s2, s7, s13
	s_delay_alu instid0(SALU_CYCLE_1) | instskip(NEXT) | instid1(SALU_CYCLE_1)
	s_add_i32 s2, s13, s2
	s_lshr_b32 s2, s2, s8
	s_delay_alu instid0(SALU_CYCLE_1) | instskip(SKIP_2) | instid1(SALU_CYCLE_1)
	s_mul_i32 s3, s2, s9
	s_load_b64 s[8:9], s[0:1], 0x10
	s_sub_i32 s7, s13, s3
	s_mul_hi_u32 s3, s7, s10
	s_delay_alu instid0(SALU_CYCLE_1) | instskip(NEXT) | instid1(SALU_CYCLE_1)
	s_add_i32 s3, s7, s3
	s_lshr_b32 s3, s3, s11
	s_delay_alu instid0(SALU_CYCLE_1) | instskip(NEXT) | instid1(SALU_CYCLE_1)
	s_mul_i32 s10, s3, s16
	s_sub_i32 s10, s7, s10
	s_delay_alu instid0(SALU_CYCLE_1) | instskip(NEXT) | instid1(SALU_CYCLE_1)
	s_mul_hi_u32 s7, s10, s17
	s_add_i32 s7, s10, s7
	s_delay_alu instid0(SALU_CYCLE_1) | instskip(NEXT) | instid1(SALU_CYCLE_1)
	s_lshr_b32 s7, s7, s18
	s_mul_i32 s11, s7, s19
	s_delay_alu instid0(SALU_CYCLE_1) | instskip(NEXT) | instid1(SALU_CYCLE_1)
	s_sub_i32 s10, s10, s11
	s_lshl_b32 s11, s10, 2
	s_delay_alu instid0(SALU_CYCLE_1) | instskip(SKIP_4) | instid1(SALU_CYCLE_1)
	s_add_i32 s11, s11, s14
	s_waitcnt lgkmcnt(0)
	s_cmp_lt_i32 s11, s8
	s_cselect_b32 s11, -1, 0
	s_add_i32 s12, s7, s15
	s_cmp_lt_i32 s12, s5
	s_cselect_b32 s12, -1, 0
	s_delay_alu instid0(SALU_CYCLE_1) | instskip(NEXT) | instid1(SALU_CYCLE_1)
	s_and_b32 s11, s11, s12
	s_and_not1_b32 vcc_lo, exec_lo, s11
	s_cbranch_vccnz .LBB66_6
; %bb.1:
	s_mul_i32 s2, s2, s8
	s_mul_i32 s5, s3, s5
	s_add_i32 s2, s2, s14
	s_delay_alu instid0(SALU_CYCLE_1) | instskip(NEXT) | instid1(SALU_CYCLE_1)
	s_mul_i32 s2, s2, s9
	s_add_i32 s8, s2, s15
	s_load_b128 s[0:3], s[0:1], 0x0
	s_add_i32 s5, s8, s5
	s_mul_i32 s8, s9, s10
	s_add_i32 s5, s5, s7
	s_lshl_b32 s7, s8, 8
	s_lshl_b32 s5, s5, 6
	s_add_i32 s10, s14, s15
	s_add_i32 s7, s7, s5
	s_mul_i32 s5, s13, s6
	v_or_b32_e32 v1, s7, v0
	s_add_i32 s9, s5, s6
	s_delay_alu instid0(VALU_DEP_1) | instskip(NEXT) | instid1(VALU_DEP_1)
	v_ashrrev_i32_e32 v2, 31, v1
	v_lshlrev_b64 v[1:2], 2, v[1:2]
	s_waitcnt lgkmcnt(0)
	s_delay_alu instid0(VALU_DEP_1) | instskip(NEXT) | instid1(VALU_DEP_2)
	v_add_co_u32 v1, vcc_lo, s0, v1
	v_add_co_ci_u32_e32 v2, vcc_lo, s1, v2, vcc_lo
	s_lshl_b32 s0, s9, 2
	s_delay_alu instid0(SALU_CYCLE_1) | instskip(SKIP_2) | instid1(SALU_CYCLE_1)
	s_add_i32 s0, s10, s0
	global_load_b32 v5, v[1:2], off
	s_add_i32 s0, s0, -4
	s_ashr_i32 s1, s0, 31
	s_delay_alu instid0(SALU_CYCLE_1) | instskip(NEXT) | instid1(SALU_CYCLE_1)
	s_lshl_b64 s[0:1], s[0:1], 3
	s_add_u32 s0, s2, s0
	s_addc_u32 s1, s3, s1
	s_add_i32 s7, s9, -2
	s_load_b32 s11, s[0:1], 0x4
	s_cmp_lt_i32 s7, s5
	s_cbranch_scc1 .LBB66_4
; %bb.2:
	s_lshl_b32 s14, s4, 4
	s_load_b32 s12, s[0:1], 0x0
	s_ashr_i32 s15, s14, 31
	s_delay_alu instid0(SALU_CYCLE_1) | instskip(NEXT) | instid1(SALU_CYCLE_1)
	s_lshl_b64 s[0:1], s[14:15], 2
	s_add_u32 s7, s2, s0
	s_addc_u32 s8, s3, s1
	s_add_i32 s13, s13, 1
	s_lshl_b32 s1, s10, 6
	s_mul_i32 s0, s6, s13
	s_delay_alu instid0(SALU_CYCLE_1)
	s_lshl_b32 s6, s0, 8
	s_lshl_b32 s0, s0, 2
	s_add_i32 s1, s1, s6
	s_add_i32 s0, s10, s0
	v_or_b32_e32 v0, s1, v0
	s_lshl_b32 s1, s4, 2
	s_waitcnt lgkmcnt(0)
	v_mov_b32_e32 v6, s11
	s_add_i32 s0, s0, s1
	s_add_i32 s4, s9, -1
	v_dual_mov_b32 v0, s12 :: v_dual_add_nc_u32 v3, 0xfffffe00, v0
	s_add_i32 s0, s0, -8
.LBB66_3:                               ; =>This Inner Loop Header: Depth=1
	s_delay_alu instid0(VALU_DEP_1) | instskip(SKIP_1) | instid1(SALU_CYCLE_1)
	v_ashrrev_i32_e32 v4, 31, v3
	s_ashr_i32 s1, s0, 31
	s_lshl_b64 s[10:11], s[0:1], 3
	s_delay_alu instid0(SALU_CYCLE_1) | instskip(NEXT) | instid1(VALU_DEP_1)
	s_add_u32 s10, s2, s10
	v_lshlrev_b64 v[7:8], 2, v[3:4]
	s_addc_u32 s11, s3, s11
	s_add_i32 s4, s4, -1
	s_add_i32 s0, s0, -4
	s_cmp_le_i32 s4, s5
	s_load_b64 s[10:11], s[10:11], 0x0
	v_add_co_u32 v7, vcc_lo, s7, v7
	v_add_co_ci_u32_e32 v8, vcc_lo, s8, v8, vcc_lo
	global_load_b32 v4, v[7:8], off
	v_max_f32_e32 v7, v0, v0
	s_waitcnt lgkmcnt(0)
	v_max_f32_e64 v8, s10, s10
	s_delay_alu instid0(VALU_DEP_1) | instskip(NEXT) | instid1(VALU_DEP_1)
	v_max_f32_e32 v7, v7, v8
	v_sub_f32_e32 v8, s10, v7
	s_delay_alu instid0(VALU_DEP_1) | instskip(NEXT) | instid1(VALU_DEP_1)
	v_dual_sub_f32 v0, v0, v7 :: v_dual_mul_f32 v9, 0x3fb8aa3b, v8
	v_fma_f32 v10, 0x3fb8aa3b, v8, -v9
	v_rndne_f32_e32 v11, v9
	s_delay_alu instid0(VALU_DEP_3) | instskip(NEXT) | instid1(VALU_DEP_2)
	v_mul_f32_e32 v12, 0x3fb8aa3b, v0
	v_dual_fmac_f32 v10, 0x32a5705f, v8 :: v_dual_sub_f32 v9, v9, v11
	v_cvt_i32_f32_e32 v11, v11
	s_delay_alu instid0(VALU_DEP_3) | instskip(SKIP_1) | instid1(VALU_DEP_4)
	v_fma_f32 v13, 0x3fb8aa3b, v0, -v12
	v_rndne_f32_e32 v14, v12
	v_add_f32_e32 v9, v9, v10
	v_cmp_ngt_f32_e32 vcc_lo, 0xc2ce8ed0, v8
	s_delay_alu instid0(VALU_DEP_3) | instskip(NEXT) | instid1(VALU_DEP_3)
	v_sub_f32_e32 v10, v12, v14
	v_exp_f32_e32 v9, v9
	s_waitcnt_depctr 0xfff
	v_ldexp_f32 v9, v9, v11
	v_cvt_i32_f32_e32 v11, v14
	s_delay_alu instid0(VALU_DEP_2) | instskip(SKIP_1) | instid1(VALU_DEP_2)
	v_cndmask_b32_e32 v9, 0, v9, vcc_lo
	v_cmp_nlt_f32_e32 vcc_lo, 0x42b17218, v8
	v_cndmask_b32_e32 v9, 0x7f800000, v9, vcc_lo
	v_cmp_ngt_f32_e32 vcc_lo, 0xc2ce8ed0, v0
	v_fmac_f32_e32 v13, 0x32a5705f, v0
	s_delay_alu instid0(VALU_DEP_1) | instskip(NEXT) | instid1(VALU_DEP_1)
	v_add_f32_e32 v10, v10, v13
	v_exp_f32_e32 v10, v10
	s_waitcnt_depctr 0xfff
	v_ldexp_f32 v10, v10, v11
	s_delay_alu instid0(VALU_DEP_1)
	v_dual_mov_b32 v11, v6 :: v_dual_cndmask_b32 v10, 0, v10
	v_cmp_le_f32_e32 vcc_lo, 0xc1a00000, v8
	s_waitcnt vmcnt(1)
	v_dual_cndmask_b32 v8, 0, v9 :: v_dual_mov_b32 v9, v5
	v_cmp_nlt_f32_e32 vcc_lo, 0x42b17218, v0
	v_cndmask_b32_e32 v5, 0x7f800000, v10, vcc_lo
	s_delay_alu instid0(VALU_DEP_3) | instskip(SKIP_2) | instid1(VALU_DEP_3)
	v_mul_f32_e32 v10, s11, v8
	v_cmp_le_f32_e32 vcc_lo, 0xc1a00000, v0
	v_mov_b32_e32 v0, v7
	v_mov_b32_e32 v6, v10
	s_waitcnt vmcnt(0)
	v_dual_cndmask_b32 v12, 0, v5 :: v_dual_mul_f32 v5, v4, v8
	s_delay_alu instid0(VALU_DEP_1) | instskip(NEXT) | instid1(VALU_DEP_2)
	v_dual_fmac_f32 v6, v11, v12 :: v_dual_add_nc_u32 v3, 0xffffff00, v3
	v_fmac_f32_e32 v5, v9, v12
	s_cbranch_scc0 .LBB66_3
	s_branch .LBB66_5
.LBB66_4:
	s_waitcnt lgkmcnt(0)
	v_mov_b32_e32 v6, s11
.LBB66_5:
	s_waitcnt vmcnt(0)
	s_delay_alu instid0(VALU_DEP_1) | instskip(NEXT) | instid1(VALU_DEP_1)
	v_div_scale_f32 v0, null, v6, v6, v5
	v_rcp_f32_e32 v3, v0
	s_waitcnt_depctr 0xfff
	v_fma_f32 v4, -v0, v3, 1.0
	s_delay_alu instid0(VALU_DEP_1) | instskip(SKIP_1) | instid1(VALU_DEP_1)
	v_fmac_f32_e32 v3, v4, v3
	v_div_scale_f32 v4, vcc_lo, v5, v6, v5
	v_mul_f32_e32 v7, v4, v3
	s_delay_alu instid0(VALU_DEP_1) | instskip(NEXT) | instid1(VALU_DEP_1)
	v_fma_f32 v8, -v0, v7, v4
	v_fmac_f32_e32 v7, v8, v3
	s_delay_alu instid0(VALU_DEP_1) | instskip(NEXT) | instid1(VALU_DEP_1)
	v_fma_f32 v0, -v0, v7, v4
	v_div_fmas_f32 v0, v0, v3, v7
	s_delay_alu instid0(VALU_DEP_1)
	v_div_fixup_f32 v0, v0, v6, v5
	global_store_b32 v[1:2], v0, off
.LBB66_6:
	s_nop 0
	s_sendmsg sendmsg(MSG_DEALLOC_VGPRS)
	s_endpgm
	.section	.rodata,"a",@progbits
	.p2align	6, 0x0
	.amdhsa_kernel _ZL33flash_attn_stream_k_fixup_uniformILi64ELi4ELi1EEvPfPK15HIP_vector_typeIfLj2EEiiiiiiS1_IjLj3EES5_S5_
		.amdhsa_group_segment_fixed_size 0
		.amdhsa_private_segment_fixed_size 0
		.amdhsa_kernarg_size 76
		.amdhsa_user_sgpr_count 13
		.amdhsa_user_sgpr_dispatch_ptr 0
		.amdhsa_user_sgpr_queue_ptr 0
		.amdhsa_user_sgpr_kernarg_segment_ptr 1
		.amdhsa_user_sgpr_dispatch_id 0
		.amdhsa_user_sgpr_private_segment_size 0
		.amdhsa_wavefront_size32 1
		.amdhsa_uses_dynamic_stack 0
		.amdhsa_enable_private_segment 0
		.amdhsa_system_sgpr_workgroup_id_x 1
		.amdhsa_system_sgpr_workgroup_id_y 1
		.amdhsa_system_sgpr_workgroup_id_z 1
		.amdhsa_system_sgpr_workgroup_info 0
		.amdhsa_system_vgpr_workitem_id 0
		.amdhsa_next_free_vgpr 15
		.amdhsa_next_free_sgpr 20
		.amdhsa_reserve_vcc 1
		.amdhsa_float_round_mode_32 0
		.amdhsa_float_round_mode_16_64 0
		.amdhsa_float_denorm_mode_32 3
		.amdhsa_float_denorm_mode_16_64 3
		.amdhsa_dx10_clamp 1
		.amdhsa_ieee_mode 1
		.amdhsa_fp16_overflow 0
		.amdhsa_workgroup_processor_mode 1
		.amdhsa_memory_ordered 1
		.amdhsa_forward_progress 0
		.amdhsa_shared_vgpr_count 0
		.amdhsa_exception_fp_ieee_invalid_op 0
		.amdhsa_exception_fp_denorm_src 0
		.amdhsa_exception_fp_ieee_div_zero 0
		.amdhsa_exception_fp_ieee_overflow 0
		.amdhsa_exception_fp_ieee_underflow 0
		.amdhsa_exception_fp_ieee_inexact 0
		.amdhsa_exception_int_div_zero 0
	.end_amdhsa_kernel
	.section	.text._ZL33flash_attn_stream_k_fixup_uniformILi64ELi4ELi1EEvPfPK15HIP_vector_typeIfLj2EEiiiiiiS1_IjLj3EES5_S5_,"axG",@progbits,_ZL33flash_attn_stream_k_fixup_uniformILi64ELi4ELi1EEvPfPK15HIP_vector_typeIfLj2EEiiiiiiS1_IjLj3EES5_S5_,comdat
.Lfunc_end66:
	.size	_ZL33flash_attn_stream_k_fixup_uniformILi64ELi4ELi1EEvPfPK15HIP_vector_typeIfLj2EEiiiiiiS1_IjLj3EES5_S5_, .Lfunc_end66-_ZL33flash_attn_stream_k_fixup_uniformILi64ELi4ELi1EEvPfPK15HIP_vector_typeIfLj2EEiiiiiiS1_IjLj3EES5_S5_
                                        ; -- End function
	.section	.AMDGPU.csdata,"",@progbits
; Kernel info:
; codeLenInByte = 976
; NumSgprs: 22
; NumVgprs: 15
; ScratchSize: 0
; MemoryBound: 0
; FloatMode: 240
; IeeeMode: 1
; LDSByteSize: 0 bytes/workgroup (compile time only)
; SGPRBlocks: 2
; VGPRBlocks: 1
; NumSGPRsForWavesPerEU: 22
; NumVGPRsForWavesPerEU: 15
; Occupancy: 16
; WaveLimiterHint : 0
; COMPUTE_PGM_RSRC2:SCRATCH_EN: 0
; COMPUTE_PGM_RSRC2:USER_SGPR: 13
; COMPUTE_PGM_RSRC2:TRAP_HANDLER: 0
; COMPUTE_PGM_RSRC2:TGID_X_EN: 1
; COMPUTE_PGM_RSRC2:TGID_Y_EN: 1
; COMPUTE_PGM_RSRC2:TGID_Z_EN: 1
; COMPUTE_PGM_RSRC2:TIDIG_COMP_CNT: 0
	.section	.text._ZL33flash_attn_stream_k_fixup_generalILi64ELi4ELi1EEvPfPK15HIP_vector_typeIfLj2EEiiiiS1_IjLj3EES5_S5_S5_,"axG",@progbits,_ZL33flash_attn_stream_k_fixup_generalILi64ELi4ELi1EEvPfPK15HIP_vector_typeIfLj2EEiiiiS1_IjLj3EES5_S5_S5_,comdat
	.globl	_ZL33flash_attn_stream_k_fixup_generalILi64ELi4ELi1EEvPfPK15HIP_vector_typeIfLj2EEiiiiS1_IjLj3EES5_S5_S5_ ; -- Begin function _ZL33flash_attn_stream_k_fixup_generalILi64ELi4ELi1EEvPfPK15HIP_vector_typeIfLj2EEiiiiS1_IjLj3EES5_S5_S5_
	.p2align	8
	.type	_ZL33flash_attn_stream_k_fixup_generalILi64ELi4ELi1EEvPfPK15HIP_vector_typeIfLj2EEiiiiS1_IjLj3EES5_S5_S5_,@function
_ZL33flash_attn_stream_k_fixup_generalILi64ELi4ELi1EEvPfPK15HIP_vector_typeIfLj2EEiiiiS1_IjLj3EES5_S5_S5_: ; @_ZL33flash_attn_stream_k_fixup_generalILi64ELi4ELi1EEvPfPK15HIP_vector_typeIfLj2EEiiiiS1_IjLj3EES5_S5_S5_
; %bb.0:
	s_clause 0x1
	s_load_b128 s[4:7], s[0:1], 0x10
	s_load_b32 s20, s[0:1], 0x50
	s_mov_b32 s2, 0
	s_waitcnt lgkmcnt(0)
	s_mul_hi_i32 s3, s7, s13
	s_mul_i32 s12, s7, s13
	s_cmp_lg_u64 s[2:3], 0
	s_cbranch_scc0 .LBB67_21
; %bb.1:
	v_cvt_f32_ubyte0_e32 v1, 0
	v_cvt_f32_u32_e32 v2, s20
	s_sub_u32 s10, 0, s20
	s_subb_u32 s11, 0, 0
	s_delay_alu instid0(VALU_DEP_1) | instskip(NEXT) | instid1(VALU_DEP_1)
	v_fmamk_f32 v1, v1, 0x4f800000, v2
	v_rcp_f32_e32 v1, v1
	s_waitcnt_depctr 0xfff
	v_mul_f32_e32 v1, 0x5f7ffffc, v1
	s_delay_alu instid0(VALU_DEP_1) | instskip(NEXT) | instid1(VALU_DEP_1)
	v_mul_f32_e32 v2, 0x2f800000, v1
	v_trunc_f32_e32 v2, v2
	s_delay_alu instid0(VALU_DEP_1) | instskip(SKIP_1) | instid1(VALU_DEP_2)
	v_fmamk_f32 v1, v2, 0xcf800000, v1
	v_cvt_u32_f32_e32 v2, v2
	v_cvt_u32_f32_e32 v1, v1
	s_delay_alu instid0(VALU_DEP_2) | instskip(NEXT) | instid1(VALU_DEP_2)
	v_readfirstlane_b32 s8, v2
	v_readfirstlane_b32 s9, v1
	s_delay_alu instid0(VALU_DEP_2) | instskip(NEXT) | instid1(VALU_DEP_1)
	s_mul_i32 s16, s10, s8
	s_mul_hi_u32 s18, s10, s9
	s_mul_i32 s17, s11, s9
	s_add_i32 s16, s18, s16
	s_mul_i32 s19, s10, s9
	s_add_i32 s16, s16, s17
	s_mul_hi_u32 s18, s9, s19
	s_mul_hi_u32 s21, s8, s19
	s_mul_i32 s17, s8, s19
	s_mul_hi_u32 s19, s9, s16
	s_mul_i32 s9, s9, s16
	s_mul_hi_u32 s22, s8, s16
	s_add_u32 s9, s18, s9
	s_addc_u32 s18, 0, s19
	s_add_u32 s9, s9, s17
	s_mul_i32 s16, s8, s16
	s_addc_u32 s9, s18, s21
	s_addc_u32 s17, s22, 0
	s_add_u32 s9, s9, s16
	s_addc_u32 s16, 0, s17
	v_add_co_u32 v1, s9, v1, s9
	s_delay_alu instid0(VALU_DEP_1) | instskip(SKIP_1) | instid1(VALU_DEP_1)
	s_cmp_lg_u32 s9, 0
	s_addc_u32 s8, s8, s16
	v_readfirstlane_b32 s9, v1
	s_mul_i32 s16, s10, s8
	s_delay_alu instid0(VALU_DEP_1)
	s_mul_hi_u32 s17, s10, s9
	s_mul_i32 s11, s11, s9
	s_add_i32 s16, s17, s16
	s_mul_i32 s10, s10, s9
	s_add_i32 s16, s16, s11
	s_mul_hi_u32 s17, s8, s10
	s_mul_i32 s18, s8, s10
	s_mul_hi_u32 s10, s9, s10
	s_mul_hi_u32 s19, s9, s16
	s_mul_i32 s9, s9, s16
	s_mul_hi_u32 s11, s8, s16
	s_add_u32 s9, s10, s9
	s_addc_u32 s10, 0, s19
	s_add_u32 s9, s9, s18
	s_mul_i32 s16, s8, s16
	s_addc_u32 s9, s10, s17
	s_addc_u32 s10, s11, 0
	s_add_u32 s9, s9, s16
	s_addc_u32 s10, 0, s10
	v_add_co_u32 v1, s9, v1, s9
	s_delay_alu instid0(VALU_DEP_1) | instskip(SKIP_2) | instid1(SALU_CYCLE_1)
	s_cmp_lg_u32 s9, 0
	s_addc_u32 s16, s8, s10
	s_ashr_i32 s8, s3, 31
	s_add_u32 s10, s12, s8
	s_addc_u32 s11, s3, s8
	v_readfirstlane_b32 s3, v1
	s_mov_b32 s9, s8
	s_delay_alu instid0(SALU_CYCLE_1) | instskip(NEXT) | instid1(SALU_CYCLE_1)
	s_xor_b64 s[10:11], s[10:11], s[8:9]
	s_mul_i32 s18, s10, s16
	s_delay_alu instid0(VALU_DEP_1)
	s_mul_hi_u32 s19, s10, s3
	s_mul_hi_u32 s17, s10, s16
	s_mul_hi_u32 s22, s11, s3
	s_mul_i32 s3, s11, s3
	s_add_u32 s18, s19, s18
	s_addc_u32 s17, 0, s17
	s_mul_hi_u32 s21, s11, s16
	s_add_u32 s3, s18, s3
	s_mul_i32 s16, s11, s16
	s_addc_u32 s3, s17, s22
	s_addc_u32 s17, s21, 0
	s_add_u32 s3, s3, s16
	s_addc_u32 s16, 0, s17
	s_mul_i32 s18, s20, s3
	s_add_u32 s17, s3, 1
	v_sub_co_u32 v1, s10, s10, s18
	s_mul_hi_u32 s18, s20, s3
	s_addc_u32 s19, s16, 0
	s_mul_i32 s21, s20, s16
	s_delay_alu instid0(VALU_DEP_1)
	v_sub_co_u32 v2, s22, v1, s20
	s_add_u32 s23, s3, 2
	s_addc_u32 s24, s16, 0
	s_add_i32 s18, s18, s21
	s_cmp_lg_u32 s10, 0
	v_readfirstlane_b32 s10, v2
	s_subb_u32 s11, s11, s18
	s_cmp_lg_u32 s22, 0
	s_subb_u32 s18, s11, 0
	s_delay_alu instid0(VALU_DEP_1) | instskip(SKIP_4) | instid1(SALU_CYCLE_1)
	s_cmp_ge_u32 s10, s20
	s_cselect_b32 s10, -1, 0
	s_cmp_eq_u32 s18, 0
	v_readfirstlane_b32 s18, v1
	s_cselect_b32 s10, s10, -1
	s_cmp_lg_u32 s10, 0
	s_cselect_b32 s10, s23, s17
	s_cselect_b32 s17, s24, s19
	s_cmp_ge_u32 s18, s20
	s_cselect_b32 s18, -1, 0
	s_cmp_eq_u32 s11, 0
	s_cselect_b32 s11, s18, -1
	s_delay_alu instid0(SALU_CYCLE_1) | instskip(SKIP_2) | instid1(SALU_CYCLE_1)
	s_cmp_lg_u32 s11, 0
	s_cselect_b32 s11, s17, s16
	s_cselect_b32 s10, s10, s3
	s_xor_b64 s[10:11], s[10:11], s[8:9]
	s_delay_alu instid0(SALU_CYCLE_1)
	s_sub_u32 s16, s10, s8
	s_load_b128 s[8:11], s[0:1], 0x44
	s_and_not1_b32 vcc_lo, exec_lo, s2
	s_cbranch_vccnz .LBB67_3
.LBB67_2:
	v_cvt_f32_u32_e32 v1, s20
	s_sub_i32 s3, 0, s20
	s_delay_alu instid0(VALU_DEP_1) | instskip(SKIP_2) | instid1(VALU_DEP_1)
	v_rcp_iflag_f32_e32 v1, v1
	s_waitcnt_depctr 0xfff
	v_mul_f32_e32 v1, 0x4f7ffffe, v1
	v_cvt_u32_f32_e32 v1, v1
	s_delay_alu instid0(VALU_DEP_1) | instskip(NEXT) | instid1(VALU_DEP_1)
	v_readfirstlane_b32 s2, v1
	s_mul_i32 s3, s3, s2
	s_delay_alu instid0(SALU_CYCLE_1) | instskip(NEXT) | instid1(SALU_CYCLE_1)
	s_mul_hi_u32 s3, s2, s3
	s_add_i32 s2, s2, s3
	s_delay_alu instid0(SALU_CYCLE_1) | instskip(NEXT) | instid1(SALU_CYCLE_1)
	s_mul_hi_u32 s2, s12, s2
	s_mul_i32 s3, s2, s20
	s_waitcnt lgkmcnt(0)
	s_add_i32 s11, s2, 1
	s_sub_i32 s3, s12, s3
	s_delay_alu instid0(SALU_CYCLE_1)
	s_sub_i32 s12, s3, s20
	s_cmp_ge_u32 s3, s20
	s_cselect_b32 s2, s11, s2
	s_cselect_b32 s3, s12, s3
	s_add_i32 s11, s2, 1
	s_cmp_ge_u32 s3, s20
	s_cselect_b32 s16, s11, s2
.LBB67_3:
	s_waitcnt lgkmcnt(0)
	s_add_i32 s11, s13, 1
	s_mov_b32 s2, 0
	s_mul_hi_i32 s3, s7, s11
	s_mul_i32 s11, s7, s11
	s_cmp_lg_u64 s[2:3], 0
	s_cbranch_scc0 .LBB67_22
; %bb.4:
	v_cvt_f32_ubyte0_e32 v1, 0
	v_cvt_f32_u32_e32 v2, s20
	s_sub_u32 s18, 0, s20
	s_subb_u32 s19, 0, 0
	s_delay_alu instid0(VALU_DEP_1) | instskip(NEXT) | instid1(VALU_DEP_1)
	v_fmamk_f32 v1, v1, 0x4f800000, v2
	v_rcp_f32_e32 v1, v1
	s_waitcnt_depctr 0xfff
	v_mul_f32_e32 v1, 0x5f7ffffc, v1
	s_delay_alu instid0(VALU_DEP_1) | instskip(NEXT) | instid1(VALU_DEP_1)
	v_mul_f32_e32 v2, 0x2f800000, v1
	v_trunc_f32_e32 v2, v2
	s_delay_alu instid0(VALU_DEP_1) | instskip(SKIP_1) | instid1(VALU_DEP_2)
	v_fmamk_f32 v1, v2, 0xcf800000, v1
	v_cvt_u32_f32_e32 v2, v2
	v_cvt_u32_f32_e32 v1, v1
	s_delay_alu instid0(VALU_DEP_2) | instskip(NEXT) | instid1(VALU_DEP_2)
	v_readfirstlane_b32 s12, v2
	v_readfirstlane_b32 s17, v1
	s_delay_alu instid0(VALU_DEP_2) | instskip(NEXT) | instid1(VALU_DEP_1)
	s_mul_i32 s21, s18, s12
	s_mul_hi_u32 s23, s18, s17
	s_mul_i32 s22, s19, s17
	s_add_i32 s21, s23, s21
	s_mul_i32 s24, s18, s17
	s_add_i32 s21, s21, s22
	s_mul_hi_u32 s23, s17, s24
	s_mul_hi_u32 s25, s12, s24
	s_mul_i32 s22, s12, s24
	s_mul_hi_u32 s24, s17, s21
	s_mul_i32 s17, s17, s21
	s_mul_hi_u32 s26, s12, s21
	s_add_u32 s17, s23, s17
	s_addc_u32 s23, 0, s24
	s_add_u32 s17, s17, s22
	s_mul_i32 s21, s12, s21
	s_addc_u32 s17, s23, s25
	s_addc_u32 s22, s26, 0
	s_add_u32 s17, s17, s21
	s_addc_u32 s21, 0, s22
	v_add_co_u32 v1, s17, v1, s17
	s_delay_alu instid0(VALU_DEP_1) | instskip(SKIP_1) | instid1(VALU_DEP_1)
	s_cmp_lg_u32 s17, 0
	s_addc_u32 s12, s12, s21
	v_readfirstlane_b32 s17, v1
	s_mul_i32 s21, s18, s12
	s_delay_alu instid0(VALU_DEP_1)
	s_mul_hi_u32 s22, s18, s17
	s_mul_i32 s19, s19, s17
	s_add_i32 s21, s22, s21
	s_mul_i32 s18, s18, s17
	s_add_i32 s21, s21, s19
	s_mul_hi_u32 s22, s12, s18
	s_mul_i32 s23, s12, s18
	s_mul_hi_u32 s18, s17, s18
	s_mul_hi_u32 s24, s17, s21
	s_mul_i32 s17, s17, s21
	s_mul_hi_u32 s19, s12, s21
	s_add_u32 s17, s18, s17
	s_addc_u32 s18, 0, s24
	s_add_u32 s17, s17, s23
	s_mul_i32 s21, s12, s21
	s_addc_u32 s17, s18, s22
	s_addc_u32 s18, s19, 0
	s_add_u32 s17, s17, s21
	s_addc_u32 s18, 0, s18
	v_add_co_u32 v1, s17, v1, s17
	s_delay_alu instid0(VALU_DEP_1) | instskip(SKIP_2) | instid1(SALU_CYCLE_1)
	s_cmp_lg_u32 s17, 0
	s_addc_u32 s12, s12, s18
	s_ashr_i32 s18, s3, 31
	s_add_u32 s22, s11, s18
	s_addc_u32 s23, s3, s18
	v_readfirstlane_b32 s3, v1
	s_mov_b32 s19, s18
	s_delay_alu instid0(SALU_CYCLE_1) | instskip(NEXT) | instid1(SALU_CYCLE_1)
	s_xor_b64 s[22:23], s[22:23], s[18:19]
	s_mul_i32 s21, s22, s12
	s_delay_alu instid0(VALU_DEP_1)
	s_mul_hi_u32 s24, s22, s3
	s_mul_hi_u32 s17, s22, s12
	;; [unrolled: 1-line block ×3, first 2 shown]
	s_mul_i32 s3, s23, s3
	s_add_u32 s21, s24, s21
	s_addc_u32 s17, 0, s17
	s_mul_hi_u32 s25, s23, s12
	s_add_u32 s3, s21, s3
	s_mul_i32 s12, s23, s12
	s_addc_u32 s3, s17, s26
	s_addc_u32 s17, s25, 0
	s_add_u32 s3, s3, s12
	s_addc_u32 s12, 0, s17
	s_mul_i32 s21, s20, s3
	s_add_u32 s17, s3, 1
	v_sub_co_u32 v1, s21, s22, s21
	s_mul_hi_u32 s22, s20, s3
	s_addc_u32 s24, s12, 0
	s_mul_i32 s25, s20, s12
	s_delay_alu instid0(VALU_DEP_1)
	v_sub_co_u32 v2, s26, v1, s20
	s_add_u32 s27, s3, 2
	s_addc_u32 s28, s12, 0
	s_add_i32 s22, s22, s25
	s_cmp_lg_u32 s21, 0
	v_readfirstlane_b32 s21, v2
	s_subb_u32 s22, s23, s22
	s_cmp_lg_u32 s26, 0
	s_subb_u32 s23, s22, 0
	s_delay_alu instid0(VALU_DEP_1) | instskip(SKIP_4) | instid1(SALU_CYCLE_1)
	s_cmp_ge_u32 s21, s20
	s_cselect_b32 s21, -1, 0
	s_cmp_eq_u32 s23, 0
	v_readfirstlane_b32 s23, v1
	s_cselect_b32 s21, s21, -1
	s_cmp_lg_u32 s21, 0
	s_cselect_b32 s17, s27, s17
	s_cselect_b32 s21, s28, s24
	s_cmp_ge_u32 s23, s20
	s_cselect_b32 s23, -1, 0
	s_cmp_eq_u32 s22, 0
	s_cselect_b32 s22, s23, -1
	s_delay_alu instid0(SALU_CYCLE_1) | instskip(SKIP_2) | instid1(SALU_CYCLE_1)
	s_cmp_lg_u32 s22, 0
	s_cselect_b32 s23, s21, s12
	s_cselect_b32 s22, s17, s3
	s_xor_b64 s[22:23], s[22:23], s[18:19]
	s_delay_alu instid0(SALU_CYCLE_1)
	s_sub_u32 s18, s22, s18
	s_and_not1_b32 vcc_lo, exec_lo, s2
	s_cbranch_vccnz .LBB67_6
.LBB67_5:
	v_cvt_f32_u32_e32 v1, s20
	s_sub_i32 s3, 0, s20
	s_delay_alu instid0(VALU_DEP_1) | instskip(SKIP_2) | instid1(VALU_DEP_1)
	v_rcp_iflag_f32_e32 v1, v1
	s_waitcnt_depctr 0xfff
	v_mul_f32_e32 v1, 0x4f7ffffe, v1
	v_cvt_u32_f32_e32 v1, v1
	s_delay_alu instid0(VALU_DEP_1) | instskip(NEXT) | instid1(VALU_DEP_1)
	v_readfirstlane_b32 s2, v1
	s_mul_i32 s3, s3, s2
	s_delay_alu instid0(SALU_CYCLE_1) | instskip(NEXT) | instid1(SALU_CYCLE_1)
	s_mul_hi_u32 s3, s2, s3
	s_add_i32 s2, s2, s3
	s_delay_alu instid0(SALU_CYCLE_1) | instskip(NEXT) | instid1(SALU_CYCLE_1)
	s_mul_hi_u32 s2, s11, s2
	s_mul_i32 s3, s2, s20
	s_delay_alu instid0(SALU_CYCLE_1)
	s_sub_i32 s3, s11, s3
	s_add_i32 s11, s2, 1
	s_sub_i32 s12, s3, s20
	s_cmp_ge_u32 s3, s20
	s_cselect_b32 s2, s11, s2
	s_cselect_b32 s3, s12, s3
	s_add_i32 s11, s2, 1
	s_cmp_ge_u32 s3, s20
	s_cselect_b32 s18, s11, s2
.LBB67_6:
	s_delay_alu instid0(SALU_CYCLE_1) | instskip(SKIP_3) | instid1(SALU_CYCLE_1)
	s_cmp_eq_u32 s16, s18
	s_mul_hi_u32 s2, s16, s8
	s_cselect_b32 s3, -1, 0
	s_add_i32 s2, s2, s16
	s_lshr_b32 s11, s2, s9
	s_delay_alu instid0(SALU_CYCLE_1) | instskip(NEXT) | instid1(SALU_CYCLE_1)
	s_mul_i32 s2, s11, s10
	s_cmp_eq_u32 s2, s16
	s_mul_hi_u32 s2, s18, s8
	s_cselect_b32 s12, -1, 0
	s_add_i32 s2, s2, s18
	s_delay_alu instid0(SALU_CYCLE_1) | instskip(NEXT) | instid1(SALU_CYCLE_1)
	s_lshr_b32 s2, s2, s9
	s_cmp_eq_u32 s11, s2
	s_mul_i32 s2, s2, s10
	s_cselect_b32 s17, -1, 0
	s_cmp_lg_u32 s2, s18
	s_cselect_b32 s2, -1, 0
	s_or_b32 s3, s3, s12
	s_and_b32 s2, s17, s2
	s_delay_alu instid0(SALU_CYCLE_1) | instskip(NEXT) | instid1(SALU_CYCLE_1)
	s_or_b32 s2, s3, s2
	s_and_b32 vcc_lo, exec_lo, s2
	s_cbranch_vccnz .LBB67_24
; %bb.7:
	s_load_b256 s[24:31], s[0:1], 0x20
	s_waitcnt lgkmcnt(0)
	s_mul_hi_u32 s2, s16, s24
	s_delay_alu instid0(SALU_CYCLE_1) | instskip(NEXT) | instid1(SALU_CYCLE_1)
	s_add_i32 s2, s2, s16
	s_lshr_b32 s18, s2, s25
	s_load_b32 s2, s[0:1], 0x40
	s_mul_i32 s3, s18, s26
	s_delay_alu instid0(SALU_CYCLE_1) | instskip(NEXT) | instid1(SALU_CYCLE_1)
	s_sub_i32 s3, s16, s3
	s_mul_hi_u32 s12, s3, s27
	s_delay_alu instid0(SALU_CYCLE_1) | instskip(NEXT) | instid1(SALU_CYCLE_1)
	s_add_i32 s12, s3, s12
	s_lshr_b32 s21, s12, s28
	s_delay_alu instid0(SALU_CYCLE_1) | instskip(NEXT) | instid1(SALU_CYCLE_1)
	s_mul_i32 s12, s21, s29
	s_sub_i32 s3, s3, s12
	s_delay_alu instid0(SALU_CYCLE_1) | instskip(NEXT) | instid1(SALU_CYCLE_1)
	s_mul_hi_u32 s12, s3, s30
	s_add_i32 s12, s3, s12
	s_delay_alu instid0(SALU_CYCLE_1) | instskip(SKIP_3) | instid1(SALU_CYCLE_1)
	s_lshr_b32 s22, s12, s31
	s_mov_b32 s12, 0
	s_waitcnt lgkmcnt(0)
	s_mul_i32 s2, s22, s2
	s_sub_i32 s2, s3, s2
	s_delay_alu instid0(SALU_CYCLE_1) | instskip(NEXT) | instid1(SALU_CYCLE_1)
	s_mul_hi_u32 s3, s2, s8
	s_add_i32 s2, s2, s3
	s_delay_alu instid0(SALU_CYCLE_1) | instskip(NEXT) | instid1(SALU_CYCLE_1)
	s_lshr_b32 s23, s2, s9
	s_lshl_b32 s2, s23, 2
	s_delay_alu instid0(SALU_CYCLE_1) | instskip(NEXT) | instid1(SALU_CYCLE_1)
	s_add_i32 s2, s2, s14
	s_cmp_lt_i32 s2, s4
	s_cselect_b32 s2, -1, 0
	s_add_i32 s3, s22, s15
	s_delay_alu instid0(SALU_CYCLE_1) | instskip(SKIP_1) | instid1(SALU_CYCLE_1)
	s_cmp_lt_i32 s3, s6
	s_cselect_b32 s3, -1, 0
	s_and_b32 s2, s2, s3
	s_delay_alu instid0(SALU_CYCLE_1)
	s_and_not1_b32 vcc_lo, exec_lo, s2
	s_cbranch_vccnz .LBB67_24
; %bb.8:
	s_load_b128 s[0:3], s[0:1], 0x0
	s_lshl_b32 s24, s20, 4
	s_mov_b32 s25, s12
	s_add_i32 s17, s14, s15
	s_lshl_b64 s[24:25], s[24:25], 2
	s_mul_i32 s4, s18, s4
	s_mul_i32 s21, s21, s6
	v_cvt_f32_ubyte0_e32 v4, 0
	v_cvt_f32_u32_e32 v5, s20
	s_waitcnt lgkmcnt(0)
	s_add_u32 s18, s2, s24
	s_addc_u32 s19, s3, s25
	s_add_i32 s4, s4, s14
	s_delay_alu instid0(SALU_CYCLE_1) | instskip(SKIP_4) | instid1(SALU_CYCLE_1)
	s_mul_i32 s4, s4, s5
	s_mul_i32 s5, s5, s23
	s_add_i32 s4, s4, s15
	s_lshl_b32 s5, s5, 8
	s_add_i32 s4, s4, s21
	s_add_i32 s4, s4, s22
	s_delay_alu instid0(SALU_CYCLE_1) | instskip(NEXT) | instid1(SALU_CYCLE_1)
	s_lshl_b32 s4, s4, 6
	s_add_i32 s5, s5, s4
	s_delay_alu instid0(SALU_CYCLE_1) | instskip(SKIP_1) | instid1(VALU_DEP_2)
	v_or_b32_e32 v1, s5, v0
	v_lshl_or_b32 v0, s17, 6, v0
	v_ashrrev_i32_e32 v2, 31, v1
	s_delay_alu instid0(VALU_DEP_1) | instskip(NEXT) | instid1(VALU_DEP_1)
	v_lshlrev_b64 v[1:2], 2, v[1:2]
	v_add_co_u32 v1, vcc_lo, s0, v1
	s_delay_alu instid0(VALU_DEP_2) | instskip(SKIP_1) | instid1(SALU_CYCLE_1)
	v_add_co_ci_u32_e32 v2, vcc_lo, s1, v2, vcc_lo
	s_lshl_b32 s0, s13, 2
	s_add_i32 s0, s0, s17
	global_load_b32 v3, v[1:2], off
	s_ashr_i32 s1, s0, 31
	s_delay_alu instid0(SALU_CYCLE_1) | instskip(NEXT) | instid1(SALU_CYCLE_1)
	s_lshl_b64 s[0:1], s[0:1], 3
	s_add_u32 s0, s2, s0
	s_addc_u32 s1, s3, s1
	s_add_i32 s14, s13, -1
	s_load_b64 s[0:1], s[0:1], 0x0
	v_fmac_f32_e32 v5, 0x4f800000, v4
	s_sub_i32 s6, 0, s20
	s_waitcnt lgkmcnt(0)
	v_mov_b32_e32 v8, s0
	s_delay_alu instid0(VALU_DEP_2) | instskip(SKIP_2) | instid1(VALU_DEP_2)
	v_rcp_f32_e32 v4, v5
	v_cvt_f32_u32_e32 v5, s20
	v_mov_b32_e32 v7, s1
	v_rcp_iflag_f32_e32 v5, v5
	s_waitcnt_depctr 0xfff
	v_mul_f32_e32 v4, 0x5f7ffffc, v4
	s_delay_alu instid0(VALU_DEP_1) | instskip(SKIP_1) | instid1(VALU_DEP_2)
	v_mul_f32_e32 v6, 0x2f800000, v4
	v_mul_f32_e32 v9, 0x4f7ffffe, v5
	v_trunc_f32_e32 v6, v6
	s_delay_alu instid0(VALU_DEP_1) | instskip(SKIP_1) | instid1(VALU_DEP_4)
	v_fmac_f32_e32 v4, 0xcf800000, v6
	v_cvt_u32_f32_e32 v5, v6
	v_cvt_u32_f32_e32 v6, v9
	s_delay_alu instid0(VALU_DEP_3)
	v_cvt_u32_f32_e32 v4, v4
.LBB67_9:                               ; =>This Inner Loop Header: Depth=1
	s_mul_hi_i32 s13, s14, s7
	s_mul_i32 s4, s14, s7
	s_cmp_lg_u64 s[12:13], 0
	s_mov_b32 s5, -1
                                        ; implicit-def: $sgpr0_sgpr1
	s_cbranch_scc0 .LBB67_11
; %bb.10:                               ;   in Loop: Header=BB67_9 Depth=1
	v_readfirstlane_b32 s0, v4
	v_readfirstlane_b32 s1, v5
	s_sub_u32 s5, 0, s20
	s_subb_u32 s15, 0, 0
	s_delay_alu instid0(VALU_DEP_2) | instskip(NEXT) | instid1(VALU_DEP_1)
	s_mul_hi_u32 s21, s5, s0
	s_mul_i32 s22, s5, s1
	s_mul_i32 s23, s15, s0
	s_add_i32 s21, s21, s22
	s_mul_i32 s22, s5, s0
	s_add_i32 s21, s21, s23
	s_mul_hi_u32 s23, s0, s22
	s_mul_i32 s24, s0, s21
	s_mul_hi_u32 s0, s0, s21
	s_add_u32 s23, s23, s24
	s_mul_i32 s25, s1, s22
	s_addc_u32 s0, 0, s0
	s_mul_hi_u32 s22, s1, s22
	s_mul_hi_u32 s24, s1, s21
	s_add_u32 s23, s23, s25
	s_addc_u32 s0, s0, s22
	s_mul_i32 s21, s1, s21
	s_addc_u32 s22, s24, 0
	s_add_u32 s0, s0, s21
	s_addc_u32 s21, 0, s22
	v_add_co_u32 v9, s0, v4, s0
	s_delay_alu instid0(VALU_DEP_1) | instskip(SKIP_1) | instid1(VALU_DEP_1)
	s_cmp_lg_u32 s0, 0
	s_addc_u32 s1, s1, s21
	v_readfirstlane_b32 s0, v9
	s_mul_i32 s21, s5, s1
	s_delay_alu instid0(VALU_DEP_1)
	s_mul_hi_u32 s22, s5, s0
	s_mul_i32 s15, s15, s0
	s_add_i32 s21, s22, s21
	s_mul_i32 s5, s5, s0
	s_add_i32 s21, s21, s15
	s_mul_hi_u32 s15, s1, s5
	s_mul_i32 s23, s1, s5
	s_mul_i32 s24, s0, s21
	s_mul_hi_u32 s5, s0, s5
	s_mul_hi_u32 s0, s0, s21
	s_add_u32 s5, s5, s24
	s_addc_u32 s0, 0, s0
	s_mul_hi_u32 s22, s1, s21
	s_add_u32 s5, s5, s23
	s_addc_u32 s0, s0, s15
	s_mul_i32 s5, s1, s21
	s_addc_u32 s15, s22, 0
	s_add_u32 s0, s0, s5
	s_addc_u32 s5, 0, s15
	v_add_co_u32 v9, s0, v9, s0
	s_delay_alu instid0(VALU_DEP_1) | instskip(SKIP_2) | instid1(SALU_CYCLE_1)
	s_cmp_lg_u32 s0, 0
	s_addc_u32 s5, s1, s5
	s_ashr_i32 s0, s13, 31
	s_add_u32 s22, s4, s0
	s_addc_u32 s23, s13, s0
	v_readfirstlane_b32 s13, v9
	s_mov_b32 s1, s0
	s_delay_alu instid0(SALU_CYCLE_1) | instskip(NEXT) | instid1(SALU_CYCLE_1)
	s_xor_b64 s[22:23], s[22:23], s[0:1]
	s_mul_i32 s15, s22, s5
	s_delay_alu instid0(VALU_DEP_1)
	s_mul_hi_u32 s21, s22, s13
	s_mul_hi_u32 s24, s22, s5
	s_add_u32 s15, s21, s15
	s_mul_i32 s25, s23, s13
	s_addc_u32 s21, 0, s24
	s_mul_hi_u32 s13, s23, s13
	s_mul_hi_u32 s24, s23, s5
	s_add_u32 s15, s15, s25
	s_addc_u32 s13, s21, s13
	s_mul_i32 s5, s23, s5
	s_addc_u32 s15, s24, 0
	s_add_u32 s5, s13, s5
	s_addc_u32 s13, 0, s15
	s_mul_i32 s21, s20, s5
	s_add_u32 s15, s5, 1
	v_sub_co_u32 v9, s21, s22, s21
	s_addc_u32 s22, s13, 0
	s_mul_i32 s25, s20, s13
	s_mul_hi_u32 s27, s20, s5
	s_delay_alu instid0(VALU_DEP_1)
	v_sub_co_u32 v10, s26, v9, s20
	s_add_u32 s24, s5, 2
	s_addc_u32 s28, s13, 0
	s_add_i32 s27, s27, s25
	s_cmp_lg_u32 s21, 0
	v_readfirstlane_b32 s21, v10
	s_subb_u32 s23, s23, s27
	s_cmp_lg_u32 s26, 0
	s_subb_u32 s25, s23, 0
	s_delay_alu instid0(VALU_DEP_1) | instskip(SKIP_4) | instid1(SALU_CYCLE_1)
	s_cmp_ge_u32 s21, s20
	s_cselect_b32 s21, -1, 0
	s_cmp_eq_u32 s25, 0
	v_readfirstlane_b32 s25, v9
	s_cselect_b32 s21, s21, -1
	s_cmp_lg_u32 s21, 0
	s_cselect_b32 s15, s24, s15
	s_cselect_b32 s21, s28, s22
	s_cmp_ge_u32 s25, s20
	s_cselect_b32 s22, -1, 0
	s_cmp_eq_u32 s23, 0
	s_cselect_b32 s22, s22, -1
	s_delay_alu instid0(SALU_CYCLE_1) | instskip(SKIP_4) | instid1(SALU_CYCLE_1)
	s_cmp_lg_u32 s22, 0
	s_cselect_b32 s23, s21, s13
	s_cselect_b32 s22, s15, s5
	s_mov_b32 s5, 0
	s_xor_b64 s[22:23], s[22:23], s[0:1]
	s_sub_u32 s0, s22, s0
.LBB67_11:                              ;   in Loop: Header=BB67_9 Depth=1
	s_and_not1_b32 vcc_lo, exec_lo, s5
	s_cbranch_vccnz .LBB67_13
; %bb.12:                               ;   in Loop: Header=BB67_9 Depth=1
	v_readfirstlane_b32 s0, v6
	s_delay_alu instid0(VALU_DEP_1) | instskip(NEXT) | instid1(SALU_CYCLE_1)
	s_mul_i32 s1, s6, s0
	s_mul_hi_u32 s1, s0, s1
	s_delay_alu instid0(SALU_CYCLE_1) | instskip(NEXT) | instid1(SALU_CYCLE_1)
	s_add_i32 s0, s0, s1
	s_mul_hi_u32 s0, s4, s0
	s_delay_alu instid0(SALU_CYCLE_1) | instskip(NEXT) | instid1(SALU_CYCLE_1)
	s_mul_i32 s1, s0, s20
	s_sub_i32 s1, s4, s1
	s_add_i32 s4, s0, 1
	s_sub_i32 s5, s1, s20
	s_cmp_ge_u32 s1, s20
	s_cselect_b32 s0, s4, s0
	s_cselect_b32 s1, s5, s1
	s_add_i32 s4, s0, 1
	s_cmp_ge_u32 s1, s20
	s_cselect_b32 s0, s4, s0
.LBB67_13:                              ;   in Loop: Header=BB67_9 Depth=1
	s_delay_alu instid0(SALU_CYCLE_1)
	s_cmp_lg_u32 s16, s0
	s_cbranch_scc0 .LBB67_17
; %bb.14:                               ;   in Loop: Header=BB67_9 Depth=1
	s_add_i32 s1, s14, s20
	s_mov_b32 s5, s12
	s_lshl_b32 s1, s1, 2
	s_mov_b32 s15, s16
	s_add_i32 s4, s1, s17
	s_mul_hi_u32 s1, s0, s8
	s_lshl_b64 s[4:5], s[4:5], 3
	s_delay_alu instid0(SALU_CYCLE_1) | instskip(SKIP_2) | instid1(SALU_CYCLE_1)
	s_add_u32 s4, s2, s4
	s_addc_u32 s5, s3, s5
	s_add_i32 s1, s1, s0
	s_lshr_b32 s1, s1, s9
	s_delay_alu instid0(SALU_CYCLE_1) | instskip(NEXT) | instid1(SALU_CYCLE_1)
	s_mul_i32 s13, s1, s10
	s_cmp_eq_u32 s13, s0
	s_cselect_b32 s13, -1, 0
	s_cmp_lt_u32 s1, s11
	s_cselect_b32 s1, -1, 0
	s_delay_alu instid0(SALU_CYCLE_1)
	s_or_b32 s1, s1, s13
	s_mov_b32 s13, -1
	s_and_b32 vcc_lo, exec_lo, s1
	s_mov_b32 s1, s14
	s_cbranch_vccnz .LBB67_16
; %bb.15:                               ;   in Loop: Header=BB67_9 Depth=1
	s_add_i32 s1, s14, -1
	s_mov_b32 s13, 0
	s_mov_b32 s15, s0
.LBB67_16:                              ;   in Loop: Header=BB67_9 Depth=1
	v_lshl_add_u32 v9, s14, 8, v0
	s_load_b64 s[4:5], s[4:5], 0x0
	s_delay_alu instid0(VALU_DEP_1) | instskip(NEXT) | instid1(VALU_DEP_1)
	v_ashrrev_i32_e32 v10, 31, v9
	v_lshlrev_b64 v[9:10], 2, v[9:10]
	s_delay_alu instid0(VALU_DEP_1) | instskip(NEXT) | instid1(VALU_DEP_2)
	v_add_co_u32 v9, vcc_lo, s18, v9
	v_add_co_ci_u32_e32 v10, vcc_lo, s19, v10, vcc_lo
	s_waitcnt lgkmcnt(0)
	v_max_f32_e64 v11, s4, s4
	global_load_b32 v10, v[9:10], off
	v_max_f32_e32 v9, v8, v8
	s_delay_alu instid0(VALU_DEP_1) | instskip(NEXT) | instid1(VALU_DEP_1)
	v_max_f32_e32 v9, v9, v11
	v_sub_f32_e32 v12, v8, v9
	s_delay_alu instid0(VALU_DEP_1) | instskip(NEXT) | instid1(VALU_DEP_1)
	v_dual_mul_f32 v14, 0x3fb8aa3b, v12 :: v_dual_sub_f32 v11, s4, v9
	v_rndne_f32_e32 v18, v14
	s_delay_alu instid0(VALU_DEP_2) | instskip(SKIP_2) | instid1(VALU_DEP_4)
	v_mul_f32_e32 v13, 0x3fb8aa3b, v11
	v_fma_f32 v17, 0x3fb8aa3b, v12, -v14
	v_cmp_ngt_f32_e32 vcc_lo, 0xc2ce8ed0, v11
	v_sub_f32_e32 v14, v14, v18
	s_delay_alu instid0(VALU_DEP_4) | instskip(SKIP_2) | instid1(VALU_DEP_3)
	v_fma_f32 v15, 0x3fb8aa3b, v11, -v13
	v_rndne_f32_e32 v16, v13
	v_fmac_f32_e32 v17, 0x32a5705f, v12
	v_fmac_f32_e32 v15, 0x32a5705f, v11
	s_delay_alu instid0(VALU_DEP_2) | instskip(NEXT) | instid1(VALU_DEP_1)
	v_dual_sub_f32 v13, v13, v16 :: v_dual_add_f32 v14, v14, v17
	v_add_f32_e32 v13, v13, v15
	s_delay_alu instid0(VALU_DEP_2) | instskip(SKIP_2) | instid1(VALU_DEP_3)
	v_exp_f32_e32 v14, v14
	v_cvt_i32_f32_e32 v15, v16
	v_cvt_i32_f32_e32 v16, v18
	v_exp_f32_e32 v13, v13
	s_waitcnt_depctr 0xfff
	v_ldexp_f32 v14, v14, v16
	v_ldexp_f32 v13, v13, v15
	s_delay_alu instid0(VALU_DEP_1) | instskip(SKIP_1) | instid1(VALU_DEP_4)
	v_cndmask_b32_e32 v13, 0, v13, vcc_lo
	v_cmp_ngt_f32_e32 vcc_lo, 0xc2ce8ed0, v12
	v_cndmask_b32_e32 v14, 0, v14, vcc_lo
	v_cmp_nlt_f32_e32 vcc_lo, 0x42b17218, v11
	s_delay_alu instid0(VALU_DEP_4) | instskip(SKIP_1) | instid1(VALU_DEP_4)
	v_cndmask_b32_e32 v13, 0x7f800000, v13, vcc_lo
	v_cmp_nlt_f32_e32 vcc_lo, 0x42b17218, v12
	v_cndmask_b32_e32 v14, 0x7f800000, v14, vcc_lo
	v_cmp_le_f32_e32 vcc_lo, 0xc1a00000, v11
	s_delay_alu instid0(VALU_DEP_4) | instskip(SKIP_1) | instid1(VALU_DEP_4)
	v_cndmask_b32_e32 v11, 0, v13, vcc_lo
	v_cmp_le_f32_e32 vcc_lo, 0xc1a00000, v12
	v_cndmask_b32_e32 v12, 0, v14, vcc_lo
	s_waitcnt vmcnt(0)
	s_delay_alu instid0(VALU_DEP_3) | instskip(NEXT) | instid1(VALU_DEP_1)
	v_mul_f32_e32 v10, v10, v11
	v_dual_mul_f32 v11, s5, v11 :: v_dual_fmac_f32 v10, v3, v12
	s_delay_alu instid0(VALU_DEP_1)
	v_fmac_f32_e32 v11, v7, v12
	s_cbranch_execz .LBB67_18
	s_branch .LBB67_19
.LBB67_17:                              ;   in Loop: Header=BB67_9 Depth=1
                                        ; implicit-def: $sgpr13
                                        ; implicit-def: $vgpr10
                                        ; implicit-def: $vgpr9
                                        ; implicit-def: $vgpr11
                                        ; implicit-def: $sgpr1
                                        ; implicit-def: $sgpr15
.LBB67_18:                              ;   in Loop: Header=BB67_9 Depth=1
	v_mov_b32_e32 v11, v7
	s_waitcnt vmcnt(0)
	v_dual_mov_b32 v9, v8 :: v_dual_mov_b32 v10, v3
	s_add_i32 s1, s14, -1
	s_mov_b32 s13, 0
	s_mov_b32 s15, s16
.LBB67_19:                              ;   in Loop: Header=BB67_9 Depth=1
	s_and_not1_b32 vcc_lo, exec_lo, s13
	s_cbranch_vccz .LBB67_23
; %bb.20:                               ;   in Loop: Header=BB67_9 Depth=1
	v_dual_mov_b32 v7, v11 :: v_dual_mov_b32 v8, v9
	s_waitcnt vmcnt(0)
	v_mov_b32_e32 v3, v10
	s_mov_b32 s16, s15
	s_mov_b32 s14, s1
	s_branch .LBB67_9
.LBB67_21:
                                        ; implicit-def: $sgpr16_sgpr17
	s_load_b128 s[8:11], s[0:1], 0x44
	s_branch .LBB67_2
.LBB67_22:
                                        ; implicit-def: $sgpr18_sgpr19
	s_branch .LBB67_5
.LBB67_23:
	v_div_scale_f32 v0, null, v11, v11, v10
	s_waitcnt vmcnt(0)
	s_delay_alu instid0(VALU_DEP_1) | instskip(SKIP_2) | instid1(VALU_DEP_1)
	v_rcp_f32_e32 v3, v0
	s_waitcnt_depctr 0xfff
	v_fma_f32 v4, -v0, v3, 1.0
	v_fmac_f32_e32 v3, v4, v3
	v_div_scale_f32 v4, vcc_lo, v10, v11, v10
	s_delay_alu instid0(VALU_DEP_1) | instskip(NEXT) | instid1(VALU_DEP_1)
	v_mul_f32_e32 v5, v4, v3
	v_fma_f32 v6, -v0, v5, v4
	s_delay_alu instid0(VALU_DEP_1) | instskip(NEXT) | instid1(VALU_DEP_1)
	v_fmac_f32_e32 v5, v6, v3
	v_fma_f32 v0, -v0, v5, v4
	s_delay_alu instid0(VALU_DEP_1) | instskip(NEXT) | instid1(VALU_DEP_1)
	v_div_fmas_f32 v0, v0, v3, v5
	v_div_fixup_f32 v0, v0, v11, v10
	global_store_b32 v[1:2], v0, off
.LBB67_24:
	s_nop 0
	s_sendmsg sendmsg(MSG_DEALLOC_VGPRS)
	s_endpgm
	.section	.rodata,"a",@progbits
	.p2align	6, 0x0
	.amdhsa_kernel _ZL33flash_attn_stream_k_fixup_generalILi64ELi4ELi1EEvPfPK15HIP_vector_typeIfLj2EEiiiiS1_IjLj3EES5_S5_S5_
		.amdhsa_group_segment_fixed_size 0
		.amdhsa_private_segment_fixed_size 0
		.amdhsa_kernarg_size 336
		.amdhsa_user_sgpr_count 13
		.amdhsa_user_sgpr_dispatch_ptr 0
		.amdhsa_user_sgpr_queue_ptr 0
		.amdhsa_user_sgpr_kernarg_segment_ptr 1
		.amdhsa_user_sgpr_dispatch_id 0
		.amdhsa_user_sgpr_private_segment_size 0
		.amdhsa_wavefront_size32 1
		.amdhsa_uses_dynamic_stack 0
		.amdhsa_enable_private_segment 0
		.amdhsa_system_sgpr_workgroup_id_x 1
		.amdhsa_system_sgpr_workgroup_id_y 1
		.amdhsa_system_sgpr_workgroup_id_z 1
		.amdhsa_system_sgpr_workgroup_info 0
		.amdhsa_system_vgpr_workitem_id 0
		.amdhsa_next_free_vgpr 19
		.amdhsa_next_free_sgpr 32
		.amdhsa_reserve_vcc 1
		.amdhsa_float_round_mode_32 0
		.amdhsa_float_round_mode_16_64 0
		.amdhsa_float_denorm_mode_32 3
		.amdhsa_float_denorm_mode_16_64 3
		.amdhsa_dx10_clamp 1
		.amdhsa_ieee_mode 1
		.amdhsa_fp16_overflow 0
		.amdhsa_workgroup_processor_mode 1
		.amdhsa_memory_ordered 1
		.amdhsa_forward_progress 0
		.amdhsa_shared_vgpr_count 0
		.amdhsa_exception_fp_ieee_invalid_op 0
		.amdhsa_exception_fp_denorm_src 0
		.amdhsa_exception_fp_ieee_div_zero 0
		.amdhsa_exception_fp_ieee_overflow 0
		.amdhsa_exception_fp_ieee_underflow 0
		.amdhsa_exception_fp_ieee_inexact 0
		.amdhsa_exception_int_div_zero 0
	.end_amdhsa_kernel
	.section	.text._ZL33flash_attn_stream_k_fixup_generalILi64ELi4ELi1EEvPfPK15HIP_vector_typeIfLj2EEiiiiS1_IjLj3EES5_S5_S5_,"axG",@progbits,_ZL33flash_attn_stream_k_fixup_generalILi64ELi4ELi1EEvPfPK15HIP_vector_typeIfLj2EEiiiiS1_IjLj3EES5_S5_S5_,comdat
.Lfunc_end67:
	.size	_ZL33flash_attn_stream_k_fixup_generalILi64ELi4ELi1EEvPfPK15HIP_vector_typeIfLj2EEiiiiS1_IjLj3EES5_S5_S5_, .Lfunc_end67-_ZL33flash_attn_stream_k_fixup_generalILi64ELi4ELi1EEvPfPK15HIP_vector_typeIfLj2EEiiiiS1_IjLj3EES5_S5_S5_
                                        ; -- End function
	.section	.AMDGPU.csdata,"",@progbits
; Kernel info:
; codeLenInByte = 3220
; NumSgprs: 34
; NumVgprs: 19
; ScratchSize: 0
; MemoryBound: 0
; FloatMode: 240
; IeeeMode: 1
; LDSByteSize: 0 bytes/workgroup (compile time only)
; SGPRBlocks: 4
; VGPRBlocks: 2
; NumSGPRsForWavesPerEU: 34
; NumVGPRsForWavesPerEU: 19
; Occupancy: 16
; WaveLimiterHint : 0
; COMPUTE_PGM_RSRC2:SCRATCH_EN: 0
; COMPUTE_PGM_RSRC2:USER_SGPR: 13
; COMPUTE_PGM_RSRC2:TRAP_HANDLER: 0
; COMPUTE_PGM_RSRC2:TGID_X_EN: 1
; COMPUTE_PGM_RSRC2:TGID_Y_EN: 1
; COMPUTE_PGM_RSRC2:TGID_Z_EN: 1
; COMPUTE_PGM_RSRC2:TIDIG_COMP_CNT: 0
	.section	.text._ZL15flash_attn_tileILi64ELi64ELi2ELi1ELb0EEvPKcS1_S1_S1_S1_PKiPfP15HIP_vector_typeIfLj2EEffffjfiS5_IjLj3EEiiiiiiiiiiiliiliiiiil,"axG",@progbits,_ZL15flash_attn_tileILi64ELi64ELi2ELi1ELb0EEvPKcS1_S1_S1_S1_PKiPfP15HIP_vector_typeIfLj2EEffffjfiS5_IjLj3EEiiiiiiiiiiiliiliiiiil,comdat
	.globl	_ZL15flash_attn_tileILi64ELi64ELi2ELi1ELb0EEvPKcS1_S1_S1_S1_PKiPfP15HIP_vector_typeIfLj2EEffffjfiS5_IjLj3EEiiiiiiiiiiiliiliiiiil ; -- Begin function _ZL15flash_attn_tileILi64ELi64ELi2ELi1ELb0EEvPKcS1_S1_S1_S1_PKiPfP15HIP_vector_typeIfLj2EEffffjfiS5_IjLj3EEiiiiiiiiiiiliiliiiiil
	.p2align	8
	.type	_ZL15flash_attn_tileILi64ELi64ELi2ELi1ELb0EEvPKcS1_S1_S1_S1_PKiPfP15HIP_vector_typeIfLj2EEffffjfiS5_IjLj3EEiiiiiiiiiiiliiliiiiil,@function
_ZL15flash_attn_tileILi64ELi64ELi2ELi1ELb0EEvPKcS1_S1_S1_S1_PKiPfP15HIP_vector_typeIfLj2EEffffjfiS5_IjLj3EEiiiiiiiiiiiliiliiiiil: ; @_ZL15flash_attn_tileILi64ELi64ELi2ELi1ELb0EEvPKcS1_S1_S1_S1_PKiPfP15HIP_vector_typeIfLj2EEffffjfiS5_IjLj3EEiiiiiiiiiiiliiliiiiil
; %bb.0:
	s_clause 0x3
	s_load_b128 s[8:11], s[0:1], 0x5c
	s_load_b64 s[42:43], s[0:1], 0x80
	s_load_b512 s[16:31], s[0:1], 0x0
	s_load_b64 s[44:45], s[0:1], 0xb8
	s_mov_b64 s[40:41], 0
	s_waitcnt lgkmcnt(0)
	v_cvt_f32_u32_e32 v1, s11
	s_sub_i32 s3, 0, s11
	s_delay_alu instid0(VALU_DEP_1) | instskip(SKIP_2) | instid1(VALU_DEP_1)
	v_rcp_iflag_f32_e32 v1, v1
	s_waitcnt_depctr 0xfff
	v_mul_f32_e32 v1, 0x4f7ffffe, v1
	v_cvt_u32_f32_e32 v1, v1
	s_delay_alu instid0(VALU_DEP_1) | instskip(NEXT) | instid1(VALU_DEP_1)
	v_readfirstlane_b32 s2, v1
	s_mul_i32 s3, s3, s2
	s_delay_alu instid0(SALU_CYCLE_1) | instskip(NEXT) | instid1(SALU_CYCLE_1)
	s_mul_hi_u32 s3, s2, s3
	s_add_i32 s2, s2, s3
	s_delay_alu instid0(SALU_CYCLE_1) | instskip(NEXT) | instid1(SALU_CYCLE_1)
	s_mul_hi_u32 s2, s15, s2
	s_mul_i32 s3, s2, s11
	s_add_i32 s4, s2, 1
	s_sub_i32 s3, s15, s3
	s_delay_alu instid0(SALU_CYCLE_1)
	s_sub_i32 s5, s3, s11
	s_cmp_ge_u32 s3, s11
	s_cselect_b32 s2, s4, s2
	s_cselect_b32 s3, s5, s3
	s_add_i32 s4, s2, 1
	s_cmp_ge_u32 s3, s11
	s_cselect_b32 s12, s4, s2
	s_abs_i32 s2, s43
	s_abs_i32 s6, s11
	v_cvt_f32_u32_e32 v1, s2
	s_sub_i32 s4, 0, s2
	s_mul_i32 s5, s12, s11
	s_delay_alu instid0(SALU_CYCLE_1) | instskip(NEXT) | instid1(VALU_DEP_1)
	s_sub_i32 s34, s15, s5
	v_rcp_iflag_f32_e32 v1, v1
	s_waitcnt_depctr 0xfff
	v_mul_f32_e32 v1, 0x4f7ffffe, v1
	s_delay_alu instid0(VALU_DEP_1) | instskip(NEXT) | instid1(VALU_DEP_1)
	v_cvt_u32_f32_e32 v1, v1
	v_readfirstlane_b32 s3, v1
	s_delay_alu instid0(VALU_DEP_1) | instskip(NEXT) | instid1(SALU_CYCLE_1)
	s_mul_i32 s4, s4, s3
	s_mul_hi_u32 s4, s3, s4
	s_delay_alu instid0(SALU_CYCLE_1) | instskip(SKIP_4) | instid1(SALU_CYCLE_1)
	s_add_i32 s3, s3, s4
	s_xor_b32 s4, s11, s43
	s_mul_hi_u32 s3, s6, s3
	s_ashr_i32 s4, s4, 31
	s_mul_i32 s5, s3, s2
	s_sub_i32 s5, s6, s5
	s_add_i32 s6, s3, 1
	s_sub_i32 s7, s5, s2
	s_cmp_ge_u32 s5, s2
	s_cselect_b32 s3, s6, s3
	s_cselect_b32 s5, s7, s5
	s_add_i32 s6, s3, 1
	s_cmp_ge_u32 s5, s2
	s_cselect_b32 s2, s6, s3
	s_abs_i32 s43, s34
	s_xor_b32 s2, s2, s4
	s_delay_alu instid0(SALU_CYCLE_1) | instskip(NEXT) | instid1(SALU_CYCLE_1)
	s_sub_i32 s5, s2, s4
	s_abs_i32 s33, s5
	s_delay_alu instid0(SALU_CYCLE_1) | instskip(SKIP_1) | instid1(VALU_DEP_1)
	v_cvt_f32_u32_e32 v1, s33
	s_sub_i32 s3, 0, s33
	v_rcp_iflag_f32_e32 v1, v1
	s_waitcnt_depctr 0xfff
	v_mul_f32_e32 v1, 0x4f7ffffe, v1
	s_delay_alu instid0(VALU_DEP_1) | instskip(NEXT) | instid1(VALU_DEP_1)
	v_cvt_u32_f32_e32 v1, v1
	v_readfirstlane_b32 s2, v1
	s_delay_alu instid0(VALU_DEP_1) | instskip(NEXT) | instid1(SALU_CYCLE_1)
	s_mul_i32 s3, s3, s2
	s_mul_hi_u32 s3, s2, s3
	s_delay_alu instid0(SALU_CYCLE_1)
	s_add_i32 s2, s2, s3
	s_cmp_eq_u64 s[22:23], 0
	s_cbranch_scc1 .LBB68_2
; %bb.1:
	s_abs_i32 s3, s44
	s_abs_i32 s15, s12
	v_cvt_f32_u32_e32 v1, s3
	s_sub_i32 s6, 0, s3
	s_delay_alu instid0(VALU_DEP_1) | instskip(SKIP_2) | instid1(VALU_DEP_1)
	v_rcp_iflag_f32_e32 v1, v1
	s_waitcnt_depctr 0xfff
	v_mul_f32_e32 v1, 0x4f7ffffe, v1
	v_cvt_u32_f32_e32 v1, v1
	s_delay_alu instid0(VALU_DEP_1) | instskip(NEXT) | instid1(VALU_DEP_1)
	v_readfirstlane_b32 s4, v1
	s_mul_i32 s6, s6, s4
	s_delay_alu instid0(SALU_CYCLE_1) | instskip(NEXT) | instid1(SALU_CYCLE_1)
	s_mul_hi_u32 s6, s4, s6
	s_add_i32 s4, s4, s6
	s_load_b64 s[6:7], s[0:1], 0xc8
	s_mul_hi_u32 s4, s15, s4
	s_delay_alu instid0(SALU_CYCLE_1) | instskip(NEXT) | instid1(SALU_CYCLE_1)
	s_mul_i32 s4, s4, s3
	s_sub_i32 s4, s15, s4
	s_ashr_i32 s15, s12, 31
	s_sub_i32 s35, s4, s3
	s_cmp_ge_u32 s4, s3
	s_cselect_b32 s4, s35, s4
	s_delay_alu instid0(SALU_CYCLE_1) | instskip(SKIP_2) | instid1(SALU_CYCLE_1)
	s_sub_i32 s35, s4, s3
	s_cmp_ge_u32 s4, s3
	s_cselect_b32 s3, s35, s4
	s_xor_b32 s3, s3, s15
	s_delay_alu instid0(SALU_CYCLE_1)
	s_sub_i32 s3, s3, s15
	s_waitcnt lgkmcnt(0)
	s_mul_i32 s4, s3, s7
	s_mul_hi_u32 s7, s3, s6
	s_ashr_i32 s15, s3, 31
	s_add_i32 s4, s7, s4
	s_mul_i32 s15, s15, s6
	s_mul_i32 s3, s3, s6
	s_add_i32 s4, s4, s15
	s_add_u32 s40, s22, s3
	s_addc_u32 s41, s23, s4
.LBB68_2:
	s_clause 0x1
	s_load_b128 s[36:39], s[0:1], 0x40
	s_load_b32 s3, s[0:1], 0x50
	v_mov_b32_e32 v24, 1.0
	s_mul_hi_u32 s22, s43, s2
	s_waitcnt lgkmcnt(0)
	v_cmp_le_f32_e64 s4, s37, 0
	s_delay_alu instid0(VALU_DEP_1)
	s_and_b32 vcc_lo, exec_lo, s4
	s_cbranch_vccnz .LBB68_4
; %bb.3:
	s_sub_i32 s2, s34, s3
	s_add_i32 s4, s34, 1
	s_lshl_b32 s2, s2, 1
	v_mov_b32_e32 v1, s38
	s_or_b32 s2, s2, 1
	s_cmp_lt_u32 s34, s3
	s_cselect_b32 vcc_lo, -1, 0
	s_delay_alu instid0(VALU_DEP_1)
	v_cndmask_b32_e32 v3, s39, v1, vcc_lo
	s_and_b32 s3, vcc_lo, exec_lo
	s_cselect_b32 s2, s4, s2
	s_mov_b32 s3, 0x3e76c4e1
	v_cvt_f32_i32_e32 v1, s2
	v_cmp_neq_f32_e32 vcc_lo, 1.0, v3
	s_delay_alu instid0(VALU_DEP_2) | instskip(NEXT) | instid1(VALU_DEP_1)
	v_cndmask_b32_e32 v4, 1.0, v1, vcc_lo
	v_cmp_eq_f32_e32 vcc_lo, 0, v4
	v_cndmask_b32_e64 v5, |v3|, 1.0, vcc_lo
	s_delay_alu instid0(VALU_DEP_1) | instskip(NEXT) | instid1(VALU_DEP_1)
	v_frexp_mant_f32_e32 v1, v5
	v_cmp_gt_f32_e64 s2, 0x3f2aaaab, v1
	s_delay_alu instid0(VALU_DEP_1) | instskip(NEXT) | instid1(VALU_DEP_1)
	v_cndmask_b32_e64 v2, 1.0, 2.0, s2
	v_mul_f32_e32 v1, v1, v2
	s_delay_alu instid0(VALU_DEP_1) | instskip(SKIP_1) | instid1(VALU_DEP_2)
	v_add_f32_e32 v2, 1.0, v1
	v_add_f32_e32 v7, -1.0, v1
	v_rcp_f32_e32 v6, v2
	s_waitcnt_depctr 0xfff
	v_mul_f32_e32 v8, v7, v6
	s_delay_alu instid0(VALU_DEP_1) | instskip(NEXT) | instid1(VALU_DEP_1)
	v_dual_add_f32 v9, -1.0, v2 :: v_dual_mul_f32 v10, v2, v8
	v_sub_f32_e32 v1, v1, v9
	v_cndmask_b32_e64 v3, v3, 1.0, vcc_lo
	s_delay_alu instid0(VALU_DEP_3) | instskip(NEXT) | instid1(VALU_DEP_2)
	v_fma_f32 v2, v8, v2, -v10
	v_cmp_eq_f32_e64 s4, 0, v3
	s_delay_alu instid0(VALU_DEP_2) | instskip(NEXT) | instid1(VALU_DEP_1)
	v_fmac_f32_e32 v2, v8, v1
	v_add_f32_e32 v1, v10, v2
	s_delay_alu instid0(VALU_DEP_1) | instskip(NEXT) | instid1(VALU_DEP_1)
	v_dual_sub_f32 v10, v1, v10 :: v_dual_sub_f32 v9, v7, v1
	v_dual_sub_f32 v2, v10, v2 :: v_dual_sub_f32 v7, v7, v9
	s_delay_alu instid0(VALU_DEP_1) | instskip(NEXT) | instid1(VALU_DEP_1)
	v_sub_f32_e32 v1, v7, v1
	v_add_f32_e32 v1, v2, v1
	s_delay_alu instid0(VALU_DEP_1) | instskip(NEXT) | instid1(VALU_DEP_1)
	v_add_f32_e32 v1, v9, v1
	v_mul_f32_e32 v1, v6, v1
	s_delay_alu instid0(VALU_DEP_1) | instskip(NEXT) | instid1(VALU_DEP_1)
	v_add_f32_e32 v6, v8, v1
	v_sub_f32_e32 v2, v6, v8
	v_mul_f32_e32 v7, v6, v6
	s_delay_alu instid0(VALU_DEP_2) | instskip(NEXT) | instid1(VALU_DEP_2)
	v_sub_f32_e32 v8, v1, v2
	v_fma_f32 v9, v6, v6, -v7
	s_delay_alu instid0(VALU_DEP_2) | instskip(NEXT) | instid1(VALU_DEP_1)
	v_add_f32_e32 v1, v8, v8
	v_fmac_f32_e32 v9, v6, v1
	v_cvt_f64_f32_e32 v[1:2], v5
	s_delay_alu instid0(VALU_DEP_2) | instskip(NEXT) | instid1(VALU_DEP_1)
	v_add_f32_e32 v10, v7, v9
	v_fmaak_f32 v11, s3, v10, 0x3e91f4c4
	v_sub_f32_e32 v7, v10, v7
	v_mul_f32_e32 v14, v6, v10
	s_delay_alu instid0(VALU_DEP_3) | instskip(NEXT) | instid1(VALU_DEP_3)
	v_fmaak_f32 v11, v10, v11, 0x3ecccdef
	v_sub_f32_e32 v7, v9, v7
	s_delay_alu instid0(VALU_DEP_2) | instskip(NEXT) | instid1(VALU_DEP_1)
	v_mul_f32_e32 v12, v10, v11
	v_fma_f32 v9, v10, v11, -v12
	s_delay_alu instid0(VALU_DEP_1) | instskip(NEXT) | instid1(VALU_DEP_1)
	v_fmac_f32_e32 v9, v7, v11
	v_add_f32_e32 v11, v12, v9
	v_frexp_exp_i32_f64_e32 v1, v[1:2]
	s_delay_alu instid0(VALU_DEP_2) | instskip(NEXT) | instid1(VALU_DEP_1)
	v_sub_f32_e32 v12, v11, v12
	v_sub_f32_e32 v2, v9, v12
	v_fma_f32 v12, v10, v6, -v14
	s_delay_alu instid0(VALU_DEP_2) | instskip(NEXT) | instid1(VALU_DEP_2)
	v_add_f32_e32 v2, 0x31739010, v2
	v_dual_add_f32 v13, 0x3f2aaaaa, v11 :: v_dual_fmac_f32 v12, v10, v8
	v_ldexp_f32 v8, v8, 1
	s_delay_alu instid0(VALU_DEP_2) | instskip(NEXT) | instid1(VALU_DEP_1)
	v_dual_add_f32 v9, 0xbf2aaaaa, v13 :: v_dual_fmac_f32 v12, v7, v6
	v_sub_f32_e32 v9, v11, v9
	s_delay_alu instid0(VALU_DEP_1) | instskip(NEXT) | instid1(VALU_DEP_3)
	v_add_f32_e32 v2, v2, v9
	v_add_f32_e32 v9, v14, v12
	s_delay_alu instid0(VALU_DEP_2) | instskip(NEXT) | instid1(VALU_DEP_1)
	v_add_f32_e32 v7, v13, v2
	v_sub_f32_e32 v10, v13, v7
	s_delay_alu instid0(VALU_DEP_3) | instskip(SKIP_2) | instid1(VALU_DEP_4)
	v_mul_f32_e32 v11, v9, v7
	v_sub_f32_e32 v13, v9, v14
	v_subrev_co_ci_u32_e64 v1, s2, 0, v1, s2
	v_add_f32_e32 v2, v2, v10
	s_delay_alu instid0(VALU_DEP_4) | instskip(NEXT) | instid1(VALU_DEP_4)
	v_fma_f32 v10, v9, v7, -v11
	v_sub_f32_e32 v12, v12, v13
	s_delay_alu instid0(VALU_DEP_4) | instskip(NEXT) | instid1(VALU_DEP_3)
	v_cvt_f32_i32_e32 v1, v1
	v_fmac_f32_e32 v10, v9, v2
	v_ldexp_f32 v2, v6, 1
	s_delay_alu instid0(VALU_DEP_2) | instskip(NEXT) | instid1(VALU_DEP_1)
	v_fmac_f32_e32 v10, v12, v7
	v_add_f32_e32 v6, v11, v10
	s_delay_alu instid0(VALU_DEP_1) | instskip(NEXT) | instid1(VALU_DEP_1)
	v_add_f32_e32 v7, v2, v6
	v_dual_sub_f32 v2, v7, v2 :: v_dual_sub_f32 v9, v6, v11
	s_delay_alu instid0(VALU_DEP_1) | instskip(NEXT) | instid1(VALU_DEP_2)
	v_sub_f32_e32 v2, v6, v2
	v_sub_f32_e32 v9, v10, v9
	s_delay_alu instid0(VALU_DEP_1) | instskip(NEXT) | instid1(VALU_DEP_1)
	v_add_f32_e32 v6, v8, v9
	v_dual_mul_f32 v11, 0x3f317218, v1 :: v_dual_add_f32 v2, v6, v2
	s_delay_alu instid0(VALU_DEP_1) | instskip(NEXT) | instid1(VALU_DEP_2)
	v_fma_f32 v10, 0x3f317218, v1, -v11
	v_add_f32_e32 v8, v7, v2
	s_delay_alu instid0(VALU_DEP_1) | instskip(NEXT) | instid1(VALU_DEP_1)
	v_sub_f32_e32 v7, v8, v7
	v_dual_fmamk_f32 v1, v1, 0xb102e308, v10 :: v_dual_sub_f32 v2, v2, v7
	s_delay_alu instid0(VALU_DEP_1) | instskip(NEXT) | instid1(VALU_DEP_1)
	v_add_f32_e32 v6, v11, v1
	v_add_f32_e32 v9, v6, v8
	s_delay_alu instid0(VALU_DEP_1) | instskip(NEXT) | instid1(VALU_DEP_1)
	v_dual_sub_f32 v11, v6, v11 :: v_dual_sub_f32 v10, v9, v6
	v_sub_f32_e32 v12, v9, v10
	s_delay_alu instid0(VALU_DEP_2) | instskip(NEXT) | instid1(VALU_DEP_2)
	v_sub_f32_e32 v1, v1, v11
	v_dual_sub_f32 v7, v8, v10 :: v_dual_sub_f32 v6, v6, v12
	s_delay_alu instid0(VALU_DEP_2) | instskip(NEXT) | instid1(VALU_DEP_2)
	v_add_f32_e32 v8, v1, v2
	v_add_f32_e32 v6, v7, v6
	s_delay_alu instid0(VALU_DEP_1) | instskip(NEXT) | instid1(VALU_DEP_1)
	v_add_f32_e32 v6, v8, v6
	v_dual_sub_f32 v7, v8, v1 :: v_dual_add_f32 v10, v9, v6
	s_delay_alu instid0(VALU_DEP_1) | instskip(SKIP_1) | instid1(VALU_DEP_3)
	v_sub_f32_e32 v8, v8, v7
	v_sub_f32_e32 v2, v2, v7
	;; [unrolled: 1-line block ×3, first 2 shown]
	s_delay_alu instid0(VALU_DEP_3) | instskip(NEXT) | instid1(VALU_DEP_1)
	v_sub_f32_e32 v1, v1, v8
	v_add_f32_e32 v1, v2, v1
	s_delay_alu instid0(VALU_DEP_3) | instskip(NEXT) | instid1(VALU_DEP_1)
	v_sub_f32_e32 v2, v6, v7
	v_add_f32_e32 v1, v1, v2
	s_delay_alu instid0(VALU_DEP_1) | instskip(NEXT) | instid1(VALU_DEP_1)
	v_add_f32_e32 v2, v10, v1
	v_mul_f32_e32 v7, v4, v2
	v_sub_f32_e32 v6, v2, v10
	s_delay_alu instid0(VALU_DEP_2) | instskip(NEXT) | instid1(VALU_DEP_2)
	v_fma_f32 v2, v4, v2, -v7
	v_sub_f32_e32 v1, v1, v6
	v_cmp_class_f32_e64 s2, v7, 0x204
	s_delay_alu instid0(VALU_DEP_2) | instskip(NEXT) | instid1(VALU_DEP_1)
	v_fmac_f32_e32 v2, v4, v1
	v_add_f32_e32 v1, v7, v2
	s_delay_alu instid0(VALU_DEP_1) | instskip(NEXT) | instid1(VALU_DEP_1)
	v_cndmask_b32_e64 v6, v1, v7, s2
	v_cmp_eq_f32_e64 s2, 0x42b17218, v6
	s_delay_alu instid0(VALU_DEP_1) | instskip(SKIP_1) | instid1(VALU_DEP_2)
	v_cndmask_b32_e64 v8, 0, 0x37000000, s2
	v_cmp_neq_f32_e64 s2, 0x7f800000, |v6|
	v_sub_f32_e32 v9, v6, v8
	v_trunc_f32_e32 v6, v4
	s_delay_alu instid0(VALU_DEP_2) | instskip(NEXT) | instid1(VALU_DEP_1)
	v_mul_f32_e32 v10, 0x3fb8aa3b, v9
	v_fma_f32 v11, 0x3fb8aa3b, v9, -v10
	v_rndne_f32_e32 v12, v10
	s_delay_alu instid0(VALU_DEP_1) | instskip(NEXT) | instid1(VALU_DEP_1)
	v_dual_fmamk_f32 v11, v9, 0x32a5705f, v11 :: v_dual_sub_f32 v10, v10, v12
	v_add_f32_e32 v10, v10, v11
	v_sub_f32_e32 v1, v1, v7
	v_cvt_i32_f32_e32 v7, v12
	s_delay_alu instid0(VALU_DEP_3) | instskip(NEXT) | instid1(VALU_DEP_2)
	v_exp_f32_e32 v10, v10
	v_sub_f32_e32 v1, v2, v1
	s_delay_alu instid0(VALU_DEP_1)
	v_cndmask_b32_e64 v1, 0, v1, s2
	v_cmp_ngt_f32_e64 s2, 0xc2ce8ed0, v9
	s_waitcnt_depctr 0xfff
	v_ldexp_f32 v2, v10, v7
	v_mul_f32_e32 v7, 0.5, v4
	v_add_f32_e32 v1, v8, v1
	s_delay_alu instid0(VALU_DEP_3) | instskip(NEXT) | instid1(VALU_DEP_3)
	v_cndmask_b32_e64 v2, 0, v2, s2
	v_trunc_f32_e32 v10, v7
	v_cmp_nlt_f32_e64 s2, 0x42b17218, v9
	s_delay_alu instid0(VALU_DEP_2) | instskip(NEXT) | instid1(VALU_DEP_2)
	v_cmp_neq_f32_e64 s3, v10, v7
	v_cndmask_b32_e64 v2, 0x7f800000, v2, s2
	v_cmp_eq_f32_e64 s2, v6, v4
	s_delay_alu instid0(VALU_DEP_2) | instskip(NEXT) | instid1(VALU_DEP_2)
	v_fma_f32 v1, v2, v1, v2
	s_and_b32 vcc_lo, s2, s3
	v_cmp_class_f32_e64 s3, v2, 0x204
	v_cndmask_b32_e32 v6, 1.0, v3, vcc_lo
	s_delay_alu instid0(VALU_DEP_2) | instskip(SKIP_1) | instid1(VALU_DEP_2)
	v_cndmask_b32_e64 v1, v1, v2, s3
	v_cmp_gt_f32_e64 s3, 0, v4
	v_bfi_b32 v1, 0x7fffffff, v1, v6
	s_delay_alu instid0(VALU_DEP_2)
	s_xor_b32 s3, s3, s4
	v_cndmask_b32_e32 v6, 0, v3, vcc_lo
	v_cndmask_b32_e64 v2, 0x7f800000, 0, s3
	v_cmp_eq_f32_e32 vcc_lo, 0x7f800000, v5
	v_cndmask_b32_e64 v4, 0x7fc00000, v1, s2
	v_cmp_gt_f32_e64 s2, 0, v3
	s_delay_alu instid0(VALU_DEP_4) | instskip(SKIP_1) | instid1(VALU_DEP_2)
	v_bfi_b32 v2, 0x7fffffff, v2, v6
	s_or_b32 vcc_lo, vcc_lo, s4
	v_cndmask_b32_e64 v1, v1, v4, s2
	s_delay_alu instid0(VALU_DEP_1) | instskip(SKIP_1) | instid1(VALU_DEP_2)
	v_cndmask_b32_e32 v1, v1, v2, vcc_lo
	v_cmp_o_f32_e32 vcc_lo, v3, v3
	v_cndmask_b32_e32 v24, 0x7fc00000, v1, vcc_lo
.LBB68_4:
	v_bfe_u32 v23, v0, 10, 10
	s_load_b128 s[48:51], s[0:1], 0x70
	s_ashr_i32 s35, s34, 31
	s_ashr_i32 s2, s5, 31
	v_and_b32_e32 v0, 0x3ff, v0
	v_lshl_add_u32 v1, s13, 1, v23
	v_mov_b32_e32 v20, 0
	s_delay_alu instid0(VALU_DEP_2) | instskip(NEXT) | instid1(VALU_DEP_1)
	v_mul_hi_u32 v2, s8, v1
	v_add_nc_u32_e32 v2, v1, v2
	s_waitcnt lgkmcnt(0)
	s_mul_i32 s3, s12, s50
	s_mul_i32 s4, s34, s49
	s_delay_alu instid0(VALU_DEP_1)
	v_lshrrev_b32_e32 v2, s9, v2
	s_ashr_i32 s5, s3, 31
	s_add_u32 s3, s16, s3
	s_addc_u32 s5, s17, s5
	s_ashr_i32 s6, s4, 31
	v_mul_lo_u32 v2, v2, s10
	s_add_u32 s3, s3, s4
	s_addc_u32 s4, s5, s6
	s_ashr_i32 s5, s48, 31
	s_delay_alu instid0(SALU_CYCLE_1) | instskip(SKIP_2) | instid1(VALU_DEP_2)
	v_alignbit_b32 v4, s5, s48, 2
	s_lshr_b32 s5, s5, 2
	s_cmp_eq_u64 s[26:27], 0
	v_sub_nc_u32_e32 v25, v1, v2
	s_delay_alu instid0(VALU_DEP_1) | instskip(NEXT) | instid1(VALU_DEP_1)
	v_mad_u64_u32 v[2:3], null, v4, v25, 0
	v_mad_u64_u32 v[4:5], null, s5, v25, v[3:4]
	s_delay_alu instid0(VALU_DEP_1) | instskip(NEXT) | instid1(VALU_DEP_1)
	v_dual_mov_b32 v3, v4 :: v_dual_lshlrev_b32 v4, 3, v0
	v_lshlrev_b64 v[2:3], 2, v[2:3]
	s_delay_alu instid0(VALU_DEP_1) | instskip(NEXT) | instid1(VALU_DEP_2)
	v_add_co_u32 v2, vcc_lo, s3, v2
	v_add_co_ci_u32_e32 v3, vcc_lo, s4, v3, vcc_lo
	s_delay_alu instid0(VALU_DEP_2) | instskip(NEXT) | instid1(VALU_DEP_2)
	v_add_co_u32 v2, vcc_lo, v2, v4
	v_add_co_ci_u32_e32 v3, vcc_lo, 0, v3, vcc_lo
	v_lshlrev_b32_e32 v4, 5, v23
	global_load_b64 v[2:3], v[2:3], off
	v_add_lshl_u32 v4, v4, v0, 2
	s_waitcnt vmcnt(0)
	v_fma_mixlo_f16 v2, v2, s36, 0
	s_delay_alu instid0(VALU_DEP_1)
	v_fma_mixhi_f16 v2, v3, s36, 0
	ds_store_b32 v4, v2 offset:4608
	s_waitcnt lgkmcnt(0)
	s_barrier
	buffer_gl0_inv
	s_cbranch_scc1 .LBB68_6
; %bb.5:
	s_load_b32 s3, s[0:1], 0xd0
	s_mov_b32 s5, 0
	s_waitcnt lgkmcnt(0)
	s_mul_i32 s3, s3, s12
	s_delay_alu instid0(SALU_CYCLE_1) | instskip(NEXT) | instid1(SALU_CYCLE_1)
	s_add_i32 s4, s3, s13
	s_lshl_b64 s[4:5], s[4:5], 2
	s_delay_alu instid0(SALU_CYCLE_1)
	s_add_u32 s4, s26, s4
	s_addc_u32 s5, s27, s5
	s_load_b32 s42, s[4:5], 0x0
.LBB68_6:
	s_clause 0x2
	s_load_b64 s[8:9], s[0:1], 0x8c
	s_load_b128 s[4:7], s[0:1], 0x98
	s_load_b64 s[26:27], s[0:1], 0xa8
	s_ashr_i32 s3, s12, 31
	s_ashr_i32 s15, s45, 1
	s_mul_i32 s13, s22, s33
	v_lshrrev_b32_e32 v29, 3, v0
	v_lshlrev_b32_e32 v21, 2, v0
	v_mul_u32_u24_e32 v26, 0x90, v0
	v_lshlrev_b32_e32 v27, 7, v23
	v_mbcnt_lo_u32_b32 v22, -1, 0
	s_waitcnt lgkmcnt(0)
	s_ashr_i32 s16, s8, 2
	s_ashr_i32 s8, s6, 2
	s_mul_i32 s5, s12, s5
	s_mul_hi_u32 s6, s12, s4
	s_mul_i32 s17, s3, s4
	s_add_i32 s5, s6, s5
	s_mul_i32 s4, s12, s4
	s_add_i32 s5, s5, s17
	s_add_u32 s4, s18, s4
	s_addc_u32 s5, s19, s5
	s_sub_i32 s6, s43, s13
	s_xor_b32 s2, s35, s2
	s_add_i32 s13, s22, 1
	s_sub_i32 s17, s6, s33
	s_cmp_ge_u32 s6, s33
	s_mul_hi_u32 s19, s12, s26
	s_cselect_b32 s13, s13, s22
	s_cselect_b32 s6, s17, s6
	s_add_i32 s17, s13, 1
	s_cmp_ge_u32 s6, s33
	s_mul_i32 s3, s3, s26
	s_cselect_b32 s6, s17, s13
	s_mul_i32 s13, s12, s27
	s_xor_b32 s6, s6, s2
	s_delay_alu instid0(SALU_CYCLE_1) | instskip(NEXT) | instid1(SALU_CYCLE_1)
	s_sub_i32 s2, s6, s2
	s_mul_i32 s6, s2, s9
	s_mul_i32 s9, s12, s26
	s_ashr_i32 s18, s6, 31
	s_add_u32 s17, s4, s6
	s_addc_u32 s18, s5, s18
	s_add_i32 s4, s19, s13
	s_mul_i32 s2, s2, s7
	s_add_i32 s4, s4, s3
	s_add_u32 s3, s20, s9
	s_addc_u32 s4, s21, s4
	s_ashr_i32 s5, s2, 31
	s_add_u32 s9, s3, s2
	s_addc_u32 s13, s4, s5
	s_lshl_b32 s6, s14, 5
	s_sub_i32 s4, s42, 32
	s_delay_alu instid0(SALU_CYCLE_1)
	s_cmp_ge_i32 s6, s4
	s_cbranch_scc1 .LBB68_12
; %bb.7:
	v_lshl_add_u32 v2, v23, 2, v29
	s_lshl_b32 s2, s16, 3
	s_cmp_lg_u64 s[40:41], 0
	v_dual_mov_b32 v20, 0 :: v_dual_and_b32 v11, 28, v21
	s_delay_alu instid0(VALU_DEP_2)
	v_mul_lo_u32 v5, s16, v2
	v_mul_lo_u32 v12, s8, v2
	s_cselect_b32 s5, -1, 0
	s_lshl_b32 s3, s8, 3
	v_mad_u64_u32 v[3:4], null, v25, s15, v[0:1]
	v_dual_mov_b32 v43, 0xfeffffff :: v_dual_lshlrev_b32 v4, 2, v11
	s_delay_alu instid0(VALU_DEP_4) | instskip(NEXT) | instid1(VALU_DEP_4)
	v_add_nc_u32_e32 v7, s2, v5
	v_add_nc_u32_e32 v14, s3, v12
	v_ashrrev_i32_e32 v6, 31, v5
	v_ashrrev_i32_e32 v13, 31, v12
	v_lshl_add_u32 v30, v23, 6, 0x1300
	v_add_nc_u32_e32 v9, s2, v7
	v_add_nc_u32_e32 v18, s3, v14
	v_ashrrev_i32_e32 v8, 31, v7
	v_ashrrev_i32_e32 v15, 31, v14
	v_mad_u32_u24 v32, 0x90, v2, v4
	v_add_nc_u32_e32 v16, s2, v9
	v_add_nc_u32_e32 v41, s3, v18
	v_ashrrev_i32_e32 v10, 31, v9
	v_ashrrev_i32_e32 v19, 31, v18
	v_lshl_or_b32 v33, v2, 7, v4
	v_ashrrev_i32_e32 v17, 31, v16
	v_ashrrev_i32_e32 v42, 31, v41
	v_lshlrev_b64 v[4:5], 2, v[5:6]
	v_lshlrev_b32_e32 v40, 2, v11
	v_lshlrev_b64 v[6:7], 2, v[7:8]
	v_lshlrev_b64 v[8:9], 2, v[9:10]
	v_lshlrev_b64 v[10:11], 2, v[16:17]
	v_lshlrev_b64 v[12:13], 2, v[12:13]
	v_lshlrev_b64 v[14:15], 2, v[14:15]
	v_lshlrev_b64 v[16:17], 2, v[18:19]
	v_lshlrev_b64 v[18:19], 2, v[41:42]
	v_mov_b32_e32 v42, 0
	v_lshl_add_u32 v31, v0, 1, v30
	v_add_nc_u32_e32 v34, 0x480, v32
	v_add_nc_u32_e32 v35, 0x900, v32
	;; [unrolled: 1-line block ×6, first 2 shown]
	v_mbcnt_lo_u32_b32 v41, -1, 0
	s_add_u32 s2, s0, 0xd0
	s_addc_u32 s3, s1, 0
.LBB68_8:                               ; =>This Inner Loop Header: Depth=1
	s_mul_hi_i32 s21, s6, s16
	s_mul_i32 s20, s6, s16
	s_delay_alu instid0(SALU_CYCLE_1) | instskip(NEXT) | instid1(SALU_CYCLE_1)
	s_lshl_b64 s[20:21], s[20:21], 2
	s_add_u32 s7, s17, s20
	s_addc_u32 s19, s18, s21
	v_add_co_u32 v2, vcc_lo, s7, v4
	v_add_co_ci_u32_e32 v28, vcc_lo, s19, v5, vcc_lo
	v_add_co_u32 v46, vcc_lo, s7, v6
	v_add_co_ci_u32_e32 v47, vcc_lo, s19, v7, vcc_lo
	s_delay_alu instid0(VALU_DEP_4) | instskip(NEXT) | instid1(VALU_DEP_4)
	v_add_co_u32 v44, vcc_lo, v2, v40
	v_add_co_ci_u32_e32 v45, vcc_lo, 0, v28, vcc_lo
	s_delay_alu instid0(VALU_DEP_4) | instskip(NEXT) | instid1(VALU_DEP_4)
	v_add_co_u32 v48, vcc_lo, v46, v40
	v_add_co_ci_u32_e32 v49, vcc_lo, 0, v47, vcc_lo
	v_add_co_u32 v2, vcc_lo, s7, v8
	v_add_co_ci_u32_e32 v28, vcc_lo, s19, v9, vcc_lo
	;; [unrolled: 2-line block ×3, first 2 shown]
	s_delay_alu instid0(VALU_DEP_4) | instskip(NEXT) | instid1(VALU_DEP_4)
	v_add_co_u32 v52, vcc_lo, v2, v40
	v_add_co_ci_u32_e32 v53, vcc_lo, 0, v28, vcc_lo
	s_delay_alu instid0(VALU_DEP_4) | instskip(NEXT) | instid1(VALU_DEP_4)
	v_add_co_u32 v56, vcc_lo, v46, v40
	v_add_co_ci_u32_e32 v57, vcc_lo, 0, v47, vcc_lo
	s_clause 0x3
	global_load_b128 v[44:47], v[44:45], off
	global_load_b128 v[48:51], v[48:49], off
	global_load_b128 v[52:55], v[52:53], off
	global_load_b128 v[56:59], v[56:57], off
	v_mov_b32_e32 v2, 0
	v_mov_b32_e32 v28, 0
	s_and_not1_b32 vcc_lo, exec_lo, s5
	s_waitcnt vmcnt(3)
	ds_store_b128 v32, v[44:47]
	s_waitcnt vmcnt(2)
	ds_store_b128 v34, v[48:51]
	;; [unrolled: 2-line block ×4, first 2 shown]
	s_waitcnt lgkmcnt(0)
	s_barrier
	buffer_gl0_inv
	ds_load_b128 v[44:47], v26
	ds_load_b128 v[48:51], v27 offset:4608
	s_waitcnt lgkmcnt(0)
	;;#ASMSTART
	v_dot2_f32_f16 v2, v44, v48, v2
	;;#ASMEND
	;;#ASMSTART
	v_dot2_f32_f16 v2, v45, v49, v2
	;;#ASMEND
	;;#ASMSTART
	v_dot2_f32_f16 v2, v46, v50, v2
	;;#ASMEND
	;;#ASMSTART
	v_dot2_f32_f16 v2, v47, v51, v2
	;;#ASMEND
	ds_load_b128 v[44:47], v26 offset:16
	ds_load_b128 v[48:51], v27 offset:4624
	s_waitcnt lgkmcnt(0)
	;;#ASMSTART
	v_dot2_f32_f16 v2, v44, v48, v2
	;;#ASMEND
	;;#ASMSTART
	v_dot2_f32_f16 v2, v45, v49, v2
	;;#ASMEND
	;;#ASMSTART
	v_dot2_f32_f16 v2, v46, v50, v2
	;;#ASMEND
	;;#ASMSTART
	v_dot2_f32_f16 v2, v47, v51, v2
	;;#ASMEND
	ds_load_b128 v[44:47], v26 offset:32
	;; [unrolled: 15-line block ×7, first 2 shown]
	ds_load_b128 v[48:51], v27 offset:4720
	s_waitcnt lgkmcnt(0)
	;;#ASMSTART
	v_dot2_f32_f16 v2, v44, v48, v2
	;;#ASMEND
	;;#ASMSTART
	v_dot2_f32_f16 v2, v45, v49, v2
	;;#ASMEND
	;; [unrolled: 3-line block ×4, first 2 shown]
	s_cbranch_vccnz .LBB68_10
; %bb.9:                                ;   in Loop: Header=BB68_8 Depth=1
	v_add_nc_u32_e32 v44, s6, v3
	s_delay_alu instid0(VALU_DEP_1) | instskip(NEXT) | instid1(VALU_DEP_1)
	v_ashrrev_i32_e32 v45, 31, v44
	v_lshlrev_b64 v[44:45], 1, v[44:45]
	s_delay_alu instid0(VALU_DEP_1) | instskip(NEXT) | instid1(VALU_DEP_2)
	v_add_co_u32 v44, vcc_lo, s40, v44
	v_add_co_ci_u32_e32 v45, vcc_lo, s41, v45, vcc_lo
	flat_load_u16 v28, v[44:45]
	s_waitcnt vmcnt(0) lgkmcnt(0)
	v_cvt_f32_f16_e32 v28, v28
	s_delay_alu instid0(VALU_DEP_1)
	v_mul_f32_e32 v28, v24, v28
.LBB68_10:                              ;   in Loop: Header=BB68_8 Depth=1
	s_mul_hi_i32 s21, s6, s8
	s_mul_i32 s20, s6, s8
	s_delay_alu instid0(SALU_CYCLE_1)
	s_lshl_b64 s[20:21], s[20:21], 2
	s_barrier
	s_add_u32 s7, s9, s20
	s_addc_u32 s19, s13, s21
	v_add_co_u32 v44, vcc_lo, s7, v12
	v_add_co_ci_u32_e32 v45, vcc_lo, s19, v13, vcc_lo
	v_add_co_u32 v46, vcc_lo, s7, v14
	v_add_co_ci_u32_e32 v47, vcc_lo, s19, v15, vcc_lo
	s_delay_alu instid0(VALU_DEP_4) | instskip(NEXT) | instid1(VALU_DEP_4)
	v_add_co_u32 v44, vcc_lo, v44, v40
	v_add_co_ci_u32_e32 v45, vcc_lo, 0, v45, vcc_lo
	s_delay_alu instid0(VALU_DEP_4) | instskip(NEXT) | instid1(VALU_DEP_4)
	v_add_co_u32 v48, vcc_lo, v46, v40
	v_add_co_ci_u32_e32 v49, vcc_lo, 0, v47, vcc_lo
	v_add_co_u32 v46, vcc_lo, s7, v16
	v_add_co_ci_u32_e32 v47, vcc_lo, s19, v17, vcc_lo
	;; [unrolled: 2-line block ×3, first 2 shown]
	s_delay_alu instid0(VALU_DEP_4) | instskip(NEXT) | instid1(VALU_DEP_4)
	v_add_co_u32 v52, vcc_lo, v46, v40
	v_add_co_ci_u32_e32 v53, vcc_lo, 0, v47, vcc_lo
	s_delay_alu instid0(VALU_DEP_4) | instskip(NEXT) | instid1(VALU_DEP_4)
	v_add_co_u32 v56, vcc_lo, v50, v40
	v_add_co_ci_u32_e32 v57, vcc_lo, 0, v51, vcc_lo
	buffer_gl0_inv
	s_clause 0x3
	global_load_b128 v[44:47], v[44:45], off
	global_load_b128 v[48:51], v[48:49], off
	global_load_b128 v[52:55], v[52:53], off
	global_load_b128 v[56:59], v[56:57], off
	v_add_f32_e32 v28, v2, v28
	v_xor_b32_e32 v2, 16, v41
	s_delay_alu instid0(VALU_DEP_2) | instskip(NEXT) | instid1(VALU_DEP_2)
	v_dual_max_f32 v60, v43, v43 :: v_dual_add_f32 v61, 0x40051340, v28
	v_cmp_gt_i32_e32 vcc_lo, 32, v2
	s_delay_alu instid0(VALU_DEP_2) | instskip(SKIP_2) | instid1(VALU_DEP_2)
	v_max_f32_e32 v60, v60, v61
	v_xor_b32_e32 v61, 8, v41
	v_cndmask_b32_e32 v2, v41, v2, vcc_lo
	v_cmp_gt_i32_e32 vcc_lo, 32, v61
	v_cndmask_b32_e32 v61, v41, v61, vcc_lo
	s_delay_alu instid0(VALU_DEP_1) | instskip(NEXT) | instid1(VALU_DEP_4)
	v_lshlrev_b32_e32 v61, 2, v61
	v_lshlrev_b32_e32 v2, 2, v2
	ds_bpermute_b32 v2, v2, v60
	s_waitcnt lgkmcnt(0)
	v_max_f32_e32 v2, v2, v2
	s_delay_alu instid0(VALU_DEP_1) | instskip(SKIP_2) | instid1(VALU_DEP_1)
	v_max_f32_e32 v2, v60, v2
	ds_bpermute_b32 v60, v61, v2
	v_xor_b32_e32 v61, 4, v41
	v_cmp_gt_i32_e32 vcc_lo, 32, v61
	v_cndmask_b32_e32 v61, v41, v61, vcc_lo
	s_waitcnt lgkmcnt(0)
	s_delay_alu instid0(VALU_DEP_1) | instskip(NEXT) | instid1(VALU_DEP_1)
	v_dual_max_f32 v60, v60, v60 :: v_dual_lshlrev_b32 v61, 2, v61
	v_max_f32_e32 v2, v2, v60
	ds_bpermute_b32 v60, v61, v2
	v_xor_b32_e32 v61, 2, v41
	s_delay_alu instid0(VALU_DEP_1) | instskip(SKIP_2) | instid1(VALU_DEP_1)
	v_cmp_gt_i32_e32 vcc_lo, 32, v61
	v_cndmask_b32_e32 v61, v41, v61, vcc_lo
	s_waitcnt lgkmcnt(0)
	v_dual_max_f32 v60, v60, v60 :: v_dual_lshlrev_b32 v61, 2, v61
	s_delay_alu instid0(VALU_DEP_1) | instskip(SKIP_2) | instid1(VALU_DEP_1)
	v_max_f32_e32 v2, v2, v60
	ds_bpermute_b32 v60, v61, v2
	v_xor_b32_e32 v61, 1, v41
	v_cmp_gt_i32_e32 vcc_lo, 32, v61
	v_cndmask_b32_e32 v61, v41, v61, vcc_lo
	s_waitcnt lgkmcnt(0)
	s_delay_alu instid0(VALU_DEP_1) | instskip(NEXT) | instid1(VALU_DEP_1)
	v_dual_max_f32 v60, v60, v60 :: v_dual_lshlrev_b32 v61, 2, v61
	v_max_f32_e32 v2, v2, v60
	ds_bpermute_b32 v60, v61, v2
	s_waitcnt lgkmcnt(0)
	v_max_f32_e32 v60, v60, v60
	s_delay_alu instid0(VALU_DEP_1) | instskip(NEXT) | instid1(VALU_DEP_1)
	v_max_f32_e32 v2, v2, v60
	v_sub_f32_e32 v28, v28, v2
	s_delay_alu instid0(VALU_DEP_1) | instskip(SKIP_1) | instid1(VALU_DEP_2)
	v_mul_f32_e32 v60, 0x3fb8aa3b, v28
	v_cmp_ngt_f32_e32 vcc_lo, 0xc2ce8ed0, v28
	v_fma_f32 v61, 0x3fb8aa3b, v28, -v60
	v_rndne_f32_e32 v62, v60
	s_delay_alu instid0(VALU_DEP_1) | instskip(NEXT) | instid1(VALU_DEP_1)
	v_dual_fmac_f32 v61, 0x32a5705f, v28 :: v_dual_sub_f32 v60, v60, v62
	v_dual_add_f32 v60, v60, v61 :: v_dual_sub_f32 v61, v43, v2
	v_cvt_i32_f32_e32 v43, v62
	s_delay_alu instid0(VALU_DEP_2) | instskip(NEXT) | instid1(VALU_DEP_2)
	v_exp_f32_e32 v60, v60
	v_mul_f32_e32 v62, 0x3fb8aa3b, v61
	s_delay_alu instid0(VALU_DEP_1) | instskip(SKIP_4) | instid1(VALU_DEP_2)
	v_rndne_f32_e32 v63, v62
	s_waitcnt_depctr 0xfff
	v_ldexp_f32 v43, v60, v43
	v_fma_f32 v60, 0x3fb8aa3b, v61, -v62
	v_sub_f32_e32 v62, v62, v63
	v_dual_cndmask_b32 v43, 0, v43 :: v_dual_fmac_f32 v60, 0x32a5705f, v61
	v_cmp_nlt_f32_e32 vcc_lo, 0x42b17218, v28
	s_delay_alu instid0(VALU_DEP_2) | instskip(SKIP_2) | instid1(VALU_DEP_3)
	v_dual_cndmask_b32 v28, 0x7f800000, v43 :: v_dual_add_f32 v43, v62, v60
	v_cvt_i32_f32_e32 v62, v63
	v_cmp_ngt_f32_e32 vcc_lo, 0xc2ce8ed0, v61
	v_cvt_f16_f32_e32 v60, v28
	s_delay_alu instid0(VALU_DEP_4)
	v_exp_f32_e32 v63, v43
	ds_store_b16 v31, v60
	s_waitcnt vmcnt(3)
	ds_store_b128 v33, v[44:47]
	s_waitcnt vmcnt(2)
	ds_store_b128 v37, v[48:51]
	s_waitcnt vmcnt(1)
	ds_store_b128 v38, v[52:55]
	s_waitcnt vmcnt(0)
	ds_store_b128 v39, v[56:59]
	s_waitcnt lgkmcnt(0)
	s_barrier
	buffer_gl0_inv
	ds_load_2addr_b32 v[51:52], v21 offset1:32
	ds_load_b128 v[43:46], v30
	v_ldexp_f32 v47, v63, v62
	ds_load_2addr_b32 v[53:54], v21 offset0:64 offset1:96
	ds_load_2addr_b32 v[55:56], v21 offset0:128 offset1:160
	v_cndmask_b32_e32 v47, 0, v47, vcc_lo
	v_cmp_nlt_f32_e32 vcc_lo, 0x42b17218, v61
	s_delay_alu instid0(VALU_DEP_2)
	v_cndmask_b32_e32 v57, 0x7f800000, v47, vcc_lo
	ds_load_b128 v[47:50], v30 offset:16
	v_cvt_f16_f32_e32 v58, v57
	v_fmac_f32_e32 v28, v42, v57
	s_waitcnt lgkmcnt(3)
	v_pk_mul_f16 v51, v51, v43 op_sel_hi:[1,0]
	s_delay_alu instid0(VALU_DEP_1) | instskip(SKIP_1) | instid1(VALU_DEP_2)
	v_pk_fma_f16 v20, v20, v58, v51 op_sel_hi:[1,0,1]
	v_add_nc_u32_e32 v58, 0x400, v21
	v_pk_fma_f16 v20, v52, v43, v20 op_sel:[0,1,0]
	ds_load_2addr_b32 v[51:52], v21 offset0:192 offset1:224
	s_waitcnt lgkmcnt(3)
	v_pk_fma_f16 v20, v53, v44, v20 op_sel_hi:[1,0,1]
	s_delay_alu instid0(VALU_DEP_1) | instskip(SKIP_4) | instid1(VALU_DEP_1)
	v_pk_fma_f16 v20, v54, v44, v20 op_sel:[0,1,0]
	ds_load_2addr_b32 v[43:44], v58 offset1:32
	ds_load_2addr_b32 v[53:54], v58 offset0:64 offset1:96
	s_waitcnt lgkmcnt(4)
	v_pk_fma_f16 v20, v55, v45, v20 op_sel_hi:[1,0,1]
	v_pk_fma_f16 v20, v56, v45, v20 op_sel:[0,1,0]
	ds_load_2addr_b32 v[55:56], v58 offset0:192 offset1:224
	s_waitcnt lgkmcnt(3)
	v_pk_fma_f16 v20, v51, v46, v20 op_sel_hi:[1,0,1]
	s_delay_alu instid0(VALU_DEP_1) | instskip(SKIP_4) | instid1(VALU_DEP_1)
	v_pk_fma_f16 v20, v52, v46, v20 op_sel:[0,1,0]
	ds_load_2addr_b32 v[51:52], v58 offset0:128 offset1:160
	v_add_nc_u32_e32 v58, 0x800, v21
	s_waitcnt lgkmcnt(3)
	v_pk_fma_f16 v20, v43, v47, v20 op_sel_hi:[1,0,1]
	v_pk_fma_f16 v20, v44, v47, v20 op_sel:[0,1,0]
	ds_load_b128 v[43:46], v30 offset:32
	s_waitcnt lgkmcnt(3)
	v_pk_fma_f16 v20, v53, v48, v20 op_sel_hi:[1,0,1]
	s_delay_alu instid0(VALU_DEP_1) | instskip(SKIP_3) | instid1(VALU_DEP_1)
	v_pk_fma_f16 v20, v54, v48, v20 op_sel:[0,1,0]
	ds_load_2addr_b32 v[53:54], v58 offset1:32
	s_waitcnt lgkmcnt(2)
	v_pk_fma_f16 v20, v51, v49, v20 op_sel_hi:[1,0,1]
	v_pk_fma_f16 v20, v52, v49, v20 op_sel:[0,1,0]
	ds_load_2addr_b32 v[51:52], v58 offset0:64 offset1:96
	v_pk_fma_f16 v20, v55, v50, v20 op_sel_hi:[1,0,1]
	s_delay_alu instid0(VALU_DEP_1) | instskip(SKIP_4) | instid1(VALU_DEP_1)
	v_pk_fma_f16 v20, v56, v50, v20 op_sel:[0,1,0]
	ds_load_b128 v[47:50], v30 offset:48
	ds_load_2addr_b32 v[55:56], v58 offset0:128 offset1:160
	s_waitcnt lgkmcnt(3)
	v_pk_fma_f16 v20, v53, v43, v20 op_sel_hi:[1,0,1]
	v_pk_fma_f16 v20, v54, v43, v20 op_sel:[0,1,0]
	ds_load_2addr_b32 v[53:54], v58 offset0:192 offset1:224
	v_add_nc_u32_e32 v58, 0xc00, v21
	s_waitcnt lgkmcnt(3)
	v_pk_fma_f16 v20, v51, v44, v20 op_sel_hi:[1,0,1]
	s_delay_alu instid0(VALU_DEP_1) | instskip(SKIP_4) | instid1(VALU_DEP_1)
	v_pk_fma_f16 v20, v52, v44, v20 op_sel:[0,1,0]
	ds_load_2addr_b32 v[43:44], v58 offset1:32
	ds_load_2addr_b32 v[51:52], v58 offset0:64 offset1:96
	s_waitcnt lgkmcnt(3)
	v_pk_fma_f16 v20, v55, v45, v20 op_sel_hi:[1,0,1]
	v_pk_fma_f16 v20, v56, v45, v20 op_sel:[0,1,0]
	s_waitcnt lgkmcnt(2)
	s_delay_alu instid0(VALU_DEP_1) | instskip(NEXT) | instid1(VALU_DEP_1)
	v_pk_fma_f16 v20, v53, v46, v20 op_sel_hi:[1,0,1]
	v_pk_fma_f16 v20, v54, v46, v20 op_sel:[0,1,0]
	ds_load_2addr_b32 v[45:46], v58 offset0:128 offset1:160
	s_waitcnt lgkmcnt(2)
	v_pk_fma_f16 v20, v43, v47, v20 op_sel_hi:[1,0,1]
	s_delay_alu instid0(VALU_DEP_1)
	v_pk_fma_f16 v20, v44, v47, v20 op_sel:[0,1,0]
	ds_load_2addr_b32 v[43:44], v58 offset0:192 offset1:224
	s_waitcnt lgkmcnt(0)
	s_barrier
	buffer_gl0_inv
	v_pk_fma_f16 v20, v51, v48, v20 op_sel_hi:[1,0,1]
	s_load_b32 s7, s[2:3], 0x4
	s_delay_alu instid0(VALU_DEP_1) | instskip(NEXT) | instid1(VALU_DEP_1)
	v_pk_fma_f16 v20, v52, v48, v20 op_sel:[0,1,0]
	v_pk_fma_f16 v20, v45, v49, v20 op_sel_hi:[1,0,1]
	s_delay_alu instid0(VALU_DEP_1) | instskip(NEXT) | instid1(VALU_DEP_1)
	v_pk_fma_f16 v20, v46, v49, v20 op_sel:[0,1,0]
	v_pk_fma_f16 v20, v43, v50, v20 op_sel_hi:[1,0,1]
	s_waitcnt lgkmcnt(0)
	s_lshl_b32 s7, s7, 5
	s_delay_alu instid0(SALU_CYCLE_1) | instskip(NEXT) | instid1(VALU_DEP_1)
	s_add_i32 s6, s7, s6
	v_pk_fma_f16 v20, v44, v50, v20 op_sel:[0,1,0]
	s_cmp_lt_i32 s6, s4
	s_cbranch_scc0 .LBB68_13
; %bb.11:                               ;   in Loop: Header=BB68_8 Depth=1
	v_dual_mov_b32 v43, v2 :: v_dual_mov_b32 v42, v28
	s_branch .LBB68_8
.LBB68_12:
	v_mov_b32_e32 v2, 0xfeffffff
	v_mov_b32_e32 v28, 0
.LBB68_13:
	v_lshlrev_b32_e32 v6, 1, v0
	s_cmp_gt_i32 s42, s6
	s_cbranch_scc1 .LBB68_15
; %bb.14:
	v_mbcnt_lo_u32_b32 v4, -1, 0
	v_mov_b32_e32 v3, 32
	s_delay_alu instid0(VALU_DEP_2)
	v_xor_b32_e32 v9, 16, v4
	v_xor_b32_e32 v10, 8, v4
	;; [unrolled: 1-line block ×5, first 2 shown]
	s_cbranch_execz .LBB68_16
	s_branch .LBB68_22
.LBB68_15:
                                        ; implicit-def: $vgpr4
                                        ; implicit-def: $vgpr3
                                        ; implicit-def: $vgpr9
                                        ; implicit-def: $vgpr10
                                        ; implicit-def: $vgpr11
                                        ; implicit-def: $vgpr12
                                        ; implicit-def: $vgpr13
.LBB68_16:
	v_lshl_add_u32 v4, v23, 2, v29
	s_mul_hi_i32 s3, s6, s16
	s_mul_i32 s2, s6, s16
	v_dual_mov_b32 v14, 0 :: v_dual_and_b32 v3, 28, v21
	s_delay_alu instid0(VALU_DEP_2)
	v_mul_lo_u32 v11, s16, v4
	s_lshl_b64 s[2:3], s[2:3], 2
	s_sub_i32 s19, s42, s6
	s_mov_b64 s[4:5], src_private_base
	s_mov_b32 s20, 0
	s_add_u32 s4, s17, s2
	s_addc_u32 s7, s18, s3
	s_mov_b32 s21, s20
	v_ashrrev_i32_e32 v12, 31, v11
	s_mov_b32 s22, s20
	v_lshlrev_b32_e32 v3, 2, v3
	s_lshl_b32 s16, s16, 3
	v_mov_b32_e32 v15, s20
	v_lshlrev_b64 v[7:8], 2, v[11:12]
	v_add_nc_u32_e32 v12, s16, v11
	v_dual_mov_b32 v16, s21 :: v_dual_mov_b32 v17, s22
	s_clause 0x1
	scratch_store_b32 off, v14, off
	scratch_store_b96 off, v[15:17], off offset:4
	v_add_co_u32 v5, vcc_lo, s4, v7
	v_add_co_ci_u32_e32 v7, vcc_lo, s7, v8, vcc_lo
	v_ashrrev_i32_e32 v13, 31, v12
	s_delay_alu instid0(VALU_DEP_3) | instskip(NEXT) | instid1(VALU_DEP_3)
	v_add_co_u32 v5, vcc_lo, v5, v3
	v_add_co_ci_u32_e32 v7, vcc_lo, 0, v7, vcc_lo
	v_cmp_gt_i32_e32 vcc_lo, s19, v4
	s_delay_alu instid0(VALU_DEP_4) | instskip(SKIP_1) | instid1(VALU_DEP_4)
	v_lshlrev_b64 v[18:19], 2, v[12:13]
	v_mad_u32_u24 v29, 0x90, v4, v3
	v_cndmask_b32_e32 v8, s5, v7, vcc_lo
	v_cndmask_b32_e32 v7, 0, v5, vcc_lo
	v_add_nc_u32_e32 v5, 8, v4
	v_add_co_u32 v11, s2, s4, v18
	s_delay_alu instid0(VALU_DEP_1) | instskip(SKIP_2) | instid1(VALU_DEP_1)
	v_add_co_ci_u32_e64 v13, s2, s7, v19, s2
	flat_load_b128 v[7:10], v[7:8]
	v_add_co_u32 v11, s2, v11, v3
	v_add_co_ci_u32_e64 v13, s2, 0, v13, s2
	v_cmp_gt_i32_e64 s2, s19, v5
	s_clause 0x1
	scratch_store_b32 off, v14, off
	scratch_store_b96 off, v[15:17], off offset:4
	v_cndmask_b32_e64 v19, s5, v13, s2
	v_cndmask_b32_e64 v18, 0, v11, s2
	s_waitcnt vmcnt(0) lgkmcnt(0)
	ds_store_b128 v29, v[7:10]
	flat_load_b128 v[8:11], v[18:19]
	v_add_nc_u32_e32 v18, s16, v12
	v_add_nc_u32_e32 v7, 16, v4
	s_clause 0x1
	scratch_store_b32 off, v14, off
	scratch_store_b96 off, v[15:17], off offset:4
	v_ashrrev_i32_e32 v19, 31, v18
	s_delay_alu instid0(VALU_DEP_1) | instskip(SKIP_1) | instid1(VALU_DEP_2)
	v_lshlrev_b64 v[12:13], 2, v[18:19]
	v_add_nc_u32_e32 v18, s16, v18
	v_add_co_u32 v12, s3, s4, v12
	s_delay_alu instid0(VALU_DEP_1) | instskip(NEXT) | instid1(VALU_DEP_3)
	v_add_co_ci_u32_e64 v13, s3, s7, v13, s3
	v_ashrrev_i32_e32 v19, 31, v18
	s_delay_alu instid0(VALU_DEP_3) | instskip(NEXT) | instid1(VALU_DEP_1)
	v_add_co_u32 v12, s3, v12, v3
	v_add_co_ci_u32_e64 v13, s3, 0, v13, s3
	v_cmp_gt_i32_e64 s3, s19, v7
	s_delay_alu instid0(VALU_DEP_4) | instskip(NEXT) | instid1(VALU_DEP_2)
	v_lshlrev_b64 v[18:19], 2, v[18:19]
	v_cndmask_b32_e64 v13, s5, v13, s3
	v_cndmask_b32_e64 v12, 0, v12, s3
	s_waitcnt vmcnt(0) lgkmcnt(0)
	ds_store_b128 v29, v[8:11] offset:1152
	flat_load_b128 v[9:12], v[12:13]
	v_add_co_u32 v13, s4, s4, v18
	s_delay_alu instid0(VALU_DEP_1) | instskip(SKIP_1) | instid1(VALU_DEP_3)
	v_add_co_ci_u32_e64 v18, s4, s7, v19, s4
	v_add_nc_u32_e32 v8, 24, v4
	v_add_co_u32 v13, s4, v13, v3
	s_delay_alu instid0(VALU_DEP_1) | instskip(NEXT) | instid1(VALU_DEP_3)
	v_add_co_ci_u32_e64 v18, s4, 0, v18, s4
	v_cmp_gt_i32_e64 s4, s19, v8
	s_clause 0x1
	scratch_store_b32 off, v14, off
	scratch_store_b96 off, v[15:17], off offset:4
	s_mov_b32 s7, exec_lo
	v_cndmask_b32_e64 v19, s5, v18, s4
	v_cndmask_b32_e64 v18, 0, v13, s4
	s_waitcnt vmcnt(0) lgkmcnt(0)
	ds_store_b128 v29, v[9:12] offset:2304
	flat_load_b128 v[9:12], v[18:19]
	s_waitcnt vmcnt(0) lgkmcnt(0)
	ds_store_b128 v29, v[9:12] offset:3456
	s_waitcnt lgkmcnt(0)
	s_waitcnt_vscnt null, 0x0
	s_barrier
	buffer_gl0_inv
	ds_load_b128 v[9:12], v26
	ds_load_b128 v[15:18], v27 offset:4608
	s_waitcnt lgkmcnt(0)
	;;#ASMSTART
	v_dot2_f32_f16 v14, v9, v15, v14
	;;#ASMEND
	;;#ASMSTART
	v_dot2_f32_f16 v14, v10, v16, v14
	;;#ASMEND
	;;#ASMSTART
	v_dot2_f32_f16 v14, v11, v17, v14
	;;#ASMEND
	;;#ASMSTART
	v_dot2_f32_f16 v14, v12, v18, v14
	;;#ASMEND
	ds_load_b128 v[9:12], v26 offset:16
	ds_load_b128 v[15:18], v27 offset:4624
	s_waitcnt lgkmcnt(0)
	;;#ASMSTART
	v_dot2_f32_f16 v14, v9, v15, v14
	;;#ASMEND
	;;#ASMSTART
	v_dot2_f32_f16 v14, v10, v16, v14
	;;#ASMEND
	;;#ASMSTART
	v_dot2_f32_f16 v14, v11, v17, v14
	;;#ASMEND
	;;#ASMSTART
	v_dot2_f32_f16 v14, v12, v18, v14
	;;#ASMEND
	ds_load_b128 v[9:12], v26 offset:32
	;; [unrolled: 15-line block ×6, first 2 shown]
	ds_load_b128 v[15:18], v27 offset:4704
	s_waitcnt lgkmcnt(0)
	;;#ASMSTART
	v_dot2_f32_f16 v14, v9, v15, v14
	;;#ASMEND
	;;#ASMSTART
	v_dot2_f32_f16 v14, v10, v16, v14
	;;#ASMEND
	;; [unrolled: 3-line block ×3, first 2 shown]
	v_mov_b32_e32 v11, v2
	;;#ASMSTART
	v_dot2_f32_f16 v14, v12, v18, v14
	;;#ASMEND
	ds_load_b128 v[15:18], v26 offset:112
	ds_load_b128 v[29:32], v27 offset:4720
	s_waitcnt lgkmcnt(0)
	;;#ASMSTART
	v_dot2_f32_f16 v14, v15, v29, v14
	;;#ASMEND
	;;#ASMSTART
	v_dot2_f32_f16 v14, v16, v30, v14
	;;#ASMEND
	;; [unrolled: 3-line block ×4, first 2 shown]
	v_cmpx_gt_i32_e64 s19, v0
	s_cbranch_execz .LBB68_21
; %bb.17:
	s_cmp_eq_u64 s[40:41], 0
	s_cbranch_scc1 .LBB68_19
; %bb.18:
	v_mul_lo_u32 v9, v25, s15
	s_delay_alu instid0(VALU_DEP_1) | instskip(NEXT) | instid1(VALU_DEP_1)
	v_add3_u32 v9, v9, v0, s6
	v_ashrrev_i32_e32 v10, 31, v9
	s_delay_alu instid0(VALU_DEP_1) | instskip(NEXT) | instid1(VALU_DEP_1)
	v_lshlrev_b64 v[9:10], 1, v[9:10]
	v_add_co_u32 v9, s5, s40, v9
	s_delay_alu instid0(VALU_DEP_1) | instskip(SKIP_3) | instid1(VALU_DEP_1)
	v_add_co_ci_u32_e64 v10, s5, s41, v10, s5
	flat_load_u16 v9, v[9:10]
	s_waitcnt vmcnt(0) lgkmcnt(0)
	v_cvt_f32_f16_e32 v9, v9
	v_mul_f32_e32 v9, v24, v9
	s_branch .LBB68_20
.LBB68_19:
	v_mov_b32_e32 v9, 0
.LBB68_20:
	s_delay_alu instid0(VALU_DEP_1) | instskip(SKIP_1) | instid1(VALU_DEP_2)
	v_add_f32_e32 v14, v14, v9
	v_max_f32_e32 v10, v2, v2
	v_add_f32_e32 v9, 0x40051340, v14
	s_delay_alu instid0(VALU_DEP_1)
	v_max_f32_e32 v11, v10, v9
.LBB68_21:
	s_or_b32 exec_lo, exec_lo, s7
	v_xor_b32_e32 v9, 16, v22
	v_mul_lo_u32 v18, s8, v4
	s_mul_hi_i32 s21, s6, s8
	s_mul_i32 s20, s6, s8
	s_mov_b64 s[6:7], src_private_base
	v_cmp_gt_i32_e64 s5, 32, v9
	s_lshl_b64 s[20:21], s[20:21], 2
	s_mov_b32 s16, 0
	s_add_u32 s6, s9, s20
	v_ashrrev_i32_e32 v19, 31, v18
	v_cndmask_b32_e64 v10, v22, v9, s5
	s_addc_u32 s9, s13, s21
	s_mov_b32 s18, s16
	s_mov_b32 s17, s16
	v_mov_b32_e32 v32, 0
	v_lshlrev_b32_e32 v10, 2, v10
	s_barrier
	buffer_gl0_inv
	v_lshl_or_b32 v4, v4, 7, v3
	ds_bpermute_b32 v12, v10, v11
	v_max_f32_e32 v11, v11, v11
	v_xor_b32_e32 v10, 8, v22
	v_lshl_or_b32 v7, v7, 7, v3
	v_dual_mov_b32 v25, s18 :: v_dual_lshlrev_b32 v30, 6, v23
	v_dual_mov_b32 v24, s17 :: v_dual_mov_b32 v23, s16
	s_delay_alu instid0(VALU_DEP_4)
	v_cmp_gt_i32_e64 s5, 32, v10
	s_clause 0x1
	scratch_store_b32 off, v32, off
	scratch_store_b96 off, v[23:25], off offset:4
	v_cndmask_b32_e64 v13, v22, v10, s5
	s_waitcnt lgkmcnt(0)
	s_delay_alu instid0(VALU_DEP_1) | instskip(NEXT) | instid1(VALU_DEP_1)
	v_dual_max_f32 v12, v12, v12 :: v_dual_lshlrev_b32 v13, 2, v13
	v_max_f32_e32 v12, v11, v12
	v_xor_b32_e32 v11, 4, v22
	ds_bpermute_b32 v13, v13, v12
	v_cmp_gt_i32_e64 s5, 32, v11
	s_delay_alu instid0(VALU_DEP_1) | instskip(NEXT) | instid1(VALU_DEP_1)
	v_cndmask_b32_e64 v15, v22, v11, s5
	v_lshlrev_b32_e32 v15, 2, v15
	s_waitcnt lgkmcnt(0)
	v_max_f32_e32 v13, v13, v13
	s_delay_alu instid0(VALU_DEP_1) | instskip(SKIP_1) | instid1(VALU_DEP_1)
	v_max_f32_e32 v13, v12, v13
	v_xor_b32_e32 v12, 2, v22
	v_cmp_gt_i32_e64 s5, 32, v12
	s_delay_alu instid0(VALU_DEP_1) | instskip(NEXT) | instid1(VALU_DEP_1)
	v_cndmask_b32_e64 v16, v22, v12, s5
	v_lshlrev_b32_e32 v16, 2, v16
	ds_bpermute_b32 v15, v15, v13
	s_waitcnt lgkmcnt(0)
	v_max_f32_e32 v15, v15, v15
	s_delay_alu instid0(VALU_DEP_1) | instskip(SKIP_3) | instid1(VALU_DEP_1)
	v_max_f32_e32 v15, v13, v15
	v_xor_b32_e32 v13, 1, v22
	ds_bpermute_b32 v16, v16, v15
	v_cmp_gt_i32_e64 s5, 32, v13
	v_cndmask_b32_e64 v17, v22, v13, s5
	s_waitcnt lgkmcnt(0)
	s_delay_alu instid0(VALU_DEP_1) | instskip(NEXT) | instid1(VALU_DEP_1)
	v_dual_max_f32 v16, v16, v16 :: v_dual_lshlrev_b32 v17, 2, v17
	v_max_f32_e32 v15, v15, v16
	ds_bpermute_b32 v16, v17, v15
	s_waitcnt lgkmcnt(0)
	v_max_f32_e32 v16, v16, v16
	s_delay_alu instid0(VALU_DEP_1) | instskip(NEXT) | instid1(VALU_DEP_1)
	v_max_f32_e32 v29, v15, v16
	v_sub_f32_e32 v16, v14, v29
	s_delay_alu instid0(VALU_DEP_1) | instskip(SKIP_1) | instid1(VALU_DEP_2)
	v_mul_f32_e32 v14, 0x3fb8aa3b, v16
	v_cmp_ngt_f32_e64 s5, 0xc2ce8ed0, v16
	v_fma_f32 v15, 0x3fb8aa3b, v16, -v14
	v_rndne_f32_e32 v17, v14
	s_delay_alu instid0(VALU_DEP_1) | instskip(NEXT) | instid1(VALU_DEP_1)
	v_dual_fmac_f32 v15, 0x32a5705f, v16 :: v_dual_sub_f32 v14, v14, v17
	v_add_f32_e32 v14, v14, v15
	v_cvt_i32_f32_e32 v15, v17
	s_delay_alu instid0(VALU_DEP_2) | instskip(SKIP_3) | instid1(VALU_DEP_2)
	v_exp_f32_e32 v14, v14
	s_waitcnt_depctr 0xfff
	v_ldexp_f32 v17, v14, v15
	v_lshlrev_b64 v[14:15], 2, v[18:19]
	v_cndmask_b32_e64 v17, 0, v17, s5
	s_delay_alu instid0(VALU_DEP_2) | instskip(NEXT) | instid1(VALU_DEP_1)
	v_add_co_u32 v14, s5, s6, v14
	v_add_co_ci_u32_e64 v15, s5, s9, v15, s5
	v_cmp_nlt_f32_e64 s5, 0x42b17218, v16
	s_delay_alu instid0(VALU_DEP_1) | instskip(NEXT) | instid1(VALU_DEP_4)
	v_cndmask_b32_e64 v16, 0x7f800000, v17, s5
	v_add_co_u32 v14, s5, v14, v3
	s_delay_alu instid0(VALU_DEP_1) | instskip(SKIP_1) | instid1(VALU_DEP_2)
	v_add_co_ci_u32_e64 v15, s5, 0, v15, s5
	v_cmp_gt_u32_e64 s5, s19, v0
	v_cndmask_b32_e32 v15, s7, v15, vcc_lo
	s_delay_alu instid0(VALU_DEP_2) | instskip(SKIP_3) | instid1(VALU_DEP_3)
	v_cndmask_b32_e64 v31, 0, v16, s5
	v_add3_u32 v16, 0x1300, v30, v6
	v_cndmask_b32_e32 v14, 0, v14, vcc_lo
	s_lshl_b32 s5, s8, 3
	v_cvt_f16_f32_e32 v17, v31
	v_add_nc_u32_e32 v18, s5, v18
	ds_store_b16 v16, v17
	flat_load_b128 v[14:17], v[14:15]
	v_ashrrev_i32_e32 v19, 31, v18
	s_clause 0x1
	scratch_store_b32 off, v32, off
	scratch_store_b96 off, v[23:25], off offset:4
	v_lshlrev_b64 v[26:27], 2, v[18:19]
	v_add_nc_u32_e32 v18, s5, v18
	s_delay_alu instid0(VALU_DEP_2) | instskip(NEXT) | instid1(VALU_DEP_3)
	v_add_co_u32 v19, vcc_lo, s6, v26
	v_add_co_ci_u32_e32 v26, vcc_lo, s9, v27, vcc_lo
	s_delay_alu instid0(VALU_DEP_2) | instskip(NEXT) | instid1(VALU_DEP_2)
	v_add_co_u32 v19, vcc_lo, v19, v3
	v_add_co_ci_u32_e32 v26, vcc_lo, 0, v26, vcc_lo
	s_delay_alu instid0(VALU_DEP_1) | instskip(NEXT) | instid1(VALU_DEP_3)
	v_cndmask_b32_e64 v27, s7, v26, s2
	v_cndmask_b32_e64 v26, 0, v19, s2
	v_ashrrev_i32_e32 v19, 31, v18
	s_waitcnt vmcnt(0) lgkmcnt(0)
	ds_store_b128 v4, v[14:17]
	flat_load_b128 v[14:17], v[26:27]
	v_lshlrev_b64 v[26:27], 2, v[18:19]
	s_clause 0x1
	scratch_store_b32 off, v32, off
	scratch_store_b96 off, v[23:25], off offset:4
	v_add_co_u32 v4, vcc_lo, s6, v26
	v_add_co_ci_u32_e32 v19, vcc_lo, s9, v27, vcc_lo
	v_lshl_or_b32 v26, v5, 7, v3
	s_delay_alu instid0(VALU_DEP_3) | instskip(NEXT) | instid1(VALU_DEP_3)
	v_add_co_u32 v4, vcc_lo, v4, v3
	v_add_co_ci_u32_e32 v19, vcc_lo, 0, v19, vcc_lo
	s_delay_alu instid0(VALU_DEP_2) | instskip(NEXT) | instid1(VALU_DEP_2)
	v_cndmask_b32_e64 v4, 0, v4, s3
	v_cndmask_b32_e64 v5, s7, v19, s3
	s_waitcnt vmcnt(0) lgkmcnt(0)
	ds_store_b128 v26, v[14:17]
	flat_load_b128 v[14:17], v[4:5]
	v_add_nc_u32_e32 v4, s5, v18
	s_clause 0x1
	scratch_store_b32 off, v32, off
	scratch_store_b96 off, v[23:25], off offset:4
	v_sub_f32_e32 v18, v2, v29
	v_ashrrev_i32_e32 v5, 31, v4
	s_delay_alu instid0(VALU_DEP_2) | instskip(NEXT) | instid1(VALU_DEP_2)
	v_mul_f32_e32 v2, 0x3fb8aa3b, v18
	v_lshlrev_b64 v[4:5], 2, v[4:5]
	s_delay_alu instid0(VALU_DEP_1) | instskip(NEXT) | instid1(VALU_DEP_2)
	v_add_co_u32 v4, vcc_lo, s6, v4
	v_add_co_ci_u32_e32 v5, vcc_lo, s9, v5, vcc_lo
	s_delay_alu instid0(VALU_DEP_2) | instskip(NEXT) | instid1(VALU_DEP_2)
	v_add_co_u32 v4, vcc_lo, v4, v3
	v_add_co_ci_u32_e32 v5, vcc_lo, 0, v5, vcc_lo
	v_lshl_or_b32 v3, v8, 7, v3
	s_delay_alu instid0(VALU_DEP_3) | instskip(SKIP_1) | instid1(VALU_DEP_4)
	v_cndmask_b32_e64 v4, 0, v4, s4
	v_cmp_ngt_f32_e32 vcc_lo, 0xc2ce8ed0, v18
	v_cndmask_b32_e64 v5, s7, v5, s4
	s_waitcnt vmcnt(0) lgkmcnt(0)
	ds_store_b128 v7, v[14:17]
	flat_load_b128 v[14:17], v[4:5]
	v_fma_f32 v4, 0x3fb8aa3b, v18, -v2
	v_rndne_f32_e32 v5, v2
	s_delay_alu instid0(VALU_DEP_2) | instskip(NEXT) | instid1(VALU_DEP_2)
	v_fmac_f32_e32 v4, 0x32a5705f, v18
	v_sub_f32_e32 v2, v2, v5
	v_cvt_i32_f32_e32 v23, v5
	s_delay_alu instid0(VALU_DEP_2) | instskip(NEXT) | instid1(VALU_DEP_1)
	v_add_f32_e32 v2, v2, v4
	v_exp_f32_e32 v19, v2
	s_waitcnt vmcnt(0) lgkmcnt(0)
	ds_store_b128 v3, v[14:17]
	s_waitcnt lgkmcnt(0)
	s_waitcnt_vscnt null, 0x0
	s_barrier
	buffer_gl0_inv
	ds_load_2addr_b32 v[7:8], v21 offset1:32
	ds_load_b128 v[2:5], v30 offset:4864
	v_ldexp_f32 v14, v19, v23
	ds_load_2addr_b32 v[23:24], v21 offset0:128 offset1:160
	v_cndmask_b32_e32 v14, 0, v14, vcc_lo
	v_cmp_nlt_f32_e32 vcc_lo, 0x42b17218, v18
	ds_load_2addr_b32 v[18:19], v21 offset0:64 offset1:96
	v_cndmask_b32_e32 v25, 0x7f800000, v14, vcc_lo
	ds_load_b128 v[14:17], v30 offset:4880
	v_cvt_f16_f32_e32 v26, v25
	v_fmac_f32_e32 v31, v28, v25
	s_waitcnt lgkmcnt(3)
	v_pk_mul_f16 v7, v7, v2 op_sel_hi:[1,0]
	s_delay_alu instid0(VALU_DEP_2) | instskip(NEXT) | instid1(VALU_DEP_2)
	v_mov_b32_e32 v28, v31
	v_pk_fma_f16 v7, v20, v26, v7 op_sel_hi:[1,0,1]
	v_add_nc_u32_e32 v20, 0x400, v21
	s_delay_alu instid0(VALU_DEP_2) | instskip(SKIP_3) | instid1(VALU_DEP_1)
	v_pk_fma_f16 v2, v8, v2, v7 op_sel:[0,1,0]
	ds_load_2addr_b32 v[7:8], v21 offset0:192 offset1:224
	s_waitcnt lgkmcnt(2)
	v_pk_fma_f16 v2, v18, v3, v2 op_sel_hi:[1,0,1]
	v_pk_fma_f16 v18, v19, v3, v2 op_sel:[0,1,0]
	ds_load_2addr_b32 v[2:3], v20 offset1:32
	v_pk_fma_f16 v18, v23, v4, v18 op_sel_hi:[1,0,1]
	s_delay_alu instid0(VALU_DEP_1) | instskip(SKIP_4) | instid1(VALU_DEP_1)
	v_pk_fma_f16 v4, v24, v4, v18 op_sel:[0,1,0]
	ds_load_2addr_b32 v[18:19], v20 offset0:64 offset1:96
	ds_load_2addr_b32 v[23:24], v20 offset0:192 offset1:224
	s_waitcnt lgkmcnt(3)
	v_pk_fma_f16 v4, v7, v5, v4 op_sel_hi:[1,0,1]
	v_pk_fma_f16 v4, v8, v5, v4 op_sel:[0,1,0]
	ds_load_2addr_b32 v[7:8], v20 offset0:128 offset1:160
	v_add_nc_u32_e32 v20, 0x800, v21
	s_waitcnt lgkmcnt(3)
	v_pk_fma_f16 v2, v2, v14, v4 op_sel_hi:[1,0,1]
	s_delay_alu instid0(VALU_DEP_1) | instskip(SKIP_1) | instid1(VALU_DEP_1)
	v_pk_fma_f16 v2, v3, v14, v2 op_sel:[0,1,0]
	s_waitcnt lgkmcnt(2)
	v_pk_fma_f16 v2, v18, v15, v2 op_sel_hi:[1,0,1]
	s_delay_alu instid0(VALU_DEP_1)
	v_pk_fma_f16 v2, v19, v15, v2 op_sel:[0,1,0]
	ds_load_2addr_b32 v[18:19], v20 offset1:32
	s_waitcnt lgkmcnt(1)
	v_pk_fma_f16 v7, v7, v16, v2 op_sel_hi:[1,0,1]
	ds_load_b128 v[2:5], v30 offset:4896
	v_pk_fma_f16 v14, v8, v16, v7 op_sel:[0,1,0]
	ds_load_2addr_b32 v[7:8], v20 offset0:64 offset1:96
	v_pk_fma_f16 v14, v23, v17, v14 op_sel_hi:[1,0,1]
	s_delay_alu instid0(VALU_DEP_1) | instskip(SKIP_4) | instid1(VALU_DEP_1)
	v_pk_fma_f16 v26, v24, v17, v14 op_sel:[0,1,0]
	ds_load_b128 v[14:17], v30 offset:4912
	ds_load_2addr_b32 v[23:24], v20 offset0:128 offset1:160
	s_waitcnt lgkmcnt(3)
	v_pk_fma_f16 v18, v18, v2, v26 op_sel_hi:[1,0,1]
	v_pk_fma_f16 v2, v19, v2, v18 op_sel:[0,1,0]
	ds_load_2addr_b32 v[18:19], v20 offset0:192 offset1:224
	v_add_nc_u32_e32 v20, 0xc00, v21
	s_waitcnt lgkmcnt(3)
	v_pk_fma_f16 v2, v7, v3, v2 op_sel_hi:[1,0,1]
	s_delay_alu instid0(VALU_DEP_1) | instskip(SKIP_3) | instid1(VALU_DEP_1)
	v_pk_fma_f16 v7, v8, v3, v2 op_sel:[0,1,0]
	ds_load_2addr_b32 v[2:3], v20 offset1:32
	s_waitcnt lgkmcnt(2)
	v_pk_fma_f16 v7, v23, v4, v7 op_sel_hi:[1,0,1]
	v_pk_fma_f16 v4, v24, v4, v7 op_sel:[0,1,0]
	ds_load_2addr_b32 v[7:8], v20 offset0:64 offset1:96
	s_waitcnt lgkmcnt(2)
	v_pk_fma_f16 v4, v18, v5, v4 op_sel_hi:[1,0,1]
	s_delay_alu instid0(VALU_DEP_1)
	v_pk_fma_f16 v18, v19, v5, v4 op_sel:[0,1,0]
	ds_load_2addr_b32 v[4:5], v20 offset0:128 offset1:160
	s_waitcnt lgkmcnt(2)
	v_pk_fma_f16 v2, v2, v14, v18 op_sel_hi:[1,0,1]
	ds_load_2addr_b32 v[18:19], v20 offset0:192 offset1:224
	s_waitcnt lgkmcnt(0)
	s_barrier
	buffer_gl0_inv
	v_pk_fma_f16 v2, v3, v14, v2 op_sel:[0,1,0]
	v_mov_b32_e32 v3, 32
	s_delay_alu instid0(VALU_DEP_2) | instskip(NEXT) | instid1(VALU_DEP_1)
	v_pk_fma_f16 v2, v7, v15, v2 op_sel_hi:[1,0,1]
	v_pk_fma_f16 v2, v8, v15, v2 op_sel:[0,1,0]
	s_delay_alu instid0(VALU_DEP_1) | instskip(NEXT) | instid1(VALU_DEP_1)
	v_pk_fma_f16 v2, v4, v16, v2 op_sel_hi:[1,0,1]
	v_pk_fma_f16 v2, v5, v16, v2 op_sel:[0,1,0]
	s_delay_alu instid0(VALU_DEP_1) | instskip(SKIP_1) | instid1(VALU_DEP_2)
	v_pk_fma_f16 v4, v18, v17, v2 op_sel_hi:[1,0,1]
	v_mov_b32_e32 v2, v29
	v_pk_fma_f16 v20, v19, v17, v4 op_sel:[0,1,0]
	v_mov_b32_e32 v4, v22
.LBB68_22:
	v_cmp_lt_i32_e32 vcc_lo, v9, v3
	s_cmp_eq_u64 s[24:25], 0
	s_cselect_b32 s2, -1, 0
	s_cmp_lg_u32 s14, 0
	v_cndmask_b32_e32 v5, v4, v9, vcc_lo
	v_cmp_lt_i32_e32 vcc_lo, v10, v3
	s_cselect_b32 s3, -1, 0
	s_delay_alu instid0(SALU_CYCLE_1) | instskip(SKIP_2) | instid1(VALU_DEP_2)
	s_or_b32 s2, s3, s2
	v_cndmask_b32_e32 v7, v4, v10, vcc_lo
	v_cmp_lt_i32_e32 vcc_lo, v11, v3
	v_lshlrev_b32_e32 v7, 2, v7
	v_cndmask_b32_e32 v8, v4, v11, vcc_lo
	v_cmp_lt_i32_e32 vcc_lo, v12, v3
	s_delay_alu instid0(VALU_DEP_2)
	v_lshlrev_b32_e32 v8, 2, v8
	v_lshlrev_b32_e32 v5, 2, v5
	ds_bpermute_b32 v5, v5, v28
	s_waitcnt lgkmcnt(0)
	v_add_f32_e32 v5, v28, v5
	ds_bpermute_b32 v7, v7, v5
	s_waitcnt lgkmcnt(0)
	v_add_f32_e32 v5, v5, v7
	ds_bpermute_b32 v7, v8, v5
	v_cndmask_b32_e32 v8, v4, v12, vcc_lo
	v_cmp_lt_i32_e32 vcc_lo, v13, v3
	s_waitcnt lgkmcnt(0)
	s_delay_alu instid0(VALU_DEP_2)
	v_dual_add_f32 v5, v5, v7 :: v_dual_lshlrev_b32 v8, 2, v8
	ds_bpermute_b32 v7, v8, v5
	v_cndmask_b32_e32 v3, v4, v13, vcc_lo
	s_and_b32 vcc_lo, exec_lo, s2
	s_waitcnt lgkmcnt(0)
	v_add_f32_e32 v4, v5, v7
	s_delay_alu instid0(VALU_DEP_2)
	v_lshlrev_b32_e32 v3, 2, v3
	ds_bpermute_b32 v3, v3, v4
	s_waitcnt lgkmcnt(0)
	v_add_f32_e32 v3, v4, v3
	s_cbranch_vccnz .LBB68_24
; %bb.23:
	s_lshl_b64 s[2:3], s[34:35], 2
	v_dual_mov_b32 v4, 0 :: v_dual_max_f32 v5, v2, v2
	s_add_u32 s2, s24, s2
	s_addc_u32 s3, s25, s3
	global_load_b32 v4, v4, s[2:3]
	s_waitcnt vmcnt(0)
	v_max_f32_e32 v7, v4, v4
	s_delay_alu instid0(VALU_DEP_1) | instskip(NEXT) | instid1(VALU_DEP_1)
	v_max_f32_e32 v5, v5, v7
	v_sub_f32_e32 v4, v4, v5
	s_delay_alu instid0(VALU_DEP_1) | instskip(SKIP_1) | instid1(VALU_DEP_2)
	v_mul_f32_e32 v8, 0x3fb8aa3b, v4
	v_sub_f32_e32 v2, v2, v5
	v_rndne_f32_e32 v12, v8
	s_delay_alu instid0(VALU_DEP_2) | instskip(SKIP_2) | instid1(VALU_DEP_4)
	v_mul_f32_e32 v7, 0x3fb8aa3b, v2
	v_fma_f32 v11, 0x3fb8aa3b, v4, -v8
	v_cmp_ngt_f32_e32 vcc_lo, 0xc2ce8ed0, v2
	v_sub_f32_e32 v8, v8, v12
	s_delay_alu instid0(VALU_DEP_4) | instskip(SKIP_2) | instid1(VALU_DEP_3)
	v_fma_f32 v9, 0x3fb8aa3b, v2, -v7
	v_rndne_f32_e32 v10, v7
	v_fmac_f32_e32 v11, 0x32a5705f, v4
	v_fmac_f32_e32 v9, 0x32a5705f, v2
	s_delay_alu instid0(VALU_DEP_2) | instskip(NEXT) | instid1(VALU_DEP_1)
	v_dual_sub_f32 v7, v7, v10 :: v_dual_add_f32 v8, v8, v11
	v_add_f32_e32 v7, v7, v9
	v_cvt_i32_f32_e32 v9, v10
	s_delay_alu instid0(VALU_DEP_3) | instskip(SKIP_1) | instid1(VALU_DEP_3)
	v_exp_f32_e32 v8, v8
	v_cvt_i32_f32_e32 v10, v12
	v_exp_f32_e32 v7, v7
	s_waitcnt_depctr 0xfff
	v_ldexp_f32 v8, v8, v10
	v_ldexp_f32 v7, v7, v9
	s_delay_alu instid0(VALU_DEP_1) | instskip(SKIP_1) | instid1(VALU_DEP_4)
	v_cndmask_b32_e32 v7, 0, v7, vcc_lo
	v_cmp_ngt_f32_e32 vcc_lo, 0xc2ce8ed0, v4
	v_cndmask_b32_e32 v8, 0, v8, vcc_lo
	v_cmp_nlt_f32_e32 vcc_lo, 0x42b17218, v2
	s_delay_alu instid0(VALU_DEP_4) | instskip(SKIP_1) | instid1(VALU_DEP_4)
	v_cndmask_b32_e32 v2, 0x7f800000, v7, vcc_lo
	v_cmp_nlt_f32_e32 vcc_lo, 0x42b17218, v4
	v_cndmask_b32_e32 v4, 0x7f800000, v8, vcc_lo
	s_delay_alu instid0(VALU_DEP_1) | instskip(NEXT) | instid1(VALU_DEP_1)
	v_fmac_f32_e32 v4, v3, v2
	v_mov_b32_e32 v3, v4
	v_cvt_f16_f32_e32 v7, v2
	v_mov_b32_e32 v2, v5
	s_delay_alu instid0(VALU_DEP_2)
	v_pk_mul_f16 v20, v20, v7 op_sel_hi:[1,0]
.LBB68_24:
	s_mov_b32 s2, exec_lo
	v_cmpx_gt_i32_e64 s10, v1
	s_cbranch_execz .LBB68_27
; %bb.25:
	v_div_scale_f32 v9, null, v3, v3, 1.0
	s_load_b32 s0, s[0:1], 0xd4
	v_div_scale_f32 v11, vcc_lo, 1.0, v3, 1.0
	s_delay_alu instid0(VALU_DEP_2) | instskip(SKIP_2) | instid1(VALU_DEP_1)
	v_rcp_f32_e32 v10, v9
	s_waitcnt_depctr 0xfff
	v_fma_f32 v4, -v9, v10, 1.0
	v_fmac_f32_e32 v10, v4, v10
	v_mad_u64_u32 v[4:5], null, s12, s10, v[1:2]
	s_waitcnt lgkmcnt(0)
	s_cmp_lg_u32 s0, 1
	s_cselect_b32 s1, -1, 0
	s_delay_alu instid0(VALU_DEP_1) | instskip(SKIP_1) | instid1(VALU_DEP_2)
	v_mad_u64_u32 v[7:8], null, v4, s11, s[34:35]
	v_cvt_f32_f16_e32 v8, v20
	v_mad_u64_u32 v[4:5], null, s0, v7, s[14:15]
	v_dual_mov_b32 v7, 0 :: v_dual_mul_f32 v12, v11, v10
	v_lshrrev_b32_e32 v5, 16, v20
	s_delay_alu instid0(VALU_DEP_2) | instskip(NEXT) | instid1(VALU_DEP_4)
	v_fma_f32 v1, -v9, v12, v11
	v_lshl_add_u32 v6, v4, 6, v6
	s_delay_alu instid0(VALU_DEP_2) | instskip(NEXT) | instid1(VALU_DEP_1)
	v_fmac_f32_e32 v12, v1, v10
	v_fma_f32 v1, -v9, v12, v11
	v_cvt_f32_f16_e32 v9, v5
	s_delay_alu instid0(VALU_DEP_4) | instskip(NEXT) | instid1(VALU_DEP_3)
	v_lshlrev_b64 v[5:6], 2, v[6:7]
	v_div_fmas_f32 v1, v1, v10, v12
	v_cmp_eq_u32_e32 vcc_lo, 0, v0
	s_delay_alu instid0(VALU_DEP_3) | instskip(NEXT) | instid1(VALU_DEP_3)
	v_add_co_u32 v5, s0, s28, v5
	v_div_fixup_f32 v1, v1, v3, 1.0
	v_add_co_ci_u32_e64 v6, s0, s29, v6, s0
	s_and_b32 s0, vcc_lo, s1
	s_delay_alu instid0(VALU_DEP_2) | instskip(NEXT) | instid1(VALU_DEP_1)
	v_cndmask_b32_e64 v1, v1, 1.0, s1
	v_mul_f32_e32 v0, v1, v8
	v_mul_f32_e32 v1, v1, v9
	global_store_b64 v[5:6], v[0:1], off
	s_and_b32 exec_lo, exec_lo, s0
	s_cbranch_execz .LBB68_27
; %bb.26:
	v_ashrrev_i32_e32 v5, 31, v4
	s_delay_alu instid0(VALU_DEP_1) | instskip(NEXT) | instid1(VALU_DEP_1)
	v_lshlrev_b64 v[0:1], 3, v[4:5]
	v_add_co_u32 v0, vcc_lo, s30, v0
	s_delay_alu instid0(VALU_DEP_2)
	v_add_co_ci_u32_e32 v1, vcc_lo, s31, v1, vcc_lo
	global_store_b64 v[0:1], v[2:3], off
.LBB68_27:
	s_nop 0
	s_sendmsg sendmsg(MSG_DEALLOC_VGPRS)
	s_endpgm
	.section	.rodata,"a",@progbits
	.p2align	6, 0x0
	.amdhsa_kernel _ZL15flash_attn_tileILi64ELi64ELi2ELi1ELb0EEvPKcS1_S1_S1_S1_PKiPfP15HIP_vector_typeIfLj2EEffffjfiS5_IjLj3EEiiiiiiiiiiiliiliiiiil
		.amdhsa_group_segment_fixed_size 4992
		.amdhsa_private_segment_fixed_size 32
		.amdhsa_kernarg_size 464
		.amdhsa_user_sgpr_count 13
		.amdhsa_user_sgpr_dispatch_ptr 0
		.amdhsa_user_sgpr_queue_ptr 0
		.amdhsa_user_sgpr_kernarg_segment_ptr 1
		.amdhsa_user_sgpr_dispatch_id 0
		.amdhsa_user_sgpr_private_segment_size 0
		.amdhsa_wavefront_size32 1
		.amdhsa_uses_dynamic_stack 0
		.amdhsa_enable_private_segment 1
		.amdhsa_system_sgpr_workgroup_id_x 1
		.amdhsa_system_sgpr_workgroup_id_y 1
		.amdhsa_system_sgpr_workgroup_id_z 1
		.amdhsa_system_sgpr_workgroup_info 0
		.amdhsa_system_vgpr_workitem_id 1
		.amdhsa_next_free_vgpr 64
		.amdhsa_next_free_sgpr 52
		.amdhsa_reserve_vcc 1
		.amdhsa_float_round_mode_32 0
		.amdhsa_float_round_mode_16_64 0
		.amdhsa_float_denorm_mode_32 3
		.amdhsa_float_denorm_mode_16_64 3
		.amdhsa_dx10_clamp 1
		.amdhsa_ieee_mode 1
		.amdhsa_fp16_overflow 0
		.amdhsa_workgroup_processor_mode 1
		.amdhsa_memory_ordered 1
		.amdhsa_forward_progress 0
		.amdhsa_shared_vgpr_count 0
		.amdhsa_exception_fp_ieee_invalid_op 0
		.amdhsa_exception_fp_denorm_src 0
		.amdhsa_exception_fp_ieee_div_zero 0
		.amdhsa_exception_fp_ieee_overflow 0
		.amdhsa_exception_fp_ieee_underflow 0
		.amdhsa_exception_fp_ieee_inexact 0
		.amdhsa_exception_int_div_zero 0
	.end_amdhsa_kernel
	.section	.text._ZL15flash_attn_tileILi64ELi64ELi2ELi1ELb0EEvPKcS1_S1_S1_S1_PKiPfP15HIP_vector_typeIfLj2EEffffjfiS5_IjLj3EEiiiiiiiiiiiliiliiiiil,"axG",@progbits,_ZL15flash_attn_tileILi64ELi64ELi2ELi1ELb0EEvPKcS1_S1_S1_S1_PKiPfP15HIP_vector_typeIfLj2EEffffjfiS5_IjLj3EEiiiiiiiiiiiliiliiiiil,comdat
.Lfunc_end68:
	.size	_ZL15flash_attn_tileILi64ELi64ELi2ELi1ELb0EEvPKcS1_S1_S1_S1_PKiPfP15HIP_vector_typeIfLj2EEffffjfiS5_IjLj3EEiiiiiiiiiiiliiliiiiil, .Lfunc_end68-_ZL15flash_attn_tileILi64ELi64ELi2ELi1ELb0EEvPKcS1_S1_S1_S1_PKiPfP15HIP_vector_typeIfLj2EEffffjfiS5_IjLj3EEiiiiiiiiiiiliiliiiiil
                                        ; -- End function
	.section	.AMDGPU.csdata,"",@progbits
; Kernel info:
; codeLenInByte = 9116
; NumSgprs: 54
; NumVgprs: 64
; ScratchSize: 32
; MemoryBound: 0
; FloatMode: 240
; IeeeMode: 1
; LDSByteSize: 4992 bytes/workgroup (compile time only)
; SGPRBlocks: 6
; VGPRBlocks: 7
; NumSGPRsForWavesPerEU: 54
; NumVGPRsForWavesPerEU: 64
; Occupancy: 13
; WaveLimiterHint : 1
; COMPUTE_PGM_RSRC2:SCRATCH_EN: 1
; COMPUTE_PGM_RSRC2:USER_SGPR: 13
; COMPUTE_PGM_RSRC2:TRAP_HANDLER: 0
; COMPUTE_PGM_RSRC2:TGID_X_EN: 1
; COMPUTE_PGM_RSRC2:TGID_Y_EN: 1
; COMPUTE_PGM_RSRC2:TGID_Z_EN: 1
; COMPUTE_PGM_RSRC2:TIDIG_COMP_CNT: 1
	.section	.text._ZL33flash_attn_stream_k_fixup_uniformILi64ELi2ELi1EEvPfPK15HIP_vector_typeIfLj2EEiiiiiiS1_IjLj3EES5_S5_,"axG",@progbits,_ZL33flash_attn_stream_k_fixup_uniformILi64ELi2ELi1EEvPfPK15HIP_vector_typeIfLj2EEiiiiiiS1_IjLj3EES5_S5_,comdat
	.globl	_ZL33flash_attn_stream_k_fixup_uniformILi64ELi2ELi1EEvPfPK15HIP_vector_typeIfLj2EEiiiiiiS1_IjLj3EES5_S5_ ; -- Begin function _ZL33flash_attn_stream_k_fixup_uniformILi64ELi2ELi1EEvPfPK15HIP_vector_typeIfLj2EEiiiiiiS1_IjLj3EES5_S5_
	.p2align	8
	.type	_ZL33flash_attn_stream_k_fixup_uniformILi64ELi2ELi1EEvPfPK15HIP_vector_typeIfLj2EEiiiiiiS1_IjLj3EES5_S5_,@function
_ZL33flash_attn_stream_k_fixup_uniformILi64ELi2ELi1EEvPfPK15HIP_vector_typeIfLj2EEiiiiiiS1_IjLj3EES5_S5_: ; @_ZL33flash_attn_stream_k_fixup_uniformILi64ELi2ELi1EEvPfPK15HIP_vector_typeIfLj2EEiiiiiiS1_IjLj3EES5_S5_
; %bb.0:
	s_clause 0x1
	s_load_b256 s[4:11], s[0:1], 0x1c
	s_load_b128 s[16:19], s[0:1], 0x3c
	s_waitcnt lgkmcnt(0)
	s_mul_hi_u32 s2, s7, s13
	s_delay_alu instid0(SALU_CYCLE_1) | instskip(NEXT) | instid1(SALU_CYCLE_1)
	s_add_i32 s2, s13, s2
	s_lshr_b32 s2, s2, s8
	s_delay_alu instid0(SALU_CYCLE_1) | instskip(SKIP_2) | instid1(SALU_CYCLE_1)
	s_mul_i32 s3, s2, s9
	s_load_b64 s[8:9], s[0:1], 0x10
	s_sub_i32 s7, s13, s3
	s_mul_hi_u32 s3, s7, s10
	s_delay_alu instid0(SALU_CYCLE_1) | instskip(NEXT) | instid1(SALU_CYCLE_1)
	s_add_i32 s3, s7, s3
	s_lshr_b32 s3, s3, s11
	s_delay_alu instid0(SALU_CYCLE_1) | instskip(NEXT) | instid1(SALU_CYCLE_1)
	s_mul_i32 s10, s3, s16
	s_sub_i32 s10, s7, s10
	s_delay_alu instid0(SALU_CYCLE_1) | instskip(NEXT) | instid1(SALU_CYCLE_1)
	s_mul_hi_u32 s7, s10, s17
	s_add_i32 s7, s10, s7
	s_delay_alu instid0(SALU_CYCLE_1) | instskip(NEXT) | instid1(SALU_CYCLE_1)
	s_lshr_b32 s7, s7, s18
	s_mul_i32 s11, s7, s19
	s_delay_alu instid0(SALU_CYCLE_1) | instskip(NEXT) | instid1(SALU_CYCLE_1)
	s_sub_i32 s10, s10, s11
	s_lshl_b32 s11, s10, 1
	s_delay_alu instid0(SALU_CYCLE_1) | instskip(SKIP_4) | instid1(SALU_CYCLE_1)
	s_add_i32 s11, s11, s14
	s_waitcnt lgkmcnt(0)
	s_cmp_lt_i32 s11, s8
	s_cselect_b32 s11, -1, 0
	s_add_i32 s12, s7, s15
	s_cmp_lt_i32 s12, s5
	s_cselect_b32 s12, -1, 0
	s_delay_alu instid0(SALU_CYCLE_1) | instskip(NEXT) | instid1(SALU_CYCLE_1)
	s_and_b32 s11, s11, s12
	s_and_not1_b32 vcc_lo, exec_lo, s11
	s_cbranch_vccnz .LBB69_6
; %bb.1:
	s_mul_i32 s2, s2, s8
	s_mul_i32 s5, s3, s5
	s_add_i32 s2, s2, s14
	s_delay_alu instid0(SALU_CYCLE_1) | instskip(NEXT) | instid1(SALU_CYCLE_1)
	s_mul_i32 s2, s2, s9
	s_add_i32 s8, s2, s15
	s_load_b128 s[0:3], s[0:1], 0x0
	s_add_i32 s5, s8, s5
	s_mul_i32 s8, s9, s10
	s_add_i32 s5, s5, s7
	s_lshl_b32 s7, s8, 7
	s_lshl_b32 s5, s5, 6
	s_add_i32 s10, s14, s15
	s_add_i32 s7, s7, s5
	s_mul_i32 s5, s13, s6
	v_or_b32_e32 v1, s7, v0
	s_add_i32 s9, s5, s6
	s_delay_alu instid0(VALU_DEP_1) | instskip(NEXT) | instid1(VALU_DEP_1)
	v_ashrrev_i32_e32 v2, 31, v1
	v_lshlrev_b64 v[1:2], 2, v[1:2]
	s_waitcnt lgkmcnt(0)
	s_delay_alu instid0(VALU_DEP_1) | instskip(NEXT) | instid1(VALU_DEP_2)
	v_add_co_u32 v1, vcc_lo, s0, v1
	v_add_co_ci_u32_e32 v2, vcc_lo, s1, v2, vcc_lo
	s_lshl_b32 s0, s9, 1
	s_delay_alu instid0(SALU_CYCLE_1) | instskip(SKIP_2) | instid1(SALU_CYCLE_1)
	s_add_i32 s0, s10, s0
	global_load_b32 v5, v[1:2], off
	s_add_i32 s0, s0, -2
	s_ashr_i32 s1, s0, 31
	s_delay_alu instid0(SALU_CYCLE_1) | instskip(NEXT) | instid1(SALU_CYCLE_1)
	s_lshl_b64 s[0:1], s[0:1], 3
	s_add_u32 s0, s2, s0
	s_addc_u32 s1, s3, s1
	s_add_i32 s7, s9, -2
	s_load_b32 s11, s[0:1], 0x4
	s_cmp_lt_i32 s7, s5
	s_cbranch_scc1 .LBB69_4
; %bb.2:
	s_lshl_b32 s14, s4, 3
	s_load_b32 s12, s[0:1], 0x0
	s_ashr_i32 s15, s14, 31
	s_delay_alu instid0(SALU_CYCLE_1) | instskip(NEXT) | instid1(SALU_CYCLE_1)
	s_lshl_b64 s[0:1], s[14:15], 2
	s_add_u32 s7, s2, s0
	s_addc_u32 s8, s3, s1
	s_add_i32 s13, s13, 1
	s_lshl_b32 s1, s10, 6
	s_mul_i32 s0, s6, s13
	s_delay_alu instid0(SALU_CYCLE_1)
	s_lshl_b32 s6, s0, 7
	s_lshl_b32 s0, s0, 1
	s_add_i32 s1, s1, s6
	s_add_i32 s0, s10, s0
	v_or_b32_e32 v0, s1, v0
	s_lshl_b32 s1, s4, 1
	s_waitcnt lgkmcnt(0)
	v_mov_b32_e32 v6, s11
	s_add_i32 s0, s0, s1
	s_add_i32 s4, s9, -1
	v_dual_mov_b32 v0, s12 :: v_dual_add_nc_u32 v3, 0xffffff00, v0
	s_add_i32 s0, s0, -4
.LBB69_3:                               ; =>This Inner Loop Header: Depth=1
	s_delay_alu instid0(VALU_DEP_1) | instskip(SKIP_1) | instid1(SALU_CYCLE_1)
	v_ashrrev_i32_e32 v4, 31, v3
	s_ashr_i32 s1, s0, 31
	s_lshl_b64 s[10:11], s[0:1], 3
	s_delay_alu instid0(SALU_CYCLE_1) | instskip(NEXT) | instid1(VALU_DEP_1)
	s_add_u32 s10, s2, s10
	v_lshlrev_b64 v[7:8], 2, v[3:4]
	s_addc_u32 s11, s3, s11
	s_add_i32 s4, s4, -1
	s_add_i32 s0, s0, -2
	s_cmp_le_i32 s4, s5
	s_load_b64 s[10:11], s[10:11], 0x0
	v_add_co_u32 v7, vcc_lo, s7, v7
	v_add_co_ci_u32_e32 v8, vcc_lo, s8, v8, vcc_lo
	global_load_b32 v4, v[7:8], off
	v_max_f32_e32 v7, v0, v0
	s_waitcnt lgkmcnt(0)
	v_max_f32_e64 v8, s10, s10
	s_delay_alu instid0(VALU_DEP_1) | instskip(NEXT) | instid1(VALU_DEP_1)
	v_max_f32_e32 v7, v7, v8
	v_sub_f32_e32 v8, s10, v7
	s_delay_alu instid0(VALU_DEP_1) | instskip(NEXT) | instid1(VALU_DEP_1)
	v_dual_sub_f32 v0, v0, v7 :: v_dual_mul_f32 v9, 0x3fb8aa3b, v8
	v_fma_f32 v10, 0x3fb8aa3b, v8, -v9
	v_rndne_f32_e32 v11, v9
	s_delay_alu instid0(VALU_DEP_3) | instskip(NEXT) | instid1(VALU_DEP_2)
	v_mul_f32_e32 v12, 0x3fb8aa3b, v0
	v_dual_fmac_f32 v10, 0x32a5705f, v8 :: v_dual_sub_f32 v9, v9, v11
	v_cvt_i32_f32_e32 v11, v11
	s_delay_alu instid0(VALU_DEP_3) | instskip(SKIP_1) | instid1(VALU_DEP_4)
	v_fma_f32 v13, 0x3fb8aa3b, v0, -v12
	v_rndne_f32_e32 v14, v12
	v_add_f32_e32 v9, v9, v10
	v_cmp_ngt_f32_e32 vcc_lo, 0xc2ce8ed0, v8
	s_delay_alu instid0(VALU_DEP_3) | instskip(NEXT) | instid1(VALU_DEP_3)
	v_sub_f32_e32 v10, v12, v14
	v_exp_f32_e32 v9, v9
	s_waitcnt_depctr 0xfff
	v_ldexp_f32 v9, v9, v11
	v_cvt_i32_f32_e32 v11, v14
	s_delay_alu instid0(VALU_DEP_2) | instskip(SKIP_1) | instid1(VALU_DEP_2)
	v_cndmask_b32_e32 v9, 0, v9, vcc_lo
	v_cmp_nlt_f32_e32 vcc_lo, 0x42b17218, v8
	v_cndmask_b32_e32 v9, 0x7f800000, v9, vcc_lo
	v_cmp_ngt_f32_e32 vcc_lo, 0xc2ce8ed0, v0
	v_fmac_f32_e32 v13, 0x32a5705f, v0
	s_delay_alu instid0(VALU_DEP_1) | instskip(NEXT) | instid1(VALU_DEP_1)
	v_add_f32_e32 v10, v10, v13
	v_exp_f32_e32 v10, v10
	s_waitcnt_depctr 0xfff
	v_ldexp_f32 v10, v10, v11
	s_delay_alu instid0(VALU_DEP_1)
	v_dual_mov_b32 v11, v6 :: v_dual_cndmask_b32 v10, 0, v10
	v_cmp_le_f32_e32 vcc_lo, 0xc1a00000, v8
	s_waitcnt vmcnt(1)
	v_dual_cndmask_b32 v8, 0, v9 :: v_dual_mov_b32 v9, v5
	v_cmp_nlt_f32_e32 vcc_lo, 0x42b17218, v0
	v_cndmask_b32_e32 v5, 0x7f800000, v10, vcc_lo
	s_delay_alu instid0(VALU_DEP_3) | instskip(SKIP_2) | instid1(VALU_DEP_3)
	v_mul_f32_e32 v10, s11, v8
	v_cmp_le_f32_e32 vcc_lo, 0xc1a00000, v0
	v_mov_b32_e32 v0, v7
	v_mov_b32_e32 v6, v10
	s_waitcnt vmcnt(0)
	v_dual_cndmask_b32 v12, 0, v5 :: v_dual_mul_f32 v5, v4, v8
	s_delay_alu instid0(VALU_DEP_1) | instskip(NEXT) | instid1(VALU_DEP_2)
	v_dual_fmac_f32 v6, v11, v12 :: v_dual_add_nc_u32 v3, 0xffffff80, v3
	v_fmac_f32_e32 v5, v9, v12
	s_cbranch_scc0 .LBB69_3
	s_branch .LBB69_5
.LBB69_4:
	s_waitcnt lgkmcnt(0)
	v_mov_b32_e32 v6, s11
.LBB69_5:
	s_waitcnt vmcnt(0)
	s_delay_alu instid0(VALU_DEP_1) | instskip(NEXT) | instid1(VALU_DEP_1)
	v_div_scale_f32 v0, null, v6, v6, v5
	v_rcp_f32_e32 v3, v0
	s_waitcnt_depctr 0xfff
	v_fma_f32 v4, -v0, v3, 1.0
	s_delay_alu instid0(VALU_DEP_1) | instskip(SKIP_1) | instid1(VALU_DEP_1)
	v_fmac_f32_e32 v3, v4, v3
	v_div_scale_f32 v4, vcc_lo, v5, v6, v5
	v_mul_f32_e32 v7, v4, v3
	s_delay_alu instid0(VALU_DEP_1) | instskip(NEXT) | instid1(VALU_DEP_1)
	v_fma_f32 v8, -v0, v7, v4
	v_fmac_f32_e32 v7, v8, v3
	s_delay_alu instid0(VALU_DEP_1) | instskip(NEXT) | instid1(VALU_DEP_1)
	v_fma_f32 v0, -v0, v7, v4
	v_div_fmas_f32 v0, v0, v3, v7
	s_delay_alu instid0(VALU_DEP_1)
	v_div_fixup_f32 v0, v0, v6, v5
	global_store_b32 v[1:2], v0, off
.LBB69_6:
	s_nop 0
	s_sendmsg sendmsg(MSG_DEALLOC_VGPRS)
	s_endpgm
	.section	.rodata,"a",@progbits
	.p2align	6, 0x0
	.amdhsa_kernel _ZL33flash_attn_stream_k_fixup_uniformILi64ELi2ELi1EEvPfPK15HIP_vector_typeIfLj2EEiiiiiiS1_IjLj3EES5_S5_
		.amdhsa_group_segment_fixed_size 0
		.amdhsa_private_segment_fixed_size 0
		.amdhsa_kernarg_size 76
		.amdhsa_user_sgpr_count 13
		.amdhsa_user_sgpr_dispatch_ptr 0
		.amdhsa_user_sgpr_queue_ptr 0
		.amdhsa_user_sgpr_kernarg_segment_ptr 1
		.amdhsa_user_sgpr_dispatch_id 0
		.amdhsa_user_sgpr_private_segment_size 0
		.amdhsa_wavefront_size32 1
		.amdhsa_uses_dynamic_stack 0
		.amdhsa_enable_private_segment 0
		.amdhsa_system_sgpr_workgroup_id_x 1
		.amdhsa_system_sgpr_workgroup_id_y 1
		.amdhsa_system_sgpr_workgroup_id_z 1
		.amdhsa_system_sgpr_workgroup_info 0
		.amdhsa_system_vgpr_workitem_id 0
		.amdhsa_next_free_vgpr 15
		.amdhsa_next_free_sgpr 20
		.amdhsa_reserve_vcc 1
		.amdhsa_float_round_mode_32 0
		.amdhsa_float_round_mode_16_64 0
		.amdhsa_float_denorm_mode_32 3
		.amdhsa_float_denorm_mode_16_64 3
		.amdhsa_dx10_clamp 1
		.amdhsa_ieee_mode 1
		.amdhsa_fp16_overflow 0
		.amdhsa_workgroup_processor_mode 1
		.amdhsa_memory_ordered 1
		.amdhsa_forward_progress 0
		.amdhsa_shared_vgpr_count 0
		.amdhsa_exception_fp_ieee_invalid_op 0
		.amdhsa_exception_fp_denorm_src 0
		.amdhsa_exception_fp_ieee_div_zero 0
		.amdhsa_exception_fp_ieee_overflow 0
		.amdhsa_exception_fp_ieee_underflow 0
		.amdhsa_exception_fp_ieee_inexact 0
		.amdhsa_exception_int_div_zero 0
	.end_amdhsa_kernel
	.section	.text._ZL33flash_attn_stream_k_fixup_uniformILi64ELi2ELi1EEvPfPK15HIP_vector_typeIfLj2EEiiiiiiS1_IjLj3EES5_S5_,"axG",@progbits,_ZL33flash_attn_stream_k_fixup_uniformILi64ELi2ELi1EEvPfPK15HIP_vector_typeIfLj2EEiiiiiiS1_IjLj3EES5_S5_,comdat
.Lfunc_end69:
	.size	_ZL33flash_attn_stream_k_fixup_uniformILi64ELi2ELi1EEvPfPK15HIP_vector_typeIfLj2EEiiiiiiS1_IjLj3EES5_S5_, .Lfunc_end69-_ZL33flash_attn_stream_k_fixup_uniformILi64ELi2ELi1EEvPfPK15HIP_vector_typeIfLj2EEiiiiiiS1_IjLj3EES5_S5_
                                        ; -- End function
	.section	.AMDGPU.csdata,"",@progbits
; Kernel info:
; codeLenInByte = 976
; NumSgprs: 22
; NumVgprs: 15
; ScratchSize: 0
; MemoryBound: 0
; FloatMode: 240
; IeeeMode: 1
; LDSByteSize: 0 bytes/workgroup (compile time only)
; SGPRBlocks: 2
; VGPRBlocks: 1
; NumSGPRsForWavesPerEU: 22
; NumVGPRsForWavesPerEU: 15
; Occupancy: 16
; WaveLimiterHint : 0
; COMPUTE_PGM_RSRC2:SCRATCH_EN: 0
; COMPUTE_PGM_RSRC2:USER_SGPR: 13
; COMPUTE_PGM_RSRC2:TRAP_HANDLER: 0
; COMPUTE_PGM_RSRC2:TGID_X_EN: 1
; COMPUTE_PGM_RSRC2:TGID_Y_EN: 1
; COMPUTE_PGM_RSRC2:TGID_Z_EN: 1
; COMPUTE_PGM_RSRC2:TIDIG_COMP_CNT: 0
	.section	.text._ZL33flash_attn_stream_k_fixup_generalILi64ELi2ELi1EEvPfPK15HIP_vector_typeIfLj2EEiiiiS1_IjLj3EES5_S5_S5_,"axG",@progbits,_ZL33flash_attn_stream_k_fixup_generalILi64ELi2ELi1EEvPfPK15HIP_vector_typeIfLj2EEiiiiS1_IjLj3EES5_S5_S5_,comdat
	.globl	_ZL33flash_attn_stream_k_fixup_generalILi64ELi2ELi1EEvPfPK15HIP_vector_typeIfLj2EEiiiiS1_IjLj3EES5_S5_S5_ ; -- Begin function _ZL33flash_attn_stream_k_fixup_generalILi64ELi2ELi1EEvPfPK15HIP_vector_typeIfLj2EEiiiiS1_IjLj3EES5_S5_S5_
	.p2align	8
	.type	_ZL33flash_attn_stream_k_fixup_generalILi64ELi2ELi1EEvPfPK15HIP_vector_typeIfLj2EEiiiiS1_IjLj3EES5_S5_S5_,@function
_ZL33flash_attn_stream_k_fixup_generalILi64ELi2ELi1EEvPfPK15HIP_vector_typeIfLj2EEiiiiS1_IjLj3EES5_S5_S5_: ; @_ZL33flash_attn_stream_k_fixup_generalILi64ELi2ELi1EEvPfPK15HIP_vector_typeIfLj2EEiiiiS1_IjLj3EES5_S5_S5_
; %bb.0:
	s_clause 0x1
	s_load_b128 s[4:7], s[0:1], 0x10
	s_load_b32 s20, s[0:1], 0x50
	s_mov_b32 s2, 0
	s_waitcnt lgkmcnt(0)
	s_mul_hi_i32 s3, s7, s13
	s_mul_i32 s12, s7, s13
	s_cmp_lg_u64 s[2:3], 0
	s_cbranch_scc0 .LBB70_21
; %bb.1:
	v_cvt_f32_ubyte0_e32 v1, 0
	v_cvt_f32_u32_e32 v2, s20
	s_sub_u32 s10, 0, s20
	s_subb_u32 s11, 0, 0
	s_delay_alu instid0(VALU_DEP_1) | instskip(NEXT) | instid1(VALU_DEP_1)
	v_fmamk_f32 v1, v1, 0x4f800000, v2
	v_rcp_f32_e32 v1, v1
	s_waitcnt_depctr 0xfff
	v_mul_f32_e32 v1, 0x5f7ffffc, v1
	s_delay_alu instid0(VALU_DEP_1) | instskip(NEXT) | instid1(VALU_DEP_1)
	v_mul_f32_e32 v2, 0x2f800000, v1
	v_trunc_f32_e32 v2, v2
	s_delay_alu instid0(VALU_DEP_1) | instskip(SKIP_1) | instid1(VALU_DEP_2)
	v_fmamk_f32 v1, v2, 0xcf800000, v1
	v_cvt_u32_f32_e32 v2, v2
	v_cvt_u32_f32_e32 v1, v1
	s_delay_alu instid0(VALU_DEP_2) | instskip(NEXT) | instid1(VALU_DEP_2)
	v_readfirstlane_b32 s8, v2
	v_readfirstlane_b32 s9, v1
	s_delay_alu instid0(VALU_DEP_2) | instskip(NEXT) | instid1(VALU_DEP_1)
	s_mul_i32 s16, s10, s8
	s_mul_hi_u32 s18, s10, s9
	s_mul_i32 s17, s11, s9
	s_add_i32 s16, s18, s16
	s_mul_i32 s19, s10, s9
	s_add_i32 s16, s16, s17
	s_mul_hi_u32 s18, s9, s19
	s_mul_hi_u32 s21, s8, s19
	s_mul_i32 s17, s8, s19
	s_mul_hi_u32 s19, s9, s16
	s_mul_i32 s9, s9, s16
	s_mul_hi_u32 s22, s8, s16
	s_add_u32 s9, s18, s9
	s_addc_u32 s18, 0, s19
	s_add_u32 s9, s9, s17
	s_mul_i32 s16, s8, s16
	s_addc_u32 s9, s18, s21
	s_addc_u32 s17, s22, 0
	s_add_u32 s9, s9, s16
	s_addc_u32 s16, 0, s17
	v_add_co_u32 v1, s9, v1, s9
	s_delay_alu instid0(VALU_DEP_1) | instskip(SKIP_1) | instid1(VALU_DEP_1)
	s_cmp_lg_u32 s9, 0
	s_addc_u32 s8, s8, s16
	v_readfirstlane_b32 s9, v1
	s_mul_i32 s16, s10, s8
	s_delay_alu instid0(VALU_DEP_1)
	s_mul_hi_u32 s17, s10, s9
	s_mul_i32 s11, s11, s9
	s_add_i32 s16, s17, s16
	s_mul_i32 s10, s10, s9
	s_add_i32 s16, s16, s11
	s_mul_hi_u32 s17, s8, s10
	s_mul_i32 s18, s8, s10
	s_mul_hi_u32 s10, s9, s10
	s_mul_hi_u32 s19, s9, s16
	s_mul_i32 s9, s9, s16
	s_mul_hi_u32 s11, s8, s16
	s_add_u32 s9, s10, s9
	s_addc_u32 s10, 0, s19
	s_add_u32 s9, s9, s18
	s_mul_i32 s16, s8, s16
	s_addc_u32 s9, s10, s17
	s_addc_u32 s10, s11, 0
	s_add_u32 s9, s9, s16
	s_addc_u32 s10, 0, s10
	v_add_co_u32 v1, s9, v1, s9
	s_delay_alu instid0(VALU_DEP_1) | instskip(SKIP_2) | instid1(SALU_CYCLE_1)
	s_cmp_lg_u32 s9, 0
	s_addc_u32 s16, s8, s10
	s_ashr_i32 s8, s3, 31
	s_add_u32 s10, s12, s8
	s_addc_u32 s11, s3, s8
	v_readfirstlane_b32 s3, v1
	s_mov_b32 s9, s8
	s_delay_alu instid0(SALU_CYCLE_1) | instskip(NEXT) | instid1(SALU_CYCLE_1)
	s_xor_b64 s[10:11], s[10:11], s[8:9]
	s_mul_i32 s18, s10, s16
	s_delay_alu instid0(VALU_DEP_1)
	s_mul_hi_u32 s19, s10, s3
	s_mul_hi_u32 s17, s10, s16
	;; [unrolled: 1-line block ×3, first 2 shown]
	s_mul_i32 s3, s11, s3
	s_add_u32 s18, s19, s18
	s_addc_u32 s17, 0, s17
	s_mul_hi_u32 s21, s11, s16
	s_add_u32 s3, s18, s3
	s_mul_i32 s16, s11, s16
	s_addc_u32 s3, s17, s22
	s_addc_u32 s17, s21, 0
	s_add_u32 s3, s3, s16
	s_addc_u32 s16, 0, s17
	s_mul_i32 s18, s20, s3
	s_add_u32 s17, s3, 1
	v_sub_co_u32 v1, s10, s10, s18
	s_mul_hi_u32 s18, s20, s3
	s_addc_u32 s19, s16, 0
	s_mul_i32 s21, s20, s16
	s_delay_alu instid0(VALU_DEP_1)
	v_sub_co_u32 v2, s22, v1, s20
	s_add_u32 s23, s3, 2
	s_addc_u32 s24, s16, 0
	s_add_i32 s18, s18, s21
	s_cmp_lg_u32 s10, 0
	v_readfirstlane_b32 s10, v2
	s_subb_u32 s11, s11, s18
	s_cmp_lg_u32 s22, 0
	s_subb_u32 s18, s11, 0
	s_delay_alu instid0(VALU_DEP_1) | instskip(SKIP_4) | instid1(SALU_CYCLE_1)
	s_cmp_ge_u32 s10, s20
	s_cselect_b32 s10, -1, 0
	s_cmp_eq_u32 s18, 0
	v_readfirstlane_b32 s18, v1
	s_cselect_b32 s10, s10, -1
	s_cmp_lg_u32 s10, 0
	s_cselect_b32 s10, s23, s17
	s_cselect_b32 s17, s24, s19
	s_cmp_ge_u32 s18, s20
	s_cselect_b32 s18, -1, 0
	s_cmp_eq_u32 s11, 0
	s_cselect_b32 s11, s18, -1
	s_delay_alu instid0(SALU_CYCLE_1) | instskip(SKIP_2) | instid1(SALU_CYCLE_1)
	s_cmp_lg_u32 s11, 0
	s_cselect_b32 s11, s17, s16
	s_cselect_b32 s10, s10, s3
	s_xor_b64 s[10:11], s[10:11], s[8:9]
	s_delay_alu instid0(SALU_CYCLE_1)
	s_sub_u32 s16, s10, s8
	s_load_b128 s[8:11], s[0:1], 0x44
	s_and_not1_b32 vcc_lo, exec_lo, s2
	s_cbranch_vccnz .LBB70_3
.LBB70_2:
	v_cvt_f32_u32_e32 v1, s20
	s_sub_i32 s3, 0, s20
	s_delay_alu instid0(VALU_DEP_1) | instskip(SKIP_2) | instid1(VALU_DEP_1)
	v_rcp_iflag_f32_e32 v1, v1
	s_waitcnt_depctr 0xfff
	v_mul_f32_e32 v1, 0x4f7ffffe, v1
	v_cvt_u32_f32_e32 v1, v1
	s_delay_alu instid0(VALU_DEP_1) | instskip(NEXT) | instid1(VALU_DEP_1)
	v_readfirstlane_b32 s2, v1
	s_mul_i32 s3, s3, s2
	s_delay_alu instid0(SALU_CYCLE_1) | instskip(NEXT) | instid1(SALU_CYCLE_1)
	s_mul_hi_u32 s3, s2, s3
	s_add_i32 s2, s2, s3
	s_delay_alu instid0(SALU_CYCLE_1) | instskip(NEXT) | instid1(SALU_CYCLE_1)
	s_mul_hi_u32 s2, s12, s2
	s_mul_i32 s3, s2, s20
	s_waitcnt lgkmcnt(0)
	s_add_i32 s11, s2, 1
	s_sub_i32 s3, s12, s3
	s_delay_alu instid0(SALU_CYCLE_1)
	s_sub_i32 s12, s3, s20
	s_cmp_ge_u32 s3, s20
	s_cselect_b32 s2, s11, s2
	s_cselect_b32 s3, s12, s3
	s_add_i32 s11, s2, 1
	s_cmp_ge_u32 s3, s20
	s_cselect_b32 s16, s11, s2
.LBB70_3:
	s_waitcnt lgkmcnt(0)
	s_add_i32 s11, s13, 1
	s_mov_b32 s2, 0
	s_mul_hi_i32 s3, s7, s11
	s_mul_i32 s11, s7, s11
	s_cmp_lg_u64 s[2:3], 0
	s_cbranch_scc0 .LBB70_22
; %bb.4:
	v_cvt_f32_ubyte0_e32 v1, 0
	v_cvt_f32_u32_e32 v2, s20
	s_sub_u32 s18, 0, s20
	s_subb_u32 s19, 0, 0
	s_delay_alu instid0(VALU_DEP_1) | instskip(NEXT) | instid1(VALU_DEP_1)
	v_fmamk_f32 v1, v1, 0x4f800000, v2
	v_rcp_f32_e32 v1, v1
	s_waitcnt_depctr 0xfff
	v_mul_f32_e32 v1, 0x5f7ffffc, v1
	s_delay_alu instid0(VALU_DEP_1) | instskip(NEXT) | instid1(VALU_DEP_1)
	v_mul_f32_e32 v2, 0x2f800000, v1
	v_trunc_f32_e32 v2, v2
	s_delay_alu instid0(VALU_DEP_1) | instskip(SKIP_1) | instid1(VALU_DEP_2)
	v_fmamk_f32 v1, v2, 0xcf800000, v1
	v_cvt_u32_f32_e32 v2, v2
	v_cvt_u32_f32_e32 v1, v1
	s_delay_alu instid0(VALU_DEP_2) | instskip(NEXT) | instid1(VALU_DEP_2)
	v_readfirstlane_b32 s12, v2
	v_readfirstlane_b32 s17, v1
	s_delay_alu instid0(VALU_DEP_2) | instskip(NEXT) | instid1(VALU_DEP_1)
	s_mul_i32 s21, s18, s12
	s_mul_hi_u32 s23, s18, s17
	s_mul_i32 s22, s19, s17
	s_add_i32 s21, s23, s21
	s_mul_i32 s24, s18, s17
	s_add_i32 s21, s21, s22
	s_mul_hi_u32 s23, s17, s24
	s_mul_hi_u32 s25, s12, s24
	s_mul_i32 s22, s12, s24
	s_mul_hi_u32 s24, s17, s21
	s_mul_i32 s17, s17, s21
	s_mul_hi_u32 s26, s12, s21
	s_add_u32 s17, s23, s17
	s_addc_u32 s23, 0, s24
	s_add_u32 s17, s17, s22
	s_mul_i32 s21, s12, s21
	s_addc_u32 s17, s23, s25
	s_addc_u32 s22, s26, 0
	s_add_u32 s17, s17, s21
	s_addc_u32 s21, 0, s22
	v_add_co_u32 v1, s17, v1, s17
	s_delay_alu instid0(VALU_DEP_1) | instskip(SKIP_1) | instid1(VALU_DEP_1)
	s_cmp_lg_u32 s17, 0
	s_addc_u32 s12, s12, s21
	v_readfirstlane_b32 s17, v1
	s_mul_i32 s21, s18, s12
	s_delay_alu instid0(VALU_DEP_1)
	s_mul_hi_u32 s22, s18, s17
	s_mul_i32 s19, s19, s17
	s_add_i32 s21, s22, s21
	s_mul_i32 s18, s18, s17
	s_add_i32 s21, s21, s19
	s_mul_hi_u32 s22, s12, s18
	s_mul_i32 s23, s12, s18
	s_mul_hi_u32 s18, s17, s18
	s_mul_hi_u32 s24, s17, s21
	s_mul_i32 s17, s17, s21
	s_mul_hi_u32 s19, s12, s21
	s_add_u32 s17, s18, s17
	s_addc_u32 s18, 0, s24
	s_add_u32 s17, s17, s23
	s_mul_i32 s21, s12, s21
	s_addc_u32 s17, s18, s22
	s_addc_u32 s18, s19, 0
	s_add_u32 s17, s17, s21
	s_addc_u32 s18, 0, s18
	v_add_co_u32 v1, s17, v1, s17
	s_delay_alu instid0(VALU_DEP_1) | instskip(SKIP_2) | instid1(SALU_CYCLE_1)
	s_cmp_lg_u32 s17, 0
	s_addc_u32 s12, s12, s18
	s_ashr_i32 s18, s3, 31
	s_add_u32 s22, s11, s18
	s_addc_u32 s23, s3, s18
	v_readfirstlane_b32 s3, v1
	s_mov_b32 s19, s18
	s_delay_alu instid0(SALU_CYCLE_1) | instskip(NEXT) | instid1(SALU_CYCLE_1)
	s_xor_b64 s[22:23], s[22:23], s[18:19]
	s_mul_i32 s21, s22, s12
	s_delay_alu instid0(VALU_DEP_1)
	s_mul_hi_u32 s24, s22, s3
	s_mul_hi_u32 s17, s22, s12
	;; [unrolled: 1-line block ×3, first 2 shown]
	s_mul_i32 s3, s23, s3
	s_add_u32 s21, s24, s21
	s_addc_u32 s17, 0, s17
	s_mul_hi_u32 s25, s23, s12
	s_add_u32 s3, s21, s3
	s_mul_i32 s12, s23, s12
	s_addc_u32 s3, s17, s26
	s_addc_u32 s17, s25, 0
	s_add_u32 s3, s3, s12
	s_addc_u32 s12, 0, s17
	s_mul_i32 s21, s20, s3
	s_add_u32 s17, s3, 1
	v_sub_co_u32 v1, s21, s22, s21
	s_mul_hi_u32 s22, s20, s3
	s_addc_u32 s24, s12, 0
	s_mul_i32 s25, s20, s12
	s_delay_alu instid0(VALU_DEP_1)
	v_sub_co_u32 v2, s26, v1, s20
	s_add_u32 s27, s3, 2
	s_addc_u32 s28, s12, 0
	s_add_i32 s22, s22, s25
	s_cmp_lg_u32 s21, 0
	v_readfirstlane_b32 s21, v2
	s_subb_u32 s22, s23, s22
	s_cmp_lg_u32 s26, 0
	s_subb_u32 s23, s22, 0
	s_delay_alu instid0(VALU_DEP_1) | instskip(SKIP_4) | instid1(SALU_CYCLE_1)
	s_cmp_ge_u32 s21, s20
	s_cselect_b32 s21, -1, 0
	s_cmp_eq_u32 s23, 0
	v_readfirstlane_b32 s23, v1
	s_cselect_b32 s21, s21, -1
	s_cmp_lg_u32 s21, 0
	s_cselect_b32 s17, s27, s17
	s_cselect_b32 s21, s28, s24
	s_cmp_ge_u32 s23, s20
	s_cselect_b32 s23, -1, 0
	s_cmp_eq_u32 s22, 0
	s_cselect_b32 s22, s23, -1
	s_delay_alu instid0(SALU_CYCLE_1) | instskip(SKIP_2) | instid1(SALU_CYCLE_1)
	s_cmp_lg_u32 s22, 0
	s_cselect_b32 s23, s21, s12
	s_cselect_b32 s22, s17, s3
	s_xor_b64 s[22:23], s[22:23], s[18:19]
	s_delay_alu instid0(SALU_CYCLE_1)
	s_sub_u32 s18, s22, s18
	s_and_not1_b32 vcc_lo, exec_lo, s2
	s_cbranch_vccnz .LBB70_6
.LBB70_5:
	v_cvt_f32_u32_e32 v1, s20
	s_sub_i32 s3, 0, s20
	s_delay_alu instid0(VALU_DEP_1) | instskip(SKIP_2) | instid1(VALU_DEP_1)
	v_rcp_iflag_f32_e32 v1, v1
	s_waitcnt_depctr 0xfff
	v_mul_f32_e32 v1, 0x4f7ffffe, v1
	v_cvt_u32_f32_e32 v1, v1
	s_delay_alu instid0(VALU_DEP_1) | instskip(NEXT) | instid1(VALU_DEP_1)
	v_readfirstlane_b32 s2, v1
	s_mul_i32 s3, s3, s2
	s_delay_alu instid0(SALU_CYCLE_1) | instskip(NEXT) | instid1(SALU_CYCLE_1)
	s_mul_hi_u32 s3, s2, s3
	s_add_i32 s2, s2, s3
	s_delay_alu instid0(SALU_CYCLE_1) | instskip(NEXT) | instid1(SALU_CYCLE_1)
	s_mul_hi_u32 s2, s11, s2
	s_mul_i32 s3, s2, s20
	s_delay_alu instid0(SALU_CYCLE_1)
	s_sub_i32 s3, s11, s3
	s_add_i32 s11, s2, 1
	s_sub_i32 s12, s3, s20
	s_cmp_ge_u32 s3, s20
	s_cselect_b32 s2, s11, s2
	s_cselect_b32 s3, s12, s3
	s_add_i32 s11, s2, 1
	s_cmp_ge_u32 s3, s20
	s_cselect_b32 s18, s11, s2
.LBB70_6:
	s_delay_alu instid0(SALU_CYCLE_1) | instskip(SKIP_3) | instid1(SALU_CYCLE_1)
	s_cmp_eq_u32 s16, s18
	s_mul_hi_u32 s2, s16, s8
	s_cselect_b32 s3, -1, 0
	s_add_i32 s2, s2, s16
	s_lshr_b32 s11, s2, s9
	s_delay_alu instid0(SALU_CYCLE_1) | instskip(NEXT) | instid1(SALU_CYCLE_1)
	s_mul_i32 s2, s11, s10
	s_cmp_eq_u32 s2, s16
	s_mul_hi_u32 s2, s18, s8
	s_cselect_b32 s12, -1, 0
	s_add_i32 s2, s2, s18
	s_delay_alu instid0(SALU_CYCLE_1) | instskip(NEXT) | instid1(SALU_CYCLE_1)
	s_lshr_b32 s2, s2, s9
	s_cmp_eq_u32 s11, s2
	s_mul_i32 s2, s2, s10
	s_cselect_b32 s17, -1, 0
	s_cmp_lg_u32 s2, s18
	s_cselect_b32 s2, -1, 0
	s_or_b32 s3, s3, s12
	s_and_b32 s2, s17, s2
	s_delay_alu instid0(SALU_CYCLE_1) | instskip(NEXT) | instid1(SALU_CYCLE_1)
	s_or_b32 s2, s3, s2
	s_and_b32 vcc_lo, exec_lo, s2
	s_cbranch_vccnz .LBB70_24
; %bb.7:
	s_load_b256 s[24:31], s[0:1], 0x20
	s_waitcnt lgkmcnt(0)
	s_mul_hi_u32 s2, s16, s24
	s_delay_alu instid0(SALU_CYCLE_1) | instskip(NEXT) | instid1(SALU_CYCLE_1)
	s_add_i32 s2, s2, s16
	s_lshr_b32 s18, s2, s25
	s_load_b32 s2, s[0:1], 0x40
	s_mul_i32 s3, s18, s26
	s_delay_alu instid0(SALU_CYCLE_1) | instskip(NEXT) | instid1(SALU_CYCLE_1)
	s_sub_i32 s3, s16, s3
	s_mul_hi_u32 s12, s3, s27
	s_delay_alu instid0(SALU_CYCLE_1) | instskip(NEXT) | instid1(SALU_CYCLE_1)
	s_add_i32 s12, s3, s12
	s_lshr_b32 s21, s12, s28
	s_delay_alu instid0(SALU_CYCLE_1) | instskip(NEXT) | instid1(SALU_CYCLE_1)
	s_mul_i32 s12, s21, s29
	s_sub_i32 s3, s3, s12
	s_delay_alu instid0(SALU_CYCLE_1) | instskip(NEXT) | instid1(SALU_CYCLE_1)
	s_mul_hi_u32 s12, s3, s30
	s_add_i32 s12, s3, s12
	s_delay_alu instid0(SALU_CYCLE_1) | instskip(SKIP_3) | instid1(SALU_CYCLE_1)
	s_lshr_b32 s22, s12, s31
	s_mov_b32 s12, 0
	s_waitcnt lgkmcnt(0)
	s_mul_i32 s2, s22, s2
	s_sub_i32 s2, s3, s2
	s_delay_alu instid0(SALU_CYCLE_1) | instskip(NEXT) | instid1(SALU_CYCLE_1)
	s_mul_hi_u32 s3, s2, s8
	s_add_i32 s2, s2, s3
	s_delay_alu instid0(SALU_CYCLE_1) | instskip(NEXT) | instid1(SALU_CYCLE_1)
	s_lshr_b32 s23, s2, s9
	s_lshl_b32 s2, s23, 1
	s_delay_alu instid0(SALU_CYCLE_1) | instskip(NEXT) | instid1(SALU_CYCLE_1)
	s_add_i32 s2, s2, s14
	s_cmp_lt_i32 s2, s4
	s_cselect_b32 s2, -1, 0
	s_add_i32 s3, s22, s15
	s_delay_alu instid0(SALU_CYCLE_1) | instskip(SKIP_1) | instid1(SALU_CYCLE_1)
	s_cmp_lt_i32 s3, s6
	s_cselect_b32 s3, -1, 0
	s_and_b32 s2, s2, s3
	s_delay_alu instid0(SALU_CYCLE_1)
	s_and_not1_b32 vcc_lo, exec_lo, s2
	s_cbranch_vccnz .LBB70_24
; %bb.8:
	s_load_b128 s[0:3], s[0:1], 0x0
	s_lshl_b32 s24, s20, 3
	s_mov_b32 s25, s12
	s_add_i32 s17, s14, s15
	s_lshl_b64 s[24:25], s[24:25], 2
	s_mul_i32 s4, s18, s4
	s_mul_i32 s21, s21, s6
	v_cvt_f32_ubyte0_e32 v4, 0
	v_cvt_f32_u32_e32 v5, s20
	s_waitcnt lgkmcnt(0)
	s_add_u32 s18, s2, s24
	s_addc_u32 s19, s3, s25
	s_add_i32 s4, s4, s14
	s_delay_alu instid0(SALU_CYCLE_1) | instskip(SKIP_4) | instid1(SALU_CYCLE_1)
	s_mul_i32 s4, s4, s5
	s_mul_i32 s5, s5, s23
	s_add_i32 s4, s4, s15
	s_lshl_b32 s5, s5, 7
	s_add_i32 s4, s4, s21
	s_add_i32 s4, s4, s22
	s_delay_alu instid0(SALU_CYCLE_1) | instskip(NEXT) | instid1(SALU_CYCLE_1)
	s_lshl_b32 s4, s4, 6
	s_add_i32 s5, s5, s4
	s_delay_alu instid0(SALU_CYCLE_1) | instskip(SKIP_1) | instid1(VALU_DEP_2)
	v_or_b32_e32 v1, s5, v0
	v_lshl_or_b32 v0, s17, 6, v0
	v_ashrrev_i32_e32 v2, 31, v1
	s_delay_alu instid0(VALU_DEP_1) | instskip(NEXT) | instid1(VALU_DEP_1)
	v_lshlrev_b64 v[1:2], 2, v[1:2]
	v_add_co_u32 v1, vcc_lo, s0, v1
	s_delay_alu instid0(VALU_DEP_2) | instskip(SKIP_1) | instid1(SALU_CYCLE_1)
	v_add_co_ci_u32_e32 v2, vcc_lo, s1, v2, vcc_lo
	s_lshl_b32 s0, s13, 1
	s_add_i32 s0, s0, s17
	global_load_b32 v3, v[1:2], off
	s_ashr_i32 s1, s0, 31
	s_delay_alu instid0(SALU_CYCLE_1) | instskip(NEXT) | instid1(SALU_CYCLE_1)
	s_lshl_b64 s[0:1], s[0:1], 3
	s_add_u32 s0, s2, s0
	s_addc_u32 s1, s3, s1
	s_add_i32 s14, s13, -1
	s_load_b64 s[0:1], s[0:1], 0x0
	v_fmac_f32_e32 v5, 0x4f800000, v4
	s_sub_i32 s6, 0, s20
	s_waitcnt lgkmcnt(0)
	v_mov_b32_e32 v8, s0
	s_delay_alu instid0(VALU_DEP_2) | instskip(SKIP_2) | instid1(VALU_DEP_2)
	v_rcp_f32_e32 v4, v5
	v_cvt_f32_u32_e32 v5, s20
	v_mov_b32_e32 v7, s1
	v_rcp_iflag_f32_e32 v5, v5
	s_waitcnt_depctr 0xfff
	v_mul_f32_e32 v4, 0x5f7ffffc, v4
	s_delay_alu instid0(VALU_DEP_1) | instskip(SKIP_1) | instid1(VALU_DEP_2)
	v_mul_f32_e32 v6, 0x2f800000, v4
	v_mul_f32_e32 v9, 0x4f7ffffe, v5
	v_trunc_f32_e32 v6, v6
	s_delay_alu instid0(VALU_DEP_1) | instskip(SKIP_1) | instid1(VALU_DEP_4)
	v_fmac_f32_e32 v4, 0xcf800000, v6
	v_cvt_u32_f32_e32 v5, v6
	v_cvt_u32_f32_e32 v6, v9
	s_delay_alu instid0(VALU_DEP_3)
	v_cvt_u32_f32_e32 v4, v4
.LBB70_9:                               ; =>This Inner Loop Header: Depth=1
	s_mul_hi_i32 s13, s14, s7
	s_mul_i32 s4, s14, s7
	s_cmp_lg_u64 s[12:13], 0
	s_mov_b32 s5, -1
                                        ; implicit-def: $sgpr0_sgpr1
	s_cbranch_scc0 .LBB70_11
; %bb.10:                               ;   in Loop: Header=BB70_9 Depth=1
	v_readfirstlane_b32 s0, v4
	v_readfirstlane_b32 s1, v5
	s_sub_u32 s5, 0, s20
	s_subb_u32 s15, 0, 0
	s_delay_alu instid0(VALU_DEP_2) | instskip(NEXT) | instid1(VALU_DEP_1)
	s_mul_hi_u32 s21, s5, s0
	s_mul_i32 s22, s5, s1
	s_mul_i32 s23, s15, s0
	s_add_i32 s21, s21, s22
	s_mul_i32 s22, s5, s0
	s_add_i32 s21, s21, s23
	s_mul_hi_u32 s23, s0, s22
	s_mul_i32 s24, s0, s21
	s_mul_hi_u32 s0, s0, s21
	s_add_u32 s23, s23, s24
	s_mul_i32 s25, s1, s22
	s_addc_u32 s0, 0, s0
	s_mul_hi_u32 s22, s1, s22
	s_mul_hi_u32 s24, s1, s21
	s_add_u32 s23, s23, s25
	s_addc_u32 s0, s0, s22
	s_mul_i32 s21, s1, s21
	s_addc_u32 s22, s24, 0
	s_add_u32 s0, s0, s21
	s_addc_u32 s21, 0, s22
	v_add_co_u32 v9, s0, v4, s0
	s_delay_alu instid0(VALU_DEP_1) | instskip(SKIP_1) | instid1(VALU_DEP_1)
	s_cmp_lg_u32 s0, 0
	s_addc_u32 s1, s1, s21
	v_readfirstlane_b32 s0, v9
	s_mul_i32 s21, s5, s1
	s_delay_alu instid0(VALU_DEP_1)
	s_mul_hi_u32 s22, s5, s0
	s_mul_i32 s15, s15, s0
	s_add_i32 s21, s22, s21
	s_mul_i32 s5, s5, s0
	s_add_i32 s21, s21, s15
	s_mul_hi_u32 s15, s1, s5
	s_mul_i32 s23, s1, s5
	s_mul_i32 s24, s0, s21
	s_mul_hi_u32 s5, s0, s5
	s_mul_hi_u32 s0, s0, s21
	s_add_u32 s5, s5, s24
	s_addc_u32 s0, 0, s0
	s_mul_hi_u32 s22, s1, s21
	s_add_u32 s5, s5, s23
	s_addc_u32 s0, s0, s15
	s_mul_i32 s5, s1, s21
	s_addc_u32 s15, s22, 0
	s_add_u32 s0, s0, s5
	s_addc_u32 s5, 0, s15
	v_add_co_u32 v9, s0, v9, s0
	s_delay_alu instid0(VALU_DEP_1) | instskip(SKIP_2) | instid1(SALU_CYCLE_1)
	s_cmp_lg_u32 s0, 0
	s_addc_u32 s5, s1, s5
	s_ashr_i32 s0, s13, 31
	s_add_u32 s22, s4, s0
	s_addc_u32 s23, s13, s0
	v_readfirstlane_b32 s13, v9
	s_mov_b32 s1, s0
	s_delay_alu instid0(SALU_CYCLE_1) | instskip(NEXT) | instid1(SALU_CYCLE_1)
	s_xor_b64 s[22:23], s[22:23], s[0:1]
	s_mul_i32 s15, s22, s5
	s_delay_alu instid0(VALU_DEP_1)
	s_mul_hi_u32 s21, s22, s13
	s_mul_hi_u32 s24, s22, s5
	s_add_u32 s15, s21, s15
	s_mul_i32 s25, s23, s13
	s_addc_u32 s21, 0, s24
	s_mul_hi_u32 s13, s23, s13
	s_mul_hi_u32 s24, s23, s5
	s_add_u32 s15, s15, s25
	s_addc_u32 s13, s21, s13
	s_mul_i32 s5, s23, s5
	s_addc_u32 s15, s24, 0
	s_add_u32 s5, s13, s5
	s_addc_u32 s13, 0, s15
	s_mul_i32 s21, s20, s5
	s_add_u32 s15, s5, 1
	v_sub_co_u32 v9, s21, s22, s21
	s_addc_u32 s22, s13, 0
	s_mul_i32 s25, s20, s13
	s_mul_hi_u32 s27, s20, s5
	s_delay_alu instid0(VALU_DEP_1)
	v_sub_co_u32 v10, s26, v9, s20
	s_add_u32 s24, s5, 2
	s_addc_u32 s28, s13, 0
	s_add_i32 s27, s27, s25
	s_cmp_lg_u32 s21, 0
	v_readfirstlane_b32 s21, v10
	s_subb_u32 s23, s23, s27
	s_cmp_lg_u32 s26, 0
	s_subb_u32 s25, s23, 0
	s_delay_alu instid0(VALU_DEP_1) | instskip(SKIP_4) | instid1(SALU_CYCLE_1)
	s_cmp_ge_u32 s21, s20
	s_cselect_b32 s21, -1, 0
	s_cmp_eq_u32 s25, 0
	v_readfirstlane_b32 s25, v9
	s_cselect_b32 s21, s21, -1
	s_cmp_lg_u32 s21, 0
	s_cselect_b32 s15, s24, s15
	s_cselect_b32 s21, s28, s22
	s_cmp_ge_u32 s25, s20
	s_cselect_b32 s22, -1, 0
	s_cmp_eq_u32 s23, 0
	s_cselect_b32 s22, s22, -1
	s_delay_alu instid0(SALU_CYCLE_1) | instskip(SKIP_4) | instid1(SALU_CYCLE_1)
	s_cmp_lg_u32 s22, 0
	s_cselect_b32 s23, s21, s13
	s_cselect_b32 s22, s15, s5
	s_mov_b32 s5, 0
	s_xor_b64 s[22:23], s[22:23], s[0:1]
	s_sub_u32 s0, s22, s0
.LBB70_11:                              ;   in Loop: Header=BB70_9 Depth=1
	s_and_not1_b32 vcc_lo, exec_lo, s5
	s_cbranch_vccnz .LBB70_13
; %bb.12:                               ;   in Loop: Header=BB70_9 Depth=1
	v_readfirstlane_b32 s0, v6
	s_delay_alu instid0(VALU_DEP_1) | instskip(NEXT) | instid1(SALU_CYCLE_1)
	s_mul_i32 s1, s6, s0
	s_mul_hi_u32 s1, s0, s1
	s_delay_alu instid0(SALU_CYCLE_1) | instskip(NEXT) | instid1(SALU_CYCLE_1)
	s_add_i32 s0, s0, s1
	s_mul_hi_u32 s0, s4, s0
	s_delay_alu instid0(SALU_CYCLE_1) | instskip(NEXT) | instid1(SALU_CYCLE_1)
	s_mul_i32 s1, s0, s20
	s_sub_i32 s1, s4, s1
	s_add_i32 s4, s0, 1
	s_sub_i32 s5, s1, s20
	s_cmp_ge_u32 s1, s20
	s_cselect_b32 s0, s4, s0
	s_cselect_b32 s1, s5, s1
	s_add_i32 s4, s0, 1
	s_cmp_ge_u32 s1, s20
	s_cselect_b32 s0, s4, s0
.LBB70_13:                              ;   in Loop: Header=BB70_9 Depth=1
	s_delay_alu instid0(SALU_CYCLE_1)
	s_cmp_lg_u32 s16, s0
	s_cbranch_scc0 .LBB70_17
; %bb.14:                               ;   in Loop: Header=BB70_9 Depth=1
	s_add_i32 s1, s14, s20
	s_mov_b32 s5, s12
	s_lshl_b32 s1, s1, 1
	s_mov_b32 s15, s16
	s_add_i32 s4, s1, s17
	s_mul_hi_u32 s1, s0, s8
	s_lshl_b64 s[4:5], s[4:5], 3
	s_delay_alu instid0(SALU_CYCLE_1) | instskip(SKIP_2) | instid1(SALU_CYCLE_1)
	s_add_u32 s4, s2, s4
	s_addc_u32 s5, s3, s5
	s_add_i32 s1, s1, s0
	s_lshr_b32 s1, s1, s9
	s_delay_alu instid0(SALU_CYCLE_1) | instskip(NEXT) | instid1(SALU_CYCLE_1)
	s_mul_i32 s13, s1, s10
	s_cmp_eq_u32 s13, s0
	s_cselect_b32 s13, -1, 0
	s_cmp_lt_u32 s1, s11
	s_cselect_b32 s1, -1, 0
	s_delay_alu instid0(SALU_CYCLE_1)
	s_or_b32 s1, s1, s13
	s_mov_b32 s13, -1
	s_and_b32 vcc_lo, exec_lo, s1
	s_mov_b32 s1, s14
	s_cbranch_vccnz .LBB70_16
; %bb.15:                               ;   in Loop: Header=BB70_9 Depth=1
	s_add_i32 s1, s14, -1
	s_mov_b32 s13, 0
	s_mov_b32 s15, s0
.LBB70_16:                              ;   in Loop: Header=BB70_9 Depth=1
	v_lshl_add_u32 v9, s14, 7, v0
	s_load_b64 s[4:5], s[4:5], 0x0
	s_delay_alu instid0(VALU_DEP_1) | instskip(NEXT) | instid1(VALU_DEP_1)
	v_ashrrev_i32_e32 v10, 31, v9
	v_lshlrev_b64 v[9:10], 2, v[9:10]
	s_delay_alu instid0(VALU_DEP_1) | instskip(NEXT) | instid1(VALU_DEP_2)
	v_add_co_u32 v9, vcc_lo, s18, v9
	v_add_co_ci_u32_e32 v10, vcc_lo, s19, v10, vcc_lo
	s_waitcnt lgkmcnt(0)
	v_max_f32_e64 v11, s4, s4
	global_load_b32 v10, v[9:10], off
	v_max_f32_e32 v9, v8, v8
	s_delay_alu instid0(VALU_DEP_1) | instskip(NEXT) | instid1(VALU_DEP_1)
	v_max_f32_e32 v9, v9, v11
	v_sub_f32_e32 v12, v8, v9
	s_delay_alu instid0(VALU_DEP_1) | instskip(NEXT) | instid1(VALU_DEP_1)
	v_dual_mul_f32 v14, 0x3fb8aa3b, v12 :: v_dual_sub_f32 v11, s4, v9
	v_rndne_f32_e32 v18, v14
	s_delay_alu instid0(VALU_DEP_2) | instskip(SKIP_2) | instid1(VALU_DEP_4)
	v_mul_f32_e32 v13, 0x3fb8aa3b, v11
	v_fma_f32 v17, 0x3fb8aa3b, v12, -v14
	v_cmp_ngt_f32_e32 vcc_lo, 0xc2ce8ed0, v11
	v_sub_f32_e32 v14, v14, v18
	s_delay_alu instid0(VALU_DEP_4) | instskip(SKIP_2) | instid1(VALU_DEP_3)
	v_fma_f32 v15, 0x3fb8aa3b, v11, -v13
	v_rndne_f32_e32 v16, v13
	v_fmac_f32_e32 v17, 0x32a5705f, v12
	v_fmac_f32_e32 v15, 0x32a5705f, v11
	s_delay_alu instid0(VALU_DEP_2) | instskip(NEXT) | instid1(VALU_DEP_1)
	v_dual_sub_f32 v13, v13, v16 :: v_dual_add_f32 v14, v14, v17
	v_add_f32_e32 v13, v13, v15
	s_delay_alu instid0(VALU_DEP_2) | instskip(SKIP_2) | instid1(VALU_DEP_3)
	v_exp_f32_e32 v14, v14
	v_cvt_i32_f32_e32 v15, v16
	v_cvt_i32_f32_e32 v16, v18
	v_exp_f32_e32 v13, v13
	s_waitcnt_depctr 0xfff
	v_ldexp_f32 v14, v14, v16
	v_ldexp_f32 v13, v13, v15
	s_delay_alu instid0(VALU_DEP_1) | instskip(SKIP_1) | instid1(VALU_DEP_4)
	v_cndmask_b32_e32 v13, 0, v13, vcc_lo
	v_cmp_ngt_f32_e32 vcc_lo, 0xc2ce8ed0, v12
	v_cndmask_b32_e32 v14, 0, v14, vcc_lo
	v_cmp_nlt_f32_e32 vcc_lo, 0x42b17218, v11
	s_delay_alu instid0(VALU_DEP_4) | instskip(SKIP_1) | instid1(VALU_DEP_4)
	v_cndmask_b32_e32 v13, 0x7f800000, v13, vcc_lo
	v_cmp_nlt_f32_e32 vcc_lo, 0x42b17218, v12
	v_cndmask_b32_e32 v14, 0x7f800000, v14, vcc_lo
	v_cmp_le_f32_e32 vcc_lo, 0xc1a00000, v11
	s_delay_alu instid0(VALU_DEP_4) | instskip(SKIP_1) | instid1(VALU_DEP_4)
	v_cndmask_b32_e32 v11, 0, v13, vcc_lo
	v_cmp_le_f32_e32 vcc_lo, 0xc1a00000, v12
	v_cndmask_b32_e32 v12, 0, v14, vcc_lo
	s_waitcnt vmcnt(0)
	s_delay_alu instid0(VALU_DEP_3) | instskip(NEXT) | instid1(VALU_DEP_1)
	v_mul_f32_e32 v10, v10, v11
	v_dual_mul_f32 v11, s5, v11 :: v_dual_fmac_f32 v10, v3, v12
	s_delay_alu instid0(VALU_DEP_1)
	v_fmac_f32_e32 v11, v7, v12
	s_cbranch_execz .LBB70_18
	s_branch .LBB70_19
.LBB70_17:                              ;   in Loop: Header=BB70_9 Depth=1
                                        ; implicit-def: $sgpr13
                                        ; implicit-def: $vgpr10
                                        ; implicit-def: $vgpr9
                                        ; implicit-def: $vgpr11
                                        ; implicit-def: $sgpr1
                                        ; implicit-def: $sgpr15
.LBB70_18:                              ;   in Loop: Header=BB70_9 Depth=1
	v_mov_b32_e32 v11, v7
	s_waitcnt vmcnt(0)
	v_dual_mov_b32 v9, v8 :: v_dual_mov_b32 v10, v3
	s_add_i32 s1, s14, -1
	s_mov_b32 s13, 0
	s_mov_b32 s15, s16
.LBB70_19:                              ;   in Loop: Header=BB70_9 Depth=1
	s_and_not1_b32 vcc_lo, exec_lo, s13
	s_cbranch_vccz .LBB70_23
; %bb.20:                               ;   in Loop: Header=BB70_9 Depth=1
	v_dual_mov_b32 v7, v11 :: v_dual_mov_b32 v8, v9
	s_waitcnt vmcnt(0)
	v_mov_b32_e32 v3, v10
	s_mov_b32 s16, s15
	s_mov_b32 s14, s1
	s_branch .LBB70_9
.LBB70_21:
                                        ; implicit-def: $sgpr16_sgpr17
	s_load_b128 s[8:11], s[0:1], 0x44
	s_branch .LBB70_2
.LBB70_22:
                                        ; implicit-def: $sgpr18_sgpr19
	s_branch .LBB70_5
.LBB70_23:
	v_div_scale_f32 v0, null, v11, v11, v10
	s_waitcnt vmcnt(0)
	s_delay_alu instid0(VALU_DEP_1) | instskip(SKIP_2) | instid1(VALU_DEP_1)
	v_rcp_f32_e32 v3, v0
	s_waitcnt_depctr 0xfff
	v_fma_f32 v4, -v0, v3, 1.0
	v_fmac_f32_e32 v3, v4, v3
	v_div_scale_f32 v4, vcc_lo, v10, v11, v10
	s_delay_alu instid0(VALU_DEP_1) | instskip(NEXT) | instid1(VALU_DEP_1)
	v_mul_f32_e32 v5, v4, v3
	v_fma_f32 v6, -v0, v5, v4
	s_delay_alu instid0(VALU_DEP_1) | instskip(NEXT) | instid1(VALU_DEP_1)
	v_fmac_f32_e32 v5, v6, v3
	v_fma_f32 v0, -v0, v5, v4
	s_delay_alu instid0(VALU_DEP_1) | instskip(NEXT) | instid1(VALU_DEP_1)
	v_div_fmas_f32 v0, v0, v3, v5
	v_div_fixup_f32 v0, v0, v11, v10
	global_store_b32 v[1:2], v0, off
.LBB70_24:
	s_nop 0
	s_sendmsg sendmsg(MSG_DEALLOC_VGPRS)
	s_endpgm
	.section	.rodata,"a",@progbits
	.p2align	6, 0x0
	.amdhsa_kernel _ZL33flash_attn_stream_k_fixup_generalILi64ELi2ELi1EEvPfPK15HIP_vector_typeIfLj2EEiiiiS1_IjLj3EES5_S5_S5_
		.amdhsa_group_segment_fixed_size 0
		.amdhsa_private_segment_fixed_size 0
		.amdhsa_kernarg_size 336
		.amdhsa_user_sgpr_count 13
		.amdhsa_user_sgpr_dispatch_ptr 0
		.amdhsa_user_sgpr_queue_ptr 0
		.amdhsa_user_sgpr_kernarg_segment_ptr 1
		.amdhsa_user_sgpr_dispatch_id 0
		.amdhsa_user_sgpr_private_segment_size 0
		.amdhsa_wavefront_size32 1
		.amdhsa_uses_dynamic_stack 0
		.amdhsa_enable_private_segment 0
		.amdhsa_system_sgpr_workgroup_id_x 1
		.amdhsa_system_sgpr_workgroup_id_y 1
		.amdhsa_system_sgpr_workgroup_id_z 1
		.amdhsa_system_sgpr_workgroup_info 0
		.amdhsa_system_vgpr_workitem_id 0
		.amdhsa_next_free_vgpr 19
		.amdhsa_next_free_sgpr 32
		.amdhsa_reserve_vcc 1
		.amdhsa_float_round_mode_32 0
		.amdhsa_float_round_mode_16_64 0
		.amdhsa_float_denorm_mode_32 3
		.amdhsa_float_denorm_mode_16_64 3
		.amdhsa_dx10_clamp 1
		.amdhsa_ieee_mode 1
		.amdhsa_fp16_overflow 0
		.amdhsa_workgroup_processor_mode 1
		.amdhsa_memory_ordered 1
		.amdhsa_forward_progress 0
		.amdhsa_shared_vgpr_count 0
		.amdhsa_exception_fp_ieee_invalid_op 0
		.amdhsa_exception_fp_denorm_src 0
		.amdhsa_exception_fp_ieee_div_zero 0
		.amdhsa_exception_fp_ieee_overflow 0
		.amdhsa_exception_fp_ieee_underflow 0
		.amdhsa_exception_fp_ieee_inexact 0
		.amdhsa_exception_int_div_zero 0
	.end_amdhsa_kernel
	.section	.text._ZL33flash_attn_stream_k_fixup_generalILi64ELi2ELi1EEvPfPK15HIP_vector_typeIfLj2EEiiiiS1_IjLj3EES5_S5_S5_,"axG",@progbits,_ZL33flash_attn_stream_k_fixup_generalILi64ELi2ELi1EEvPfPK15HIP_vector_typeIfLj2EEiiiiS1_IjLj3EES5_S5_S5_,comdat
.Lfunc_end70:
	.size	_ZL33flash_attn_stream_k_fixup_generalILi64ELi2ELi1EEvPfPK15HIP_vector_typeIfLj2EEiiiiS1_IjLj3EES5_S5_S5_, .Lfunc_end70-_ZL33flash_attn_stream_k_fixup_generalILi64ELi2ELi1EEvPfPK15HIP_vector_typeIfLj2EEiiiiS1_IjLj3EES5_S5_S5_
                                        ; -- End function
	.section	.AMDGPU.csdata,"",@progbits
; Kernel info:
; codeLenInByte = 3220
; NumSgprs: 34
; NumVgprs: 19
; ScratchSize: 0
; MemoryBound: 0
; FloatMode: 240
; IeeeMode: 1
; LDSByteSize: 0 bytes/workgroup (compile time only)
; SGPRBlocks: 4
; VGPRBlocks: 2
; NumSGPRsForWavesPerEU: 34
; NumVGPRsForWavesPerEU: 19
; Occupancy: 16
; WaveLimiterHint : 0
; COMPUTE_PGM_RSRC2:SCRATCH_EN: 0
; COMPUTE_PGM_RSRC2:USER_SGPR: 13
; COMPUTE_PGM_RSRC2:TRAP_HANDLER: 0
; COMPUTE_PGM_RSRC2:TGID_X_EN: 1
; COMPUTE_PGM_RSRC2:TGID_Y_EN: 1
; COMPUTE_PGM_RSRC2:TGID_Z_EN: 1
; COMPUTE_PGM_RSRC2:TIDIG_COMP_CNT: 0
	.text
	.p2align	2                               ; -- Begin function __ockl_printf_append_string_n
	.type	__ockl_printf_append_string_n,@function
__ockl_printf_append_string_n:          ; @__ockl_printf_append_string_n
; %bb.0:
	s_waitcnt vmcnt(0) expcnt(0) lgkmcnt(0)
	v_dual_mov_b32 v7, v3 :: v_dual_mov_b32 v6, v2
	v_mov_b32_e32 v3, v0
	v_mbcnt_lo_u32_b32 v32, -1, 0
	s_mov_b32 s0, exec_lo
	s_delay_alu instid0(VALU_DEP_3)
	v_cmpx_ne_u64_e32 0, v[6:7]
	s_xor_b32 s10, exec_lo, s0
	s_cbranch_execz .LBB71_86
; %bb.1:
	s_load_b64 s[2:3], s[8:9], 0x50
	v_dual_mov_b32 v10, 2 :: v_dual_and_b32 v33, 2, v3
	v_dual_mov_b32 v9, 0 :: v_dual_and_b32 v0, -3, v3
	v_mov_b32_e32 v11, 1
	s_mov_b32 s12, 0
	s_mov_b32 s11, 0
	s_branch .LBB71_3
.LBB71_2:                               ;   in Loop: Header=BB71_3 Depth=1
	s_or_b32 exec_lo, exec_lo, s1
	v_sub_co_u32 v4, vcc_lo, v4, v28
	v_sub_co_ci_u32_e32 v5, vcc_lo, v5, v29, vcc_lo
	v_add_co_u32 v6, s0, v6, v28
	s_delay_alu instid0(VALU_DEP_1) | instskip(NEXT) | instid1(VALU_DEP_3)
	v_add_co_ci_u32_e64 v7, s0, v7, v29, s0
	v_cmp_eq_u64_e32 vcc_lo, 0, v[4:5]
	s_or_b32 s11, vcc_lo, s11
	s_delay_alu instid0(SALU_CYCLE_1)
	s_and_not1_b32 exec_lo, exec_lo, s11
	s_cbranch_execz .LBB71_85
.LBB71_3:                               ; =>This Loop Header: Depth=1
                                        ;     Child Loop BB71_6 Depth 2
                                        ;     Child Loop BB71_14 Depth 2
	;; [unrolled: 1-line block ×11, first 2 shown]
	v_cmp_gt_u64_e32 vcc_lo, 56, v[4:5]
	s_mov_b32 s1, exec_lo
                                        ; implicit-def: $vgpr2_vgpr3
                                        ; implicit-def: $sgpr4
	v_dual_cndmask_b32 v29, 0, v5 :: v_dual_cndmask_b32 v28, 56, v4
	v_cmpx_gt_u64_e32 8, v[4:5]
	s_xor_b32 s1, exec_lo, s1
	s_cbranch_execz .LBB71_9
; %bb.4:                                ;   in Loop: Header=BB71_3 Depth=1
	s_waitcnt vmcnt(0)
	v_mov_b32_e32 v2, 0
	v_mov_b32_e32 v3, 0
	s_mov_b64 s[4:5], 0
	s_mov_b32 s6, exec_lo
	v_cmpx_ne_u64_e32 0, v[4:5]
	s_cbranch_execz .LBB71_8
; %bb.5:                                ;   in Loop: Header=BB71_3 Depth=1
	v_lshlrev_b64 v[12:13], 3, v[28:29]
	v_mov_b32_e32 v2, 0
	v_dual_mov_b32 v3, 0 :: v_dual_mov_b32 v14, v7
	v_mov_b32_e32 v13, v6
	s_mov_b32 s7, 0
	.p2align	6
.LBB71_6:                               ;   Parent Loop BB71_3 Depth=1
                                        ; =>  This Inner Loop Header: Depth=2
	flat_load_u8 v8, v[13:14]
	v_mov_b32_e32 v16, s12
	v_add_co_u32 v13, vcc_lo, v13, 1
	v_add_co_ci_u32_e32 v14, vcc_lo, 0, v14, vcc_lo
	s_waitcnt vmcnt(0) lgkmcnt(0)
	v_and_b32_e32 v15, 0xffff, v8
	s_delay_alu instid0(VALU_DEP_1) | instskip(SKIP_3) | instid1(VALU_DEP_2)
	v_lshlrev_b64 v[15:16], s4, v[15:16]
	s_add_u32 s4, s4, 8
	s_addc_u32 s5, s5, 0
	v_cmp_eq_u32_e64 s0, s4, v12
	v_or_b32_e32 v3, v16, v3
	s_delay_alu instid0(VALU_DEP_3) | instskip(NEXT) | instid1(VALU_DEP_3)
	v_or_b32_e32 v2, v15, v2
	s_or_b32 s7, s0, s7
	s_delay_alu instid0(SALU_CYCLE_1)
	s_and_not1_b32 exec_lo, exec_lo, s7
	s_cbranch_execnz .LBB71_6
; %bb.7:                                ;   in Loop: Header=BB71_3 Depth=1
	s_or_b32 exec_lo, exec_lo, s7
.LBB71_8:                               ;   in Loop: Header=BB71_3 Depth=1
	s_delay_alu instid0(SALU_CYCLE_1)
	s_or_b32 exec_lo, exec_lo, s6
	s_mov_b32 s4, 0
.LBB71_9:                               ;   in Loop: Header=BB71_3 Depth=1
	s_or_saveexec_b32 s0, s1
	v_dual_mov_b32 v8, s4 :: v_dual_mov_b32 v25, v7
	v_mov_b32_e32 v24, v6
	s_xor_b32 exec_lo, exec_lo, s0
	s_cbranch_execz .LBB71_11
; %bb.10:                               ;   in Loop: Header=BB71_3 Depth=1
	s_waitcnt vmcnt(0)
	flat_load_b64 v[2:3], v[6:7]
	v_add_co_u32 v24, vcc_lo, v6, 8
	v_add_co_ci_u32_e32 v25, vcc_lo, 0, v7, vcc_lo
	s_waitcnt vmcnt(0) lgkmcnt(0)
	v_and_b32_e32 v8, 0xff, v3
	v_and_b32_e32 v12, 0xff00, v3
	;; [unrolled: 1-line block ×4, first 2 shown]
	v_or3_b32 v2, v2, 0, 0
	s_delay_alu instid0(VALU_DEP_4) | instskip(SKIP_1) | instid1(VALU_DEP_2)
	v_or_b32_e32 v12, v8, v12
	v_add_nc_u32_e32 v8, -8, v28
	v_or3_b32 v3, v12, v13, v3
.LBB71_11:                              ;   in Loop: Header=BB71_3 Depth=1
	s_or_b32 exec_lo, exec_lo, s0
                                        ; implicit-def: $vgpr12_vgpr13
                                        ; implicit-def: $sgpr1
	s_delay_alu instid0(SALU_CYCLE_1) | instskip(NEXT) | instid1(VALU_DEP_2)
	s_mov_b32 s0, exec_lo
	v_cmpx_gt_u32_e32 8, v8
	s_xor_b32 s6, exec_lo, s0
	s_cbranch_execz .LBB71_17
; %bb.12:                               ;   in Loop: Header=BB71_3 Depth=1
	v_mov_b32_e32 v12, 0
	v_mov_b32_e32 v13, 0
	s_mov_b32 s7, exec_lo
	v_cmpx_ne_u32_e32 0, v8
	s_cbranch_execz .LBB71_16
; %bb.13:                               ;   in Loop: Header=BB71_3 Depth=1
	v_mov_b32_e32 v12, 0
	v_mov_b32_e32 v13, 0
	s_mov_b64 s[0:1], 0
	s_mov_b32 s13, 0
	s_mov_b64 s[4:5], 0
	.p2align	6
.LBB71_14:                              ;   Parent Loop BB71_3 Depth=1
                                        ; =>  This Inner Loop Header: Depth=2
	s_delay_alu instid0(SALU_CYCLE_1)
	v_add_co_u32 v14, vcc_lo, v24, s4
	v_add_co_ci_u32_e32 v15, vcc_lo, s5, v25, vcc_lo
	s_add_u32 s4, s4, 1
	s_addc_u32 s5, s5, 0
	v_cmp_eq_u32_e32 vcc_lo, s4, v8
	flat_load_u8 v14, v[14:15]
	s_waitcnt vmcnt(0) lgkmcnt(0)
	v_dual_mov_b32 v15, s12 :: v_dual_and_b32 v14, 0xffff, v14
	s_delay_alu instid0(VALU_DEP_1) | instskip(SKIP_3) | instid1(VALU_DEP_1)
	v_lshlrev_b64 v[14:15], s0, v[14:15]
	s_add_u32 s0, s0, 8
	s_addc_u32 s1, s1, 0
	s_or_b32 s13, vcc_lo, s13
	v_or_b32_e32 v13, v15, v13
	s_delay_alu instid0(VALU_DEP_2)
	v_or_b32_e32 v12, v14, v12
	s_and_not1_b32 exec_lo, exec_lo, s13
	s_cbranch_execnz .LBB71_14
; %bb.15:                               ;   in Loop: Header=BB71_3 Depth=1
	s_or_b32 exec_lo, exec_lo, s13
.LBB71_16:                              ;   in Loop: Header=BB71_3 Depth=1
	s_delay_alu instid0(SALU_CYCLE_1)
	s_or_b32 exec_lo, exec_lo, s7
	s_mov_b32 s1, 0
                                        ; implicit-def: $vgpr8
.LBB71_17:                              ;   in Loop: Header=BB71_3 Depth=1
	s_or_saveexec_b32 s0, s6
	v_mov_b32_e32 v16, s1
	s_xor_b32 exec_lo, exec_lo, s0
	s_cbranch_execz .LBB71_19
; %bb.18:                               ;   in Loop: Header=BB71_3 Depth=1
	flat_load_b64 v[12:13], v[24:25]
	v_add_co_u32 v24, vcc_lo, v24, 8
	v_add_nc_u32_e32 v16, -8, v8
	v_add_co_ci_u32_e32 v25, vcc_lo, 0, v25, vcc_lo
	s_waitcnt vmcnt(0) lgkmcnt(0)
	v_and_b32_e32 v14, 0xff, v13
	v_and_b32_e32 v15, 0xff00, v13
	;; [unrolled: 1-line block ×4, first 2 shown]
	v_or3_b32 v12, v12, 0, 0
	s_delay_alu instid0(VALU_DEP_4) | instskip(NEXT) | instid1(VALU_DEP_1)
	v_or_b32_e32 v14, v14, v15
	v_or3_b32 v13, v14, v17, v13
.LBB71_19:                              ;   in Loop: Header=BB71_3 Depth=1
	s_or_b32 exec_lo, exec_lo, s0
                                        ; implicit-def: $sgpr1
	s_delay_alu instid0(SALU_CYCLE_1)
	s_mov_b32 s0, exec_lo
	v_cmpx_gt_u32_e32 8, v16
	s_xor_b32 s6, exec_lo, s0
	s_cbranch_execz .LBB71_25
; %bb.20:                               ;   in Loop: Header=BB71_3 Depth=1
	v_mov_b32_e32 v14, 0
	v_mov_b32_e32 v15, 0
	s_mov_b32 s7, exec_lo
	v_cmpx_ne_u32_e32 0, v16
	s_cbranch_execz .LBB71_24
; %bb.21:                               ;   in Loop: Header=BB71_3 Depth=1
	v_mov_b32_e32 v14, 0
	v_mov_b32_e32 v15, 0
	s_mov_b64 s[0:1], 0
	s_mov_b32 s13, 0
	s_mov_b64 s[4:5], 0
	.p2align	6
.LBB71_22:                              ;   Parent Loop BB71_3 Depth=1
                                        ; =>  This Inner Loop Header: Depth=2
	s_delay_alu instid0(SALU_CYCLE_1)
	v_add_co_u32 v17, vcc_lo, v24, s4
	v_add_co_ci_u32_e32 v18, vcc_lo, s5, v25, vcc_lo
	s_add_u32 s4, s4, 1
	s_addc_u32 s5, s5, 0
	v_cmp_eq_u32_e32 vcc_lo, s4, v16
	flat_load_u8 v8, v[17:18]
	s_waitcnt vmcnt(0) lgkmcnt(0)
	v_dual_mov_b32 v18, s12 :: v_dual_and_b32 v17, 0xffff, v8
	s_delay_alu instid0(VALU_DEP_1) | instskip(SKIP_3) | instid1(VALU_DEP_1)
	v_lshlrev_b64 v[17:18], s0, v[17:18]
	s_add_u32 s0, s0, 8
	s_addc_u32 s1, s1, 0
	s_or_b32 s13, vcc_lo, s13
	v_or_b32_e32 v15, v18, v15
	s_delay_alu instid0(VALU_DEP_2)
	v_or_b32_e32 v14, v17, v14
	s_and_not1_b32 exec_lo, exec_lo, s13
	s_cbranch_execnz .LBB71_22
; %bb.23:                               ;   in Loop: Header=BB71_3 Depth=1
	s_or_b32 exec_lo, exec_lo, s13
.LBB71_24:                              ;   in Loop: Header=BB71_3 Depth=1
	s_delay_alu instid0(SALU_CYCLE_1)
	s_or_b32 exec_lo, exec_lo, s7
	s_mov_b32 s1, 0
                                        ; implicit-def: $vgpr16
.LBB71_25:                              ;   in Loop: Header=BB71_3 Depth=1
	s_or_saveexec_b32 s0, s6
	v_mov_b32_e32 v8, s1
	s_xor_b32 exec_lo, exec_lo, s0
	s_cbranch_execz .LBB71_27
; %bb.26:                               ;   in Loop: Header=BB71_3 Depth=1
	flat_load_b64 v[14:15], v[24:25]
	v_add_co_u32 v24, vcc_lo, v24, 8
	v_add_co_ci_u32_e32 v25, vcc_lo, 0, v25, vcc_lo
	s_waitcnt vmcnt(0) lgkmcnt(0)
	v_and_b32_e32 v8, 0xff, v15
	v_and_b32_e32 v17, 0xff00, v15
	;; [unrolled: 1-line block ×4, first 2 shown]
	v_or3_b32 v14, v14, 0, 0
	s_delay_alu instid0(VALU_DEP_4) | instskip(SKIP_1) | instid1(VALU_DEP_2)
	v_or_b32_e32 v17, v8, v17
	v_add_nc_u32_e32 v8, -8, v16
	v_or3_b32 v15, v17, v18, v15
.LBB71_27:                              ;   in Loop: Header=BB71_3 Depth=1
	s_or_b32 exec_lo, exec_lo, s0
                                        ; implicit-def: $vgpr16_vgpr17
                                        ; implicit-def: $sgpr1
	s_delay_alu instid0(SALU_CYCLE_1) | instskip(NEXT) | instid1(VALU_DEP_1)
	s_mov_b32 s0, exec_lo
	v_cmpx_gt_u32_e32 8, v8
	s_xor_b32 s6, exec_lo, s0
	s_cbranch_execz .LBB71_33
; %bb.28:                               ;   in Loop: Header=BB71_3 Depth=1
	v_mov_b32_e32 v16, 0
	v_mov_b32_e32 v17, 0
	s_mov_b32 s7, exec_lo
	v_cmpx_ne_u32_e32 0, v8
	s_cbranch_execz .LBB71_32
; %bb.29:                               ;   in Loop: Header=BB71_3 Depth=1
	v_mov_b32_e32 v16, 0
	v_mov_b32_e32 v17, 0
	s_mov_b64 s[0:1], 0
	s_mov_b32 s13, 0
	s_mov_b64 s[4:5], 0
	.p2align	6
.LBB71_30:                              ;   Parent Loop BB71_3 Depth=1
                                        ; =>  This Inner Loop Header: Depth=2
	s_delay_alu instid0(SALU_CYCLE_1)
	v_add_co_u32 v18, vcc_lo, v24, s4
	v_add_co_ci_u32_e32 v19, vcc_lo, s5, v25, vcc_lo
	s_add_u32 s4, s4, 1
	s_addc_u32 s5, s5, 0
	v_cmp_eq_u32_e32 vcc_lo, s4, v8
	flat_load_u8 v18, v[18:19]
	s_waitcnt vmcnt(0) lgkmcnt(0)
	v_dual_mov_b32 v19, s12 :: v_dual_and_b32 v18, 0xffff, v18
	s_delay_alu instid0(VALU_DEP_1) | instskip(SKIP_3) | instid1(VALU_DEP_1)
	v_lshlrev_b64 v[18:19], s0, v[18:19]
	s_add_u32 s0, s0, 8
	s_addc_u32 s1, s1, 0
	s_or_b32 s13, vcc_lo, s13
	v_or_b32_e32 v17, v19, v17
	s_delay_alu instid0(VALU_DEP_2)
	v_or_b32_e32 v16, v18, v16
	s_and_not1_b32 exec_lo, exec_lo, s13
	s_cbranch_execnz .LBB71_30
; %bb.31:                               ;   in Loop: Header=BB71_3 Depth=1
	s_or_b32 exec_lo, exec_lo, s13
.LBB71_32:                              ;   in Loop: Header=BB71_3 Depth=1
	s_delay_alu instid0(SALU_CYCLE_1)
	s_or_b32 exec_lo, exec_lo, s7
	s_mov_b32 s1, 0
                                        ; implicit-def: $vgpr8
.LBB71_33:                              ;   in Loop: Header=BB71_3 Depth=1
	s_or_saveexec_b32 s0, s6
	v_mov_b32_e32 v20, s1
	s_xor_b32 exec_lo, exec_lo, s0
	s_cbranch_execz .LBB71_35
; %bb.34:                               ;   in Loop: Header=BB71_3 Depth=1
	flat_load_b64 v[16:17], v[24:25]
	v_add_co_u32 v24, vcc_lo, v24, 8
	v_add_nc_u32_e32 v20, -8, v8
	v_add_co_ci_u32_e32 v25, vcc_lo, 0, v25, vcc_lo
	s_waitcnt vmcnt(0) lgkmcnt(0)
	v_and_b32_e32 v18, 0xff, v17
	v_and_b32_e32 v19, 0xff00, v17
	;; [unrolled: 1-line block ×4, first 2 shown]
	v_or3_b32 v16, v16, 0, 0
	s_delay_alu instid0(VALU_DEP_4) | instskip(NEXT) | instid1(VALU_DEP_1)
	v_or_b32_e32 v18, v18, v19
	v_or3_b32 v17, v18, v21, v17
.LBB71_35:                              ;   in Loop: Header=BB71_3 Depth=1
	s_or_b32 exec_lo, exec_lo, s0
                                        ; implicit-def: $sgpr1
	s_delay_alu instid0(SALU_CYCLE_1)
	s_mov_b32 s0, exec_lo
	v_cmpx_gt_u32_e32 8, v20
	s_xor_b32 s6, exec_lo, s0
	s_cbranch_execz .LBB71_41
; %bb.36:                               ;   in Loop: Header=BB71_3 Depth=1
	v_mov_b32_e32 v18, 0
	v_mov_b32_e32 v19, 0
	s_mov_b32 s7, exec_lo
	v_cmpx_ne_u32_e32 0, v20
	s_cbranch_execz .LBB71_40
; %bb.37:                               ;   in Loop: Header=BB71_3 Depth=1
	v_mov_b32_e32 v18, 0
	v_mov_b32_e32 v19, 0
	s_mov_b64 s[0:1], 0
	s_mov_b32 s13, 0
	s_mov_b64 s[4:5], 0
	.p2align	6
.LBB71_38:                              ;   Parent Loop BB71_3 Depth=1
                                        ; =>  This Inner Loop Header: Depth=2
	s_delay_alu instid0(SALU_CYCLE_1)
	v_add_co_u32 v21, vcc_lo, v24, s4
	v_add_co_ci_u32_e32 v22, vcc_lo, s5, v25, vcc_lo
	s_add_u32 s4, s4, 1
	s_addc_u32 s5, s5, 0
	v_cmp_eq_u32_e32 vcc_lo, s4, v20
	flat_load_u8 v8, v[21:22]
	s_waitcnt vmcnt(0) lgkmcnt(0)
	v_dual_mov_b32 v22, s12 :: v_dual_and_b32 v21, 0xffff, v8
	s_delay_alu instid0(VALU_DEP_1) | instskip(SKIP_3) | instid1(VALU_DEP_1)
	v_lshlrev_b64 v[21:22], s0, v[21:22]
	s_add_u32 s0, s0, 8
	s_addc_u32 s1, s1, 0
	s_or_b32 s13, vcc_lo, s13
	v_or_b32_e32 v19, v22, v19
	s_delay_alu instid0(VALU_DEP_2)
	v_or_b32_e32 v18, v21, v18
	s_and_not1_b32 exec_lo, exec_lo, s13
	s_cbranch_execnz .LBB71_38
; %bb.39:                               ;   in Loop: Header=BB71_3 Depth=1
	s_or_b32 exec_lo, exec_lo, s13
.LBB71_40:                              ;   in Loop: Header=BB71_3 Depth=1
	s_delay_alu instid0(SALU_CYCLE_1)
	s_or_b32 exec_lo, exec_lo, s7
	s_mov_b32 s1, 0
                                        ; implicit-def: $vgpr20
.LBB71_41:                              ;   in Loop: Header=BB71_3 Depth=1
	s_or_saveexec_b32 s0, s6
	v_mov_b32_e32 v8, s1
	s_xor_b32 exec_lo, exec_lo, s0
	s_cbranch_execz .LBB71_43
; %bb.42:                               ;   in Loop: Header=BB71_3 Depth=1
	flat_load_b64 v[18:19], v[24:25]
	v_add_co_u32 v24, vcc_lo, v24, 8
	v_add_co_ci_u32_e32 v25, vcc_lo, 0, v25, vcc_lo
	s_waitcnt vmcnt(0) lgkmcnt(0)
	v_and_b32_e32 v8, 0xff, v19
	v_and_b32_e32 v21, 0xff00, v19
	;; [unrolled: 1-line block ×4, first 2 shown]
	v_or3_b32 v18, v18, 0, 0
	s_delay_alu instid0(VALU_DEP_4) | instskip(SKIP_1) | instid1(VALU_DEP_2)
	v_or_b32_e32 v21, v8, v21
	v_add_nc_u32_e32 v8, -8, v20
	v_or3_b32 v19, v21, v22, v19
.LBB71_43:                              ;   in Loop: Header=BB71_3 Depth=1
	s_or_b32 exec_lo, exec_lo, s0
                                        ; implicit-def: $vgpr20_vgpr21
                                        ; implicit-def: $sgpr1
	s_delay_alu instid0(SALU_CYCLE_1) | instskip(NEXT) | instid1(VALU_DEP_1)
	s_mov_b32 s0, exec_lo
	v_cmpx_gt_u32_e32 8, v8
	s_xor_b32 s6, exec_lo, s0
	s_cbranch_execz .LBB71_49
; %bb.44:                               ;   in Loop: Header=BB71_3 Depth=1
	v_mov_b32_e32 v20, 0
	v_mov_b32_e32 v21, 0
	s_mov_b32 s7, exec_lo
	v_cmpx_ne_u32_e32 0, v8
	s_cbranch_execz .LBB71_48
; %bb.45:                               ;   in Loop: Header=BB71_3 Depth=1
	v_mov_b32_e32 v20, 0
	v_mov_b32_e32 v21, 0
	s_mov_b64 s[0:1], 0
	s_mov_b32 s13, 0
	s_mov_b64 s[4:5], 0
	.p2align	6
.LBB71_46:                              ;   Parent Loop BB71_3 Depth=1
                                        ; =>  This Inner Loop Header: Depth=2
	s_delay_alu instid0(SALU_CYCLE_1)
	v_add_co_u32 v22, vcc_lo, v24, s4
	v_add_co_ci_u32_e32 v23, vcc_lo, s5, v25, vcc_lo
	s_add_u32 s4, s4, 1
	s_addc_u32 s5, s5, 0
	v_cmp_eq_u32_e32 vcc_lo, s4, v8
	flat_load_u8 v22, v[22:23]
	s_waitcnt vmcnt(0) lgkmcnt(0)
	v_dual_mov_b32 v23, s12 :: v_dual_and_b32 v22, 0xffff, v22
	s_delay_alu instid0(VALU_DEP_1) | instskip(SKIP_3) | instid1(VALU_DEP_1)
	v_lshlrev_b64 v[22:23], s0, v[22:23]
	s_add_u32 s0, s0, 8
	s_addc_u32 s1, s1, 0
	s_or_b32 s13, vcc_lo, s13
	v_or_b32_e32 v21, v23, v21
	s_delay_alu instid0(VALU_DEP_2)
	v_or_b32_e32 v20, v22, v20
	s_and_not1_b32 exec_lo, exec_lo, s13
	s_cbranch_execnz .LBB71_46
; %bb.47:                               ;   in Loop: Header=BB71_3 Depth=1
	s_or_b32 exec_lo, exec_lo, s13
.LBB71_48:                              ;   in Loop: Header=BB71_3 Depth=1
	s_delay_alu instid0(SALU_CYCLE_1)
	s_or_b32 exec_lo, exec_lo, s7
	s_mov_b32 s1, 0
                                        ; implicit-def: $vgpr8
.LBB71_49:                              ;   in Loop: Header=BB71_3 Depth=1
	s_or_saveexec_b32 s0, s6
	v_mov_b32_e32 v26, s1
	s_xor_b32 exec_lo, exec_lo, s0
	s_cbranch_execz .LBB71_51
; %bb.50:                               ;   in Loop: Header=BB71_3 Depth=1
	flat_load_b64 v[20:21], v[24:25]
	v_add_co_u32 v24, vcc_lo, v24, 8
	v_add_nc_u32_e32 v26, -8, v8
	v_add_co_ci_u32_e32 v25, vcc_lo, 0, v25, vcc_lo
	s_waitcnt vmcnt(0) lgkmcnt(0)
	v_and_b32_e32 v22, 0xff, v21
	v_and_b32_e32 v23, 0xff00, v21
	v_and_b32_e32 v27, 0xff0000, v21
	v_and_b32_e32 v21, 0xff000000, v21
	v_or3_b32 v20, v20, 0, 0
	s_delay_alu instid0(VALU_DEP_4) | instskip(NEXT) | instid1(VALU_DEP_1)
	v_or_b32_e32 v22, v22, v23
	v_or3_b32 v21, v22, v27, v21
.LBB71_51:                              ;   in Loop: Header=BB71_3 Depth=1
	s_or_b32 exec_lo, exec_lo, s0
	s_delay_alu instid0(SALU_CYCLE_1)
	s_mov_b32 s0, exec_lo
	v_cmpx_gt_u32_e32 8, v26
	s_xor_b32 s4, exec_lo, s0
	s_cbranch_execz .LBB71_57
; %bb.52:                               ;   in Loop: Header=BB71_3 Depth=1
	v_mov_b32_e32 v22, 0
	v_mov_b32_e32 v23, 0
	s_mov_b32 s5, exec_lo
	v_cmpx_ne_u32_e32 0, v26
	s_cbranch_execz .LBB71_56
; %bb.53:                               ;   in Loop: Header=BB71_3 Depth=1
	v_mov_b32_e32 v22, 0
	v_mov_b32_e32 v23, 0
	s_mov_b64 s[0:1], 0
	s_mov_b32 s6, 0
	.p2align	6
.LBB71_54:                              ;   Parent Loop BB71_3 Depth=1
                                        ; =>  This Inner Loop Header: Depth=2
	flat_load_u8 v8, v[24:25]
	v_dual_mov_b32 v31, s12 :: v_dual_add_nc_u32 v26, -1, v26
	v_add_co_u32 v24, vcc_lo, v24, 1
	v_add_co_ci_u32_e32 v25, vcc_lo, 0, v25, vcc_lo
	s_delay_alu instid0(VALU_DEP_3) | instskip(SKIP_2) | instid1(VALU_DEP_1)
	v_cmp_eq_u32_e32 vcc_lo, 0, v26
	s_waitcnt vmcnt(0) lgkmcnt(0)
	v_and_b32_e32 v30, 0xffff, v8
	v_lshlrev_b64 v[30:31], s0, v[30:31]
	s_add_u32 s0, s0, 8
	s_addc_u32 s1, s1, 0
	s_or_b32 s6, vcc_lo, s6
	s_delay_alu instid0(VALU_DEP_1) | instskip(NEXT) | instid1(VALU_DEP_2)
	v_or_b32_e32 v23, v31, v23
	v_or_b32_e32 v22, v30, v22
	s_and_not1_b32 exec_lo, exec_lo, s6
	s_cbranch_execnz .LBB71_54
; %bb.55:                               ;   in Loop: Header=BB71_3 Depth=1
	s_or_b32 exec_lo, exec_lo, s6
.LBB71_56:                              ;   in Loop: Header=BB71_3 Depth=1
	s_delay_alu instid0(SALU_CYCLE_1)
	s_or_b32 exec_lo, exec_lo, s5
                                        ; implicit-def: $vgpr24_vgpr25
.LBB71_57:                              ;   in Loop: Header=BB71_3 Depth=1
	s_and_not1_saveexec_b32 s0, s4
	s_cbranch_execz .LBB71_59
; %bb.58:                               ;   in Loop: Header=BB71_3 Depth=1
	flat_load_b64 v[22:23], v[24:25]
	s_waitcnt vmcnt(0) lgkmcnt(0)
	v_and_b32_e32 v8, 0xff, v23
	v_and_b32_e32 v24, 0xff00, v23
	;; [unrolled: 1-line block ×4, first 2 shown]
	v_or3_b32 v22, v22, 0, 0
	s_delay_alu instid0(VALU_DEP_4) | instskip(NEXT) | instid1(VALU_DEP_1)
	v_or_b32_e32 v8, v8, v24
	v_or3_b32 v23, v8, v25, v23
.LBB71_59:                              ;   in Loop: Header=BB71_3 Depth=1
	s_or_b32 exec_lo, exec_lo, s0
	v_readfirstlane_b32 s0, v32
	v_mov_b32_e32 v30, 0
	v_mov_b32_e32 v31, 0
	s_delay_alu instid0(VALU_DEP_3) | instskip(NEXT) | instid1(VALU_DEP_1)
	v_cmp_eq_u32_e64 s0, s0, v32
	s_and_saveexec_b32 s1, s0
	s_cbranch_execz .LBB71_65
; %bb.60:                               ;   in Loop: Header=BB71_3 Depth=1
	s_waitcnt lgkmcnt(0)
	global_load_b64 v[26:27], v9, s[2:3] offset:24 glc
	s_waitcnt vmcnt(0)
	buffer_gl1_inv
	buffer_gl0_inv
	s_clause 0x1
	global_load_b64 v[24:25], v9, s[2:3] offset:40
	global_load_b64 v[30:31], v9, s[2:3]
	s_mov_b32 s4, exec_lo
	s_waitcnt vmcnt(1)
	v_and_b32_e32 v8, v25, v27
	v_and_b32_e32 v24, v24, v26
	s_delay_alu instid0(VALU_DEP_2) | instskip(NEXT) | instid1(VALU_DEP_2)
	v_mul_lo_u32 v8, v8, 24
	v_mul_hi_u32 v25, v24, 24
	v_mul_lo_u32 v24, v24, 24
	s_delay_alu instid0(VALU_DEP_2) | instskip(SKIP_1) | instid1(VALU_DEP_2)
	v_add_nc_u32_e32 v8, v25, v8
	s_waitcnt vmcnt(0)
	v_add_co_u32 v24, vcc_lo, v30, v24
	s_delay_alu instid0(VALU_DEP_2)
	v_add_co_ci_u32_e32 v25, vcc_lo, v31, v8, vcc_lo
	global_load_b64 v[24:25], v[24:25], off glc
	s_waitcnt vmcnt(0)
	global_atomic_cmpswap_b64 v[30:31], v9, v[24:27], s[2:3] offset:24 glc
	s_waitcnt vmcnt(0)
	buffer_gl1_inv
	buffer_gl0_inv
	v_cmpx_ne_u64_e64 v[30:31], v[26:27]
	s_cbranch_execz .LBB71_64
; %bb.61:                               ;   in Loop: Header=BB71_3 Depth=1
	s_mov_b32 s5, 0
	.p2align	6
.LBB71_62:                              ;   Parent Loop BB71_3 Depth=1
                                        ; =>  This Inner Loop Header: Depth=2
	s_sleep 1
	s_clause 0x1
	global_load_b64 v[24:25], v9, s[2:3] offset:40
	global_load_b64 v[34:35], v9, s[2:3]
	v_dual_mov_b32 v26, v30 :: v_dual_mov_b32 v27, v31
	s_waitcnt vmcnt(1)
	s_delay_alu instid0(VALU_DEP_1) | instskip(SKIP_1) | instid1(VALU_DEP_1)
	v_and_b32_e32 v8, v24, v26
	s_waitcnt vmcnt(0)
	v_mad_u64_u32 v[30:31], null, v8, 24, v[34:35]
	v_and_b32_e32 v34, v25, v27
	s_delay_alu instid0(VALU_DEP_2) | instskip(NEXT) | instid1(VALU_DEP_1)
	v_mov_b32_e32 v8, v31
	v_mad_u64_u32 v[24:25], null, v34, 24, v[8:9]
	s_delay_alu instid0(VALU_DEP_1)
	v_mov_b32_e32 v31, v24
	global_load_b64 v[24:25], v[30:31], off glc
	s_waitcnt vmcnt(0)
	global_atomic_cmpswap_b64 v[30:31], v9, v[24:27], s[2:3] offset:24 glc
	s_waitcnt vmcnt(0)
	buffer_gl1_inv
	buffer_gl0_inv
	v_cmp_eq_u64_e32 vcc_lo, v[30:31], v[26:27]
	s_or_b32 s5, vcc_lo, s5
	s_delay_alu instid0(SALU_CYCLE_1)
	s_and_not1_b32 exec_lo, exec_lo, s5
	s_cbranch_execnz .LBB71_62
; %bb.63:                               ;   in Loop: Header=BB71_3 Depth=1
	s_or_b32 exec_lo, exec_lo, s5
.LBB71_64:                              ;   in Loop: Header=BB71_3 Depth=1
	s_delay_alu instid0(SALU_CYCLE_1)
	s_or_b32 exec_lo, exec_lo, s4
.LBB71_65:                              ;   in Loop: Header=BB71_3 Depth=1
	s_delay_alu instid0(SALU_CYCLE_1)
	s_or_b32 exec_lo, exec_lo, s1
	s_waitcnt lgkmcnt(0)
	s_clause 0x1
	global_load_b64 v[34:35], v9, s[2:3] offset:40
	global_load_b128 v[24:27], v9, s[2:3]
	v_readfirstlane_b32 s4, v30
	v_readfirstlane_b32 s5, v31
	s_mov_b32 s1, exec_lo
	s_waitcnt vmcnt(1)
	v_readfirstlane_b32 s6, v34
	v_readfirstlane_b32 s7, v35
	s_delay_alu instid0(VALU_DEP_1) | instskip(NEXT) | instid1(SALU_CYCLE_1)
	s_and_b64 s[6:7], s[4:5], s[6:7]
	s_mul_i32 s13, s7, 24
	s_mul_hi_u32 s14, s6, 24
	s_mul_i32 s15, s6, 24
	s_add_i32 s14, s14, s13
	s_waitcnt vmcnt(0)
	v_add_co_u32 v30, vcc_lo, v24, s15
	v_add_co_ci_u32_e32 v31, vcc_lo, s14, v25, vcc_lo
	s_and_saveexec_b32 s13, s0
	s_cbranch_execz .LBB71_67
; %bb.66:                               ;   in Loop: Header=BB71_3 Depth=1
	v_mov_b32_e32 v8, s1
	global_store_b128 v[30:31], v[8:11], off offset:8
.LBB71_67:                              ;   in Loop: Header=BB71_3 Depth=1
	s_or_b32 exec_lo, exec_lo, s13
	v_cmp_lt_u64_e32 vcc_lo, 56, v[4:5]
	v_or_b32_e32 v8, 0, v1
	v_or_b32_e32 v34, v0, v33
	v_lshl_add_u32 v35, v28, 2, 28
	s_lshl_b64 s[6:7], s[6:7], 12
	s_delay_alu instid0(SALU_CYCLE_1) | instskip(NEXT) | instid1(VALU_DEP_1)
	v_add_co_u32 v26, s1, v26, s6
	v_add_co_ci_u32_e64 v27, s1, s7, v27, s1
	v_dual_cndmask_b32 v1, v8, v1 :: v_dual_cndmask_b32 v0, v34, v0
	v_and_b32_e32 v8, 0x1e0, v35
	v_lshlrev_b32_e32 v34, 6, v32
	v_readfirstlane_b32 s6, v26
	v_readfirstlane_b32 s7, v27
	s_delay_alu instid0(VALU_DEP_4)
	v_and_or_b32 v0, 0xffffff1f, v0, v8
	s_clause 0x3
	global_store_b128 v34, v[0:3], s[6:7]
	global_store_b128 v34, v[12:15], s[6:7] offset:16
	global_store_b128 v34, v[16:19], s[6:7] offset:32
	;; [unrolled: 1-line block ×3, first 2 shown]
	s_and_saveexec_b32 s1, s0
	s_cbranch_execz .LBB71_75
; %bb.68:                               ;   in Loop: Header=BB71_3 Depth=1
	s_clause 0x1
	global_load_b64 v[16:17], v9, s[2:3] offset:32 glc
	global_load_b64 v[0:1], v9, s[2:3] offset:40
	v_dual_mov_b32 v14, s4 :: v_dual_mov_b32 v15, s5
	s_waitcnt vmcnt(0)
	v_readfirstlane_b32 s6, v0
	v_readfirstlane_b32 s7, v1
	s_delay_alu instid0(VALU_DEP_1) | instskip(NEXT) | instid1(SALU_CYCLE_1)
	s_and_b64 s[6:7], s[6:7], s[4:5]
	s_mul_i32 s7, s7, 24
	s_mul_hi_u32 s13, s6, 24
	s_mul_i32 s6, s6, 24
	s_add_i32 s13, s13, s7
	v_add_co_u32 v12, vcc_lo, v24, s6
	v_add_co_ci_u32_e32 v13, vcc_lo, s13, v25, vcc_lo
	s_mov_b32 s6, exec_lo
	global_store_b64 v[12:13], v[16:17], off
	s_waitcnt_vscnt null, 0x0
	global_atomic_cmpswap_b64 v[2:3], v9, v[14:17], s[2:3] offset:32 glc
	s_waitcnt vmcnt(0)
	v_cmpx_ne_u64_e64 v[2:3], v[16:17]
	s_cbranch_execz .LBB71_71
; %bb.69:                               ;   in Loop: Header=BB71_3 Depth=1
	s_mov_b32 s7, 0
.LBB71_70:                              ;   Parent Loop BB71_3 Depth=1
                                        ; =>  This Inner Loop Header: Depth=2
	v_dual_mov_b32 v0, s4 :: v_dual_mov_b32 v1, s5
	s_sleep 1
	global_store_b64 v[12:13], v[2:3], off
	s_waitcnt_vscnt null, 0x0
	global_atomic_cmpswap_b64 v[0:1], v9, v[0:3], s[2:3] offset:32 glc
	s_waitcnt vmcnt(0)
	v_cmp_eq_u64_e32 vcc_lo, v[0:1], v[2:3]
	v_dual_mov_b32 v3, v1 :: v_dual_mov_b32 v2, v0
	s_or_b32 s7, vcc_lo, s7
	s_delay_alu instid0(SALU_CYCLE_1)
	s_and_not1_b32 exec_lo, exec_lo, s7
	s_cbranch_execnz .LBB71_70
.LBB71_71:                              ;   in Loop: Header=BB71_3 Depth=1
	s_or_b32 exec_lo, exec_lo, s6
	global_load_b64 v[0:1], v9, s[2:3] offset:16
	s_mov_b32 s7, exec_lo
	s_mov_b32 s6, exec_lo
	v_mbcnt_lo_u32_b32 v2, s7, 0
	s_delay_alu instid0(VALU_DEP_1)
	v_cmpx_eq_u32_e32 0, v2
	s_cbranch_execz .LBB71_73
; %bb.72:                               ;   in Loop: Header=BB71_3 Depth=1
	s_bcnt1_i32_b32 s7, s7
	s_delay_alu instid0(SALU_CYCLE_1)
	v_mov_b32_e32 v8, s7
	s_waitcnt vmcnt(0)
	global_atomic_add_u64 v[0:1], v[8:9], off offset:8
.LBB71_73:                              ;   in Loop: Header=BB71_3 Depth=1
	s_or_b32 exec_lo, exec_lo, s6
	s_waitcnt vmcnt(0)
	global_load_b64 v[2:3], v[0:1], off offset:16
	s_waitcnt vmcnt(0)
	v_cmp_eq_u64_e32 vcc_lo, 0, v[2:3]
	s_cbranch_vccnz .LBB71_75
; %bb.74:                               ;   in Loop: Header=BB71_3 Depth=1
	global_load_b32 v8, v[0:1], off offset:24
	s_waitcnt vmcnt(0)
	v_and_b32_e32 v0, 0xffffff, v8
	s_waitcnt_vscnt null, 0x0
	global_store_b64 v[2:3], v[8:9], off
	v_readfirstlane_b32 m0, v0
	s_sendmsg sendmsg(MSG_INTERRUPT)
.LBB71_75:                              ;   in Loop: Header=BB71_3 Depth=1
	s_or_b32 exec_lo, exec_lo, s1
	v_add_co_u32 v0, vcc_lo, v26, v34
	v_add_co_ci_u32_e32 v1, vcc_lo, 0, v27, vcc_lo
	s_branch .LBB71_79
	.p2align	6
.LBB71_76:                              ;   in Loop: Header=BB71_79 Depth=2
	s_or_b32 exec_lo, exec_lo, s1
	s_delay_alu instid0(VALU_DEP_1) | instskip(NEXT) | instid1(VALU_DEP_1)
	v_readfirstlane_b32 s1, v2
	s_cmp_eq_u32 s1, 0
	s_cbranch_scc1 .LBB71_78
; %bb.77:                               ;   in Loop: Header=BB71_79 Depth=2
	s_sleep 1
	s_cbranch_execnz .LBB71_79
	s_branch .LBB71_81
	.p2align	6
.LBB71_78:                              ;   in Loop: Header=BB71_3 Depth=1
	s_branch .LBB71_81
.LBB71_79:                              ;   Parent Loop BB71_3 Depth=1
                                        ; =>  This Inner Loop Header: Depth=2
	v_mov_b32_e32 v2, 1
	s_and_saveexec_b32 s1, s0
	s_cbranch_execz .LBB71_76
; %bb.80:                               ;   in Loop: Header=BB71_79 Depth=2
	global_load_b32 v2, v[30:31], off offset:20 glc
	s_waitcnt vmcnt(0)
	buffer_gl1_inv
	buffer_gl0_inv
	v_and_b32_e32 v2, 1, v2
	s_branch .LBB71_76
.LBB71_81:                              ;   in Loop: Header=BB71_3 Depth=1
	global_load_b128 v[0:3], v[0:1], off
	s_and_saveexec_b32 s1, s0
	s_cbranch_execz .LBB71_2
; %bb.82:                               ;   in Loop: Header=BB71_3 Depth=1
	s_clause 0x2
	global_load_b64 v[2:3], v9, s[2:3] offset:40
	global_load_b64 v[16:17], v9, s[2:3] offset:24 glc
	global_load_b64 v[14:15], v9, s[2:3]
	s_waitcnt vmcnt(2)
	v_add_co_u32 v8, vcc_lo, v2, 1
	v_add_co_ci_u32_e32 v18, vcc_lo, 0, v3, vcc_lo
	s_delay_alu instid0(VALU_DEP_2) | instskip(NEXT) | instid1(VALU_DEP_2)
	v_add_co_u32 v12, vcc_lo, v8, s4
	v_add_co_ci_u32_e32 v13, vcc_lo, s5, v18, vcc_lo
	s_delay_alu instid0(VALU_DEP_1) | instskip(SKIP_1) | instid1(VALU_DEP_1)
	v_cmp_eq_u64_e32 vcc_lo, 0, v[12:13]
	v_dual_cndmask_b32 v13, v13, v18 :: v_dual_cndmask_b32 v12, v12, v8
	v_and_b32_e32 v3, v13, v3
	s_delay_alu instid0(VALU_DEP_2) | instskip(NEXT) | instid1(VALU_DEP_1)
	v_and_b32_e32 v2, v12, v2
	v_mul_hi_u32 v8, v2, 24
	v_mul_lo_u32 v2, v2, 24
	s_waitcnt vmcnt(0)
	s_delay_alu instid0(VALU_DEP_1) | instskip(SKIP_2) | instid1(VALU_DEP_1)
	v_add_co_u32 v2, vcc_lo, v14, v2
	v_mov_b32_e32 v14, v16
	v_mul_lo_u32 v3, v3, 24
	v_add_nc_u32_e32 v3, v8, v3
	s_delay_alu instid0(VALU_DEP_1)
	v_add_co_ci_u32_e32 v3, vcc_lo, v15, v3, vcc_lo
	v_mov_b32_e32 v15, v17
	global_store_b64 v[2:3], v[16:17], off
	s_waitcnt_vscnt null, 0x0
	global_atomic_cmpswap_b64 v[14:15], v9, v[12:15], s[2:3] offset:24 glc
	s_waitcnt vmcnt(0)
	v_cmp_ne_u64_e32 vcc_lo, v[14:15], v[16:17]
	s_and_b32 exec_lo, exec_lo, vcc_lo
	s_cbranch_execz .LBB71_2
; %bb.83:                               ;   in Loop: Header=BB71_3 Depth=1
	s_mov_b32 s0, 0
.LBB71_84:                              ;   Parent Loop BB71_3 Depth=1
                                        ; =>  This Inner Loop Header: Depth=2
	s_sleep 1
	global_store_b64 v[2:3], v[14:15], off
	s_waitcnt_vscnt null, 0x0
	global_atomic_cmpswap_b64 v[16:17], v9, v[12:15], s[2:3] offset:24 glc
	s_waitcnt vmcnt(0)
	v_cmp_eq_u64_e32 vcc_lo, v[16:17], v[14:15]
	v_dual_mov_b32 v14, v16 :: v_dual_mov_b32 v15, v17
	s_or_b32 s0, vcc_lo, s0
	s_delay_alu instid0(SALU_CYCLE_1)
	s_and_not1_b32 exec_lo, exec_lo, s0
	s_cbranch_execnz .LBB71_84
	s_branch .LBB71_2
.LBB71_85:
	s_or_b32 exec_lo, exec_lo, s11
                                        ; implicit-def: $vgpr3
                                        ; implicit-def: $vgpr32
.LBB71_86:
	s_and_not1_saveexec_b32 s1, s10
	s_cbranch_execz .LBB71_108
; %bb.87:
	s_load_b64 s[2:3], s[8:9], 0x50
	v_readfirstlane_b32 s0, v32
	v_mov_b32_e32 v8, 0
	v_mov_b32_e32 v9, 0
	s_delay_alu instid0(VALU_DEP_3) | instskip(NEXT) | instid1(VALU_DEP_1)
	v_cmp_eq_u32_e64 s0, s0, v32
	s_and_saveexec_b32 s4, s0
	s_cbranch_execz .LBB71_93
; %bb.88:
	s_waitcnt vmcnt(0)
	v_mov_b32_e32 v0, 0
	s_mov_b32 s5, exec_lo
	s_waitcnt lgkmcnt(0)
	global_load_b64 v[6:7], v0, s[2:3] offset:24 glc
	s_waitcnt vmcnt(0)
	buffer_gl1_inv
	buffer_gl0_inv
	s_clause 0x1
	global_load_b64 v[4:5], v0, s[2:3] offset:40
	global_load_b64 v[8:9], v0, s[2:3]
	s_waitcnt vmcnt(1)
	v_and_b32_e32 v2, v5, v7
	v_and_b32_e32 v4, v4, v6
	s_delay_alu instid0(VALU_DEP_2) | instskip(NEXT) | instid1(VALU_DEP_2)
	v_mul_lo_u32 v2, v2, 24
	v_mul_hi_u32 v5, v4, 24
	v_mul_lo_u32 v4, v4, 24
	s_delay_alu instid0(VALU_DEP_2) | instskip(SKIP_1) | instid1(VALU_DEP_2)
	v_add_nc_u32_e32 v2, v5, v2
	s_waitcnt vmcnt(0)
	v_add_co_u32 v4, vcc_lo, v8, v4
	s_delay_alu instid0(VALU_DEP_2)
	v_add_co_ci_u32_e32 v5, vcc_lo, v9, v2, vcc_lo
	global_load_b64 v[4:5], v[4:5], off glc
	s_waitcnt vmcnt(0)
	global_atomic_cmpswap_b64 v[8:9], v0, v[4:7], s[2:3] offset:24 glc
	s_waitcnt vmcnt(0)
	buffer_gl1_inv
	buffer_gl0_inv
	v_cmpx_ne_u64_e64 v[8:9], v[6:7]
	s_cbranch_execz .LBB71_92
; %bb.89:
	s_mov_b32 s6, 0
	.p2align	6
.LBB71_90:                              ; =>This Inner Loop Header: Depth=1
	s_sleep 1
	s_clause 0x1
	global_load_b64 v[4:5], v0, s[2:3] offset:40
	global_load_b64 v[10:11], v0, s[2:3]
	v_dual_mov_b32 v6, v8 :: v_dual_mov_b32 v7, v9
	s_waitcnt vmcnt(1)
	s_delay_alu instid0(VALU_DEP_1) | instskip(SKIP_1) | instid1(VALU_DEP_1)
	v_and_b32_e32 v2, v4, v6
	s_waitcnt vmcnt(0)
	v_mad_u64_u32 v[8:9], null, v2, 24, v[10:11]
	v_and_b32_e32 v10, v5, v7
	s_delay_alu instid0(VALU_DEP_2) | instskip(NEXT) | instid1(VALU_DEP_1)
	v_mov_b32_e32 v2, v9
	v_mad_u64_u32 v[4:5], null, v10, 24, v[2:3]
	s_delay_alu instid0(VALU_DEP_1)
	v_mov_b32_e32 v9, v4
	global_load_b64 v[4:5], v[8:9], off glc
	s_waitcnt vmcnt(0)
	global_atomic_cmpswap_b64 v[8:9], v0, v[4:7], s[2:3] offset:24 glc
	s_waitcnt vmcnt(0)
	buffer_gl1_inv
	buffer_gl0_inv
	v_cmp_eq_u64_e32 vcc_lo, v[8:9], v[6:7]
	s_or_b32 s6, vcc_lo, s6
	s_delay_alu instid0(SALU_CYCLE_1)
	s_and_not1_b32 exec_lo, exec_lo, s6
	s_cbranch_execnz .LBB71_90
; %bb.91:
	s_or_b32 exec_lo, exec_lo, s6
.LBB71_92:
	s_delay_alu instid0(SALU_CYCLE_1)
	s_or_b32 exec_lo, exec_lo, s5
.LBB71_93:
	s_delay_alu instid0(SALU_CYCLE_1)
	s_or_b32 exec_lo, exec_lo, s4
	s_waitcnt vmcnt(0)
	v_mov_b32_e32 v2, 0
	v_readfirstlane_b32 s4, v8
	v_readfirstlane_b32 s5, v9
	s_mov_b32 s8, exec_lo
	s_waitcnt lgkmcnt(0)
	s_clause 0x1
	global_load_b64 v[10:11], v2, s[2:3] offset:40
	global_load_b128 v[4:7], v2, s[2:3]
	s_waitcnt vmcnt(1)
	v_readfirstlane_b32 s6, v10
	v_readfirstlane_b32 s7, v11
	s_delay_alu instid0(VALU_DEP_1) | instskip(NEXT) | instid1(SALU_CYCLE_1)
	s_and_b64 s[6:7], s[4:5], s[6:7]
	s_mul_i32 s9, s7, 24
	s_mul_hi_u32 s10, s6, 24
	s_mul_i32 s11, s6, 24
	s_add_i32 s10, s10, s9
	s_waitcnt vmcnt(0)
	v_add_co_u32 v8, vcc_lo, v4, s11
	v_add_co_ci_u32_e32 v9, vcc_lo, s10, v5, vcc_lo
	s_and_saveexec_b32 s9, s0
	s_cbranch_execz .LBB71_95
; %bb.94:
	v_dual_mov_b32 v10, s8 :: v_dual_mov_b32 v11, v2
	v_dual_mov_b32 v12, 2 :: v_dual_mov_b32 v13, 1
	global_store_b128 v[8:9], v[10:13], off offset:8
.LBB71_95:
	s_or_b32 exec_lo, exec_lo, s9
	s_lshl_b64 s[6:7], s[6:7], 12
	v_lshlrev_b32_e32 v14, 6, v32
	v_add_co_u32 v6, vcc_lo, v6, s6
	v_add_co_ci_u32_e32 v7, vcc_lo, s7, v7, vcc_lo
	s_mov_b32 s8, 0
	v_and_or_b32 v0, 0xffffff1f, v3, 32
	v_mov_b32_e32 v3, v2
	v_readfirstlane_b32 s6, v6
	s_mov_b32 s11, s8
	v_add_co_u32 v6, vcc_lo, v6, v14
	s_mov_b32 s9, s8
	s_mov_b32 s10, s8
	v_readfirstlane_b32 s7, v7
	v_dual_mov_b32 v13, s11 :: v_dual_mov_b32 v12, s10
	v_add_co_ci_u32_e32 v7, vcc_lo, 0, v7, vcc_lo
	v_dual_mov_b32 v11, s9 :: v_dual_mov_b32 v10, s8
	s_clause 0x3
	global_store_b128 v14, v[0:3], s[6:7]
	global_store_b128 v14, v[10:13], s[6:7] offset:16
	global_store_b128 v14, v[10:13], s[6:7] offset:32
	;; [unrolled: 1-line block ×3, first 2 shown]
	s_and_saveexec_b32 s6, s0
	s_cbranch_execz .LBB71_102
; %bb.96:
	v_mov_b32_e32 v10, 0
	s_mov_b32 s7, exec_lo
	s_clause 0x1
	global_load_b64 v[13:14], v10, s[2:3] offset:32 glc
	global_load_b64 v[0:1], v10, s[2:3] offset:40
	v_dual_mov_b32 v11, s4 :: v_dual_mov_b32 v12, s5
	s_waitcnt vmcnt(0)
	v_and_b32_e32 v1, s5, v1
	v_and_b32_e32 v0, s4, v0
	s_delay_alu instid0(VALU_DEP_2) | instskip(NEXT) | instid1(VALU_DEP_2)
	v_mul_lo_u32 v1, v1, 24
	v_mul_hi_u32 v2, v0, 24
	v_mul_lo_u32 v0, v0, 24
	s_delay_alu instid0(VALU_DEP_2) | instskip(NEXT) | instid1(VALU_DEP_2)
	v_add_nc_u32_e32 v1, v2, v1
	v_add_co_u32 v4, vcc_lo, v4, v0
	s_delay_alu instid0(VALU_DEP_2)
	v_add_co_ci_u32_e32 v5, vcc_lo, v5, v1, vcc_lo
	global_store_b64 v[4:5], v[13:14], off
	s_waitcnt_vscnt null, 0x0
	global_atomic_cmpswap_b64 v[2:3], v10, v[11:14], s[2:3] offset:32 glc
	s_waitcnt vmcnt(0)
	v_cmpx_ne_u64_e64 v[2:3], v[13:14]
	s_cbranch_execz .LBB71_98
.LBB71_97:                              ; =>This Inner Loop Header: Depth=1
	v_dual_mov_b32 v0, s4 :: v_dual_mov_b32 v1, s5
	s_sleep 1
	global_store_b64 v[4:5], v[2:3], off
	s_waitcnt_vscnt null, 0x0
	global_atomic_cmpswap_b64 v[0:1], v10, v[0:3], s[2:3] offset:32 glc
	s_waitcnt vmcnt(0)
	v_cmp_eq_u64_e32 vcc_lo, v[0:1], v[2:3]
	v_dual_mov_b32 v3, v1 :: v_dual_mov_b32 v2, v0
	s_or_b32 s8, vcc_lo, s8
	s_delay_alu instid0(SALU_CYCLE_1)
	s_and_not1_b32 exec_lo, exec_lo, s8
	s_cbranch_execnz .LBB71_97
.LBB71_98:
	s_or_b32 exec_lo, exec_lo, s7
	v_mov_b32_e32 v3, 0
	s_mov_b32 s8, exec_lo
	s_mov_b32 s7, exec_lo
	v_mbcnt_lo_u32_b32 v2, s8, 0
	global_load_b64 v[0:1], v3, s[2:3] offset:16
	v_cmpx_eq_u32_e32 0, v2
	s_cbranch_execz .LBB71_100
; %bb.99:
	s_bcnt1_i32_b32 s8, s8
	s_delay_alu instid0(SALU_CYCLE_1)
	v_mov_b32_e32 v2, s8
	s_waitcnt vmcnt(0)
	global_atomic_add_u64 v[0:1], v[2:3], off offset:8
.LBB71_100:
	s_or_b32 exec_lo, exec_lo, s7
	s_waitcnt vmcnt(0)
	global_load_b64 v[2:3], v[0:1], off offset:16
	s_waitcnt vmcnt(0)
	v_cmp_eq_u64_e32 vcc_lo, 0, v[2:3]
	s_cbranch_vccnz .LBB71_102
; %bb.101:
	global_load_b32 v0, v[0:1], off offset:24
	s_waitcnt vmcnt(0)
	v_dual_mov_b32 v1, 0 :: v_dual_and_b32 v4, 0xffffff, v0
	s_waitcnt_vscnt null, 0x0
	global_store_b64 v[2:3], v[0:1], off
	v_readfirstlane_b32 m0, v4
	s_sendmsg sendmsg(MSG_INTERRUPT)
.LBB71_102:
	s_or_b32 exec_lo, exec_lo, s6
	s_branch .LBB71_106
	.p2align	6
.LBB71_103:                             ;   in Loop: Header=BB71_106 Depth=1
	s_or_b32 exec_lo, exec_lo, s6
	s_delay_alu instid0(VALU_DEP_1) | instskip(NEXT) | instid1(VALU_DEP_1)
	v_readfirstlane_b32 s6, v0
	s_cmp_eq_u32 s6, 0
	s_cbranch_scc1 .LBB71_105
; %bb.104:                              ;   in Loop: Header=BB71_106 Depth=1
	s_sleep 1
	s_cbranch_execnz .LBB71_106
	s_branch .LBB71_109
	.p2align	6
.LBB71_105:
	s_branch .LBB71_109
.LBB71_106:                             ; =>This Inner Loop Header: Depth=1
	v_mov_b32_e32 v0, 1
	s_and_saveexec_b32 s6, s0
	s_cbranch_execz .LBB71_103
; %bb.107:                              ;   in Loop: Header=BB71_106 Depth=1
	global_load_b32 v0, v[8:9], off offset:20 glc
	s_waitcnt vmcnt(0)
	buffer_gl1_inv
	buffer_gl0_inv
	v_and_b32_e32 v0, 1, v0
	s_branch .LBB71_103
.LBB71_108:
	s_or_b32 exec_lo, exec_lo, s1
	s_waitcnt vmcnt(0) lgkmcnt(0)
	s_setpc_b64 s[30:31]
.LBB71_109:
	global_load_b64 v[0:1], v[6:7], off
	s_and_saveexec_b32 s6, s0
	s_cbranch_execz .LBB71_113
; %bb.110:
	v_mov_b32_e32 v8, 0
	s_clause 0x2
	global_load_b64 v[4:5], v8, s[2:3] offset:40
	global_load_b64 v[9:10], v8, s[2:3] offset:24 glc
	global_load_b64 v[6:7], v8, s[2:3]
	s_waitcnt vmcnt(2)
	v_add_co_u32 v11, vcc_lo, v4, 1
	v_add_co_ci_u32_e32 v12, vcc_lo, 0, v5, vcc_lo
	s_delay_alu instid0(VALU_DEP_2) | instskip(NEXT) | instid1(VALU_DEP_2)
	v_add_co_u32 v2, vcc_lo, v11, s4
	v_add_co_ci_u32_e32 v3, vcc_lo, s5, v12, vcc_lo
	s_delay_alu instid0(VALU_DEP_1) | instskip(SKIP_1) | instid1(VALU_DEP_1)
	v_cmp_eq_u64_e32 vcc_lo, 0, v[2:3]
	v_dual_cndmask_b32 v3, v3, v12 :: v_dual_cndmask_b32 v2, v2, v11
	v_and_b32_e32 v5, v3, v5
	s_delay_alu instid0(VALU_DEP_2) | instskip(NEXT) | instid1(VALU_DEP_2)
	v_and_b32_e32 v4, v2, v4
	v_mul_lo_u32 v5, v5, 24
	s_delay_alu instid0(VALU_DEP_2) | instskip(SKIP_1) | instid1(VALU_DEP_2)
	v_mul_hi_u32 v11, v4, 24
	v_mul_lo_u32 v4, v4, 24
	v_add_nc_u32_e32 v5, v11, v5
	s_waitcnt vmcnt(0)
	s_delay_alu instid0(VALU_DEP_2) | instskip(SKIP_1) | instid1(VALU_DEP_3)
	v_add_co_u32 v6, vcc_lo, v6, v4
	v_mov_b32_e32 v4, v9
	v_add_co_ci_u32_e32 v7, vcc_lo, v7, v5, vcc_lo
	v_mov_b32_e32 v5, v10
	global_store_b64 v[6:7], v[9:10], off
	s_waitcnt_vscnt null, 0x0
	global_atomic_cmpswap_b64 v[4:5], v8, v[2:5], s[2:3] offset:24 glc
	s_waitcnt vmcnt(0)
	v_cmp_ne_u64_e32 vcc_lo, v[4:5], v[9:10]
	s_and_b32 exec_lo, exec_lo, vcc_lo
	s_cbranch_execz .LBB71_113
; %bb.111:
	s_mov_b32 s0, 0
.LBB71_112:                             ; =>This Inner Loop Header: Depth=1
	s_sleep 1
	global_store_b64 v[6:7], v[4:5], off
	s_waitcnt_vscnt null, 0x0
	global_atomic_cmpswap_b64 v[9:10], v8, v[2:5], s[2:3] offset:24 glc
	s_waitcnt vmcnt(0)
	v_cmp_eq_u64_e32 vcc_lo, v[9:10], v[4:5]
	v_dual_mov_b32 v4, v9 :: v_dual_mov_b32 v5, v10
	s_or_b32 s0, vcc_lo, s0
	s_delay_alu instid0(SALU_CYCLE_1)
	s_and_not1_b32 exec_lo, exec_lo, s0
	s_cbranch_execnz .LBB71_112
.LBB71_113:
	s_or_b32 exec_lo, exec_lo, s6
	s_delay_alu instid0(SALU_CYCLE_1)
	s_or_b32 exec_lo, exec_lo, s1
	s_waitcnt vmcnt(0) lgkmcnt(0)
	s_setpc_b64 s[30:31]
.Lfunc_end71:
	.size	__ockl_printf_append_string_n, .Lfunc_end71-__ockl_printf_append_string_n
                                        ; -- End function
	.section	.AMDGPU.csdata,"",@progbits
; Function info:
; codeLenInByte = 4760
; NumSgprs: 34
; NumVgprs: 36
; ScratchSize: 0
; MemoryBound: 0
	.text
	.p2align	2                               ; -- Begin function __ockl_printf_append_args
	.type	__ockl_printf_append_args,@function
__ockl_printf_append_args:              ; @__ockl_printf_append_args
; %bb.0:
	s_waitcnt vmcnt(0) expcnt(0) lgkmcnt(0)
	s_load_b64 s[2:3], s[8:9], 0x50
	v_mbcnt_lo_u32_b32 v15, -1, 0
	v_mov_b32_e32 v11, 0
	v_mov_b32_e32 v12, 0
	s_delay_alu instid0(VALU_DEP_3) | instskip(NEXT) | instid1(VALU_DEP_1)
	v_readfirstlane_b32 s0, v15
	v_cmp_eq_u32_e64 s0, s0, v15
	s_delay_alu instid0(VALU_DEP_1)
	s_and_saveexec_b32 s1, s0
	s_cbranch_execz .LBB72_6
; %bb.1:
	v_mov_b32_e32 v5, 0
	s_mov_b32 s4, exec_lo
	s_waitcnt lgkmcnt(0)
	global_load_b64 v[8:9], v5, s[2:3] offset:24 glc
	s_waitcnt vmcnt(0)
	buffer_gl1_inv
	buffer_gl0_inv
	s_clause 0x1
	global_load_b64 v[6:7], v5, s[2:3] offset:40
	global_load_b64 v[10:11], v5, s[2:3]
	s_waitcnt vmcnt(1)
	v_and_b32_e32 v6, v6, v8
	v_and_b32_e32 v7, v7, v9
	s_delay_alu instid0(VALU_DEP_2) | instskip(NEXT) | instid1(VALU_DEP_2)
	v_mul_hi_u32 v12, v6, 24
	v_mul_lo_u32 v7, v7, 24
	v_mul_lo_u32 v6, v6, 24
	s_delay_alu instid0(VALU_DEP_2) | instskip(SKIP_1) | instid1(VALU_DEP_2)
	v_add_nc_u32_e32 v7, v12, v7
	s_waitcnt vmcnt(0)
	v_add_co_u32 v6, vcc_lo, v10, v6
	s_delay_alu instid0(VALU_DEP_2)
	v_add_co_ci_u32_e32 v7, vcc_lo, v11, v7, vcc_lo
	global_load_b64 v[6:7], v[6:7], off glc
	s_waitcnt vmcnt(0)
	global_atomic_cmpswap_b64 v[11:12], v5, v[6:9], s[2:3] offset:24 glc
	s_waitcnt vmcnt(0)
	buffer_gl1_inv
	buffer_gl0_inv
	v_cmpx_ne_u64_e64 v[11:12], v[8:9]
	s_cbranch_execz .LBB72_5
; %bb.2:
	s_mov_b32 s5, 0
	.p2align	6
.LBB72_3:                               ; =>This Inner Loop Header: Depth=1
	s_sleep 1
	s_clause 0x1
	global_load_b64 v[6:7], v5, s[2:3] offset:40
	global_load_b64 v[13:14], v5, s[2:3]
	v_dual_mov_b32 v8, v11 :: v_dual_mov_b32 v9, v12
	s_waitcnt vmcnt(1)
	s_delay_alu instid0(VALU_DEP_1) | instskip(NEXT) | instid1(VALU_DEP_2)
	v_and_b32_e32 v6, v6, v8
	v_and_b32_e32 v7, v7, v9
	s_waitcnt vmcnt(0)
	s_delay_alu instid0(VALU_DEP_2) | instskip(NEXT) | instid1(VALU_DEP_1)
	v_mad_u64_u32 v[10:11], null, v6, 24, v[13:14]
	v_mov_b32_e32 v6, v11
	s_delay_alu instid0(VALU_DEP_1)
	v_mad_u64_u32 v[11:12], null, v7, 24, v[6:7]
	global_load_b64 v[6:7], v[10:11], off glc
	s_waitcnt vmcnt(0)
	global_atomic_cmpswap_b64 v[11:12], v5, v[6:9], s[2:3] offset:24 glc
	s_waitcnt vmcnt(0)
	buffer_gl1_inv
	buffer_gl0_inv
	v_cmp_eq_u64_e32 vcc_lo, v[11:12], v[8:9]
	s_or_b32 s5, vcc_lo, s5
	s_delay_alu instid0(SALU_CYCLE_1)
	s_and_not1_b32 exec_lo, exec_lo, s5
	s_cbranch_execnz .LBB72_3
; %bb.4:
	s_or_b32 exec_lo, exec_lo, s5
.LBB72_5:
	s_delay_alu instid0(SALU_CYCLE_1)
	s_or_b32 exec_lo, exec_lo, s4
.LBB72_6:
	s_delay_alu instid0(SALU_CYCLE_1)
	s_or_b32 exec_lo, exec_lo, s1
	v_mov_b32_e32 v10, 0
	v_readfirstlane_b32 s4, v11
	v_readfirstlane_b32 s5, v12
	s_mov_b32 s1, exec_lo
	s_waitcnt lgkmcnt(0)
	s_clause 0x1
	global_load_b64 v[13:14], v10, s[2:3] offset:40
	global_load_b128 v[5:8], v10, s[2:3]
	s_waitcnt vmcnt(1)
	v_readfirstlane_b32 s6, v13
	v_readfirstlane_b32 s7, v14
	s_delay_alu instid0(VALU_DEP_1) | instskip(NEXT) | instid1(SALU_CYCLE_1)
	s_and_b64 s[6:7], s[4:5], s[6:7]
	s_mul_i32 s8, s7, 24
	s_mul_hi_u32 s9, s6, 24
	s_mul_i32 s10, s6, 24
	s_add_i32 s9, s9, s8
	s_waitcnt vmcnt(0)
	v_add_co_u32 v13, vcc_lo, v5, s10
	v_add_co_ci_u32_e32 v14, vcc_lo, s9, v6, vcc_lo
	s_and_saveexec_b32 s8, s0
	s_cbranch_execz .LBB72_8
; %bb.7:
	v_dual_mov_b32 v9, s1 :: v_dual_mov_b32 v12, 1
	v_mov_b32_e32 v11, 2
	global_store_b128 v[13:14], v[9:12], off offset:8
.LBB72_8:
	s_or_b32 exec_lo, exec_lo, s8
	v_or_b32_e32 v9, 2, v0
	v_cmp_eq_u32_e32 vcc_lo, 0, v4
	s_lshl_b64 s[6:7], s[6:7], 12
	s_mov_b32 s8, 0
	v_lshlrev_b32_e32 v11, 6, v15
	s_mov_b32 s9, s8
	v_cndmask_b32_e32 v0, v9, v0, vcc_lo
	v_add_co_u32 v4, vcc_lo, v7, s6
	v_add_co_ci_u32_e32 v7, vcc_lo, s7, v8, vcc_lo
	s_mov_b32 s10, s8
	s_mov_b32 s11, s8
	v_and_or_b32 v0, 0xffffff1f, v0, 32
	v_readfirstlane_b32 s6, v4
	v_readfirstlane_b32 s7, v7
	v_dual_mov_b32 v7, s8 :: v_dual_mov_b32 v8, s9
	v_dual_mov_b32 v9, s10 :: v_dual_mov_b32 v10, s11
	s_clause 0x3
	global_store_b128 v11, v[0:3], s[6:7]
	global_store_b128 v11, v[7:10], s[6:7] offset:16
	global_store_b128 v11, v[7:10], s[6:7] offset:32
	;; [unrolled: 1-line block ×3, first 2 shown]
	s_and_saveexec_b32 s1, s0
	s_cbranch_execz .LBB72_16
; %bb.9:
	v_mov_b32_e32 v7, 0
	v_mov_b32_e32 v9, s5
	s_mov_b32 s6, exec_lo
	s_clause 0x1
	global_load_b64 v[10:11], v7, s[2:3] offset:32 glc
	global_load_b64 v[0:1], v7, s[2:3] offset:40
	v_mov_b32_e32 v8, s4
	s_waitcnt vmcnt(0)
	v_and_b32_e32 v0, s4, v0
	v_and_b32_e32 v1, s5, v1
	s_delay_alu instid0(VALU_DEP_2) | instskip(NEXT) | instid1(VALU_DEP_2)
	v_mul_hi_u32 v2, v0, 24
	v_mul_lo_u32 v1, v1, 24
	v_mul_lo_u32 v0, v0, 24
	s_delay_alu instid0(VALU_DEP_2) | instskip(NEXT) | instid1(VALU_DEP_2)
	v_add_nc_u32_e32 v1, v2, v1
	v_add_co_u32 v4, vcc_lo, v5, v0
	s_delay_alu instid0(VALU_DEP_2)
	v_add_co_ci_u32_e32 v5, vcc_lo, v6, v1, vcc_lo
	global_store_b64 v[4:5], v[10:11], off
	s_waitcnt_vscnt null, 0x0
	global_atomic_cmpswap_b64 v[2:3], v7, v[8:11], s[2:3] offset:32 glc
	s_waitcnt vmcnt(0)
	v_cmpx_ne_u64_e64 v[2:3], v[10:11]
	s_cbranch_execz .LBB72_12
; %bb.10:
	s_mov_b32 s7, 0
.LBB72_11:                              ; =>This Inner Loop Header: Depth=1
	v_dual_mov_b32 v0, s4 :: v_dual_mov_b32 v1, s5
	s_sleep 1
	global_store_b64 v[4:5], v[2:3], off
	s_waitcnt_vscnt null, 0x0
	global_atomic_cmpswap_b64 v[0:1], v7, v[0:3], s[2:3] offset:32 glc
	s_waitcnt vmcnt(0)
	v_cmp_eq_u64_e32 vcc_lo, v[0:1], v[2:3]
	v_dual_mov_b32 v3, v1 :: v_dual_mov_b32 v2, v0
	s_or_b32 s7, vcc_lo, s7
	s_delay_alu instid0(SALU_CYCLE_1)
	s_and_not1_b32 exec_lo, exec_lo, s7
	s_cbranch_execnz .LBB72_11
.LBB72_12:
	s_or_b32 exec_lo, exec_lo, s6
	v_mov_b32_e32 v3, 0
	s_mov_b32 s7, exec_lo
	s_mov_b32 s6, exec_lo
	v_mbcnt_lo_u32_b32 v2, s7, 0
	global_load_b64 v[0:1], v3, s[2:3] offset:16
	v_cmpx_eq_u32_e32 0, v2
	s_cbranch_execz .LBB72_14
; %bb.13:
	s_bcnt1_i32_b32 s7, s7
	s_delay_alu instid0(SALU_CYCLE_1)
	v_mov_b32_e32 v2, s7
	s_waitcnt vmcnt(0)
	global_atomic_add_u64 v[0:1], v[2:3], off offset:8
.LBB72_14:
	s_or_b32 exec_lo, exec_lo, s6
	s_waitcnt vmcnt(0)
	global_load_b64 v[2:3], v[0:1], off offset:16
	s_waitcnt vmcnt(0)
	v_cmp_eq_u64_e32 vcc_lo, 0, v[2:3]
	s_cbranch_vccnz .LBB72_16
; %bb.15:
	global_load_b32 v0, v[0:1], off offset:24
	s_waitcnt vmcnt(0)
	v_dual_mov_b32 v1, 0 :: v_dual_and_b32 v4, 0xffffff, v0
	s_waitcnt_vscnt null, 0x0
	global_store_b64 v[2:3], v[0:1], off
	v_readfirstlane_b32 m0, v4
	s_sendmsg sendmsg(MSG_INTERRUPT)
.LBB72_16:
	s_or_b32 exec_lo, exec_lo, s1
	s_branch .LBB72_20
	.p2align	6
.LBB72_17:                              ;   in Loop: Header=BB72_20 Depth=1
	s_or_b32 exec_lo, exec_lo, s1
	s_delay_alu instid0(VALU_DEP_1) | instskip(NEXT) | instid1(VALU_DEP_1)
	v_readfirstlane_b32 s1, v0
	s_cmp_eq_u32 s1, 0
	s_cbranch_scc1 .LBB72_19
; %bb.18:                               ;   in Loop: Header=BB72_20 Depth=1
	s_sleep 1
	s_cbranch_execnz .LBB72_20
	s_branch .LBB72_22
	.p2align	6
.LBB72_19:
	s_branch .LBB72_22
.LBB72_20:                              ; =>This Inner Loop Header: Depth=1
	v_mov_b32_e32 v0, 1
	s_and_saveexec_b32 s1, s0
	s_cbranch_execz .LBB72_17
; %bb.21:                               ;   in Loop: Header=BB72_20 Depth=1
	global_load_b32 v0, v[13:14], off offset:20 glc
	s_waitcnt vmcnt(0)
	buffer_gl1_inv
	buffer_gl0_inv
	v_and_b32_e32 v0, 1, v0
	s_branch .LBB72_17
.LBB72_22:
	s_and_saveexec_b32 s1, s0
	s_cbranch_execz .LBB72_26
; %bb.23:
	v_mov_b32_e32 v6, 0
	s_clause 0x2
	global_load_b64 v[2:3], v6, s[2:3] offset:40
	global_load_b64 v[7:8], v6, s[2:3] offset:24 glc
	global_load_b64 v[4:5], v6, s[2:3]
	s_waitcnt vmcnt(2)
	v_add_co_u32 v9, vcc_lo, v2, 1
	v_add_co_ci_u32_e32 v10, vcc_lo, 0, v3, vcc_lo
	s_delay_alu instid0(VALU_DEP_2) | instskip(NEXT) | instid1(VALU_DEP_2)
	v_add_co_u32 v0, vcc_lo, v9, s4
	v_add_co_ci_u32_e32 v1, vcc_lo, s5, v10, vcc_lo
	s_delay_alu instid0(VALU_DEP_1) | instskip(SKIP_1) | instid1(VALU_DEP_1)
	v_cmp_eq_u64_e32 vcc_lo, 0, v[0:1]
	v_dual_cndmask_b32 v1, v1, v10 :: v_dual_cndmask_b32 v0, v0, v9
	v_and_b32_e32 v3, v1, v3
	s_delay_alu instid0(VALU_DEP_2) | instskip(NEXT) | instid1(VALU_DEP_2)
	v_and_b32_e32 v2, v0, v2
	v_mul_lo_u32 v3, v3, 24
	s_delay_alu instid0(VALU_DEP_2) | instskip(SKIP_1) | instid1(VALU_DEP_2)
	v_mul_hi_u32 v9, v2, 24
	v_mul_lo_u32 v2, v2, 24
	v_add_nc_u32_e32 v3, v9, v3
	s_waitcnt vmcnt(0)
	s_delay_alu instid0(VALU_DEP_2) | instskip(SKIP_1) | instid1(VALU_DEP_3)
	v_add_co_u32 v4, vcc_lo, v4, v2
	v_mov_b32_e32 v2, v7
	v_add_co_ci_u32_e32 v5, vcc_lo, v5, v3, vcc_lo
	v_mov_b32_e32 v3, v8
	global_store_b64 v[4:5], v[7:8], off
	s_waitcnt_vscnt null, 0x0
	global_atomic_cmpswap_b64 v[2:3], v6, v[0:3], s[2:3] offset:24 glc
	s_waitcnt vmcnt(0)
	v_cmp_ne_u64_e32 vcc_lo, v[2:3], v[7:8]
	s_and_b32 exec_lo, exec_lo, vcc_lo
	s_cbranch_execz .LBB72_26
; %bb.24:
	s_mov_b32 s0, 0
.LBB72_25:                              ; =>This Inner Loop Header: Depth=1
	s_sleep 1
	global_store_b64 v[4:5], v[2:3], off
	s_waitcnt_vscnt null, 0x0
	global_atomic_cmpswap_b64 v[7:8], v6, v[0:3], s[2:3] offset:24 glc
	s_waitcnt vmcnt(0)
	v_cmp_eq_u64_e32 vcc_lo, v[7:8], v[2:3]
	v_dual_mov_b32 v2, v7 :: v_dual_mov_b32 v3, v8
	s_or_b32 s0, vcc_lo, s0
	s_delay_alu instid0(SALU_CYCLE_1)
	s_and_not1_b32 exec_lo, exec_lo, s0
	s_cbranch_execnz .LBB72_25
.LBB72_26:
	s_or_b32 exec_lo, exec_lo, s1
	s_waitcnt lgkmcnt(0)
	s_setpc_b64 s[30:31]
.Lfunc_end72:
	.size	__ockl_printf_append_args, .Lfunc_end72-__ockl_printf_append_args
                                        ; -- End function
	.section	.AMDGPU.csdata,"",@progbits
; Function info:
; codeLenInByte = 1352
; NumSgprs: 34
; NumVgprs: 16
; ScratchSize: 0
; MemoryBound: 0
	.text
	.p2align	2                               ; -- Begin function _ZL14no_device_codePKciS0_iS0_
	.type	_ZL14no_device_codePKciS0_iS0_,@function
_ZL14no_device_codePKciS0_iS0_:         ; @_ZL14no_device_codePKciS0_iS0_
; %bb.0:
	s_waitcnt vmcnt(0) expcnt(0) lgkmcnt(0)
	s_mov_b32 s20, s33
	s_mov_b32 s33, s32
	s_xor_saveexec_b32 s0, -1
	scratch_store_b32 off, v36, s33         ; 4-byte Folded Spill
	s_mov_b32 exec_lo, s0
	v_writelane_b32 v36, s30, 0
	s_add_i32 s32, s32, 16
	v_writelane_b32 v36, s31, 1
	s_load_b64 s[2:3], s[8:9], 0x50
	v_mbcnt_lo_u32_b32 v32, -1, 0
	v_mov_b32_e32 v6, 0
	v_mov_b32_e32 v7, 0
	s_delay_alu instid0(VALU_DEP_3) | instskip(NEXT) | instid1(VALU_DEP_1)
	v_readfirstlane_b32 s0, v32
	v_cmp_eq_u32_e64 s0, s0, v32
	s_delay_alu instid0(VALU_DEP_1)
	s_and_saveexec_b32 s1, s0
	s_cbranch_execz .LBB73_6
; %bb.1:
	v_mov_b32_e32 v0, 0
	s_mov_b32 s4, exec_lo
	s_waitcnt lgkmcnt(0)
	global_load_b64 v[3:4], v0, s[2:3] offset:24 glc
	s_waitcnt vmcnt(0)
	buffer_gl1_inv
	buffer_gl0_inv
	s_clause 0x1
	global_load_b64 v[1:2], v0, s[2:3] offset:40
	global_load_b64 v[5:6], v0, s[2:3]
	s_waitcnt vmcnt(1)
	v_and_b32_e32 v1, v1, v3
	v_and_b32_e32 v2, v2, v4
	s_delay_alu instid0(VALU_DEP_2) | instskip(NEXT) | instid1(VALU_DEP_2)
	v_mul_hi_u32 v7, v1, 24
	v_mul_lo_u32 v2, v2, 24
	v_mul_lo_u32 v1, v1, 24
	s_delay_alu instid0(VALU_DEP_2) | instskip(SKIP_1) | instid1(VALU_DEP_2)
	v_add_nc_u32_e32 v2, v7, v2
	s_waitcnt vmcnt(0)
	v_add_co_u32 v1, vcc_lo, v5, v1
	s_delay_alu instid0(VALU_DEP_2)
	v_add_co_ci_u32_e32 v2, vcc_lo, v6, v2, vcc_lo
	global_load_b64 v[1:2], v[1:2], off glc
	s_waitcnt vmcnt(0)
	global_atomic_cmpswap_b64 v[6:7], v0, v[1:4], s[2:3] offset:24 glc
	s_waitcnt vmcnt(0)
	buffer_gl1_inv
	buffer_gl0_inv
	v_cmpx_ne_u64_e64 v[6:7], v[3:4]
	s_cbranch_execz .LBB73_5
; %bb.2:
	s_mov_b32 s5, 0
	.p2align	6
.LBB73_3:                               ; =>This Inner Loop Header: Depth=1
	s_sleep 1
	s_clause 0x1
	global_load_b64 v[1:2], v0, s[2:3] offset:40
	global_load_b64 v[8:9], v0, s[2:3]
	v_dual_mov_b32 v3, v6 :: v_dual_mov_b32 v4, v7
	s_waitcnt vmcnt(1)
	s_delay_alu instid0(VALU_DEP_1) | instskip(NEXT) | instid1(VALU_DEP_2)
	v_and_b32_e32 v1, v1, v3
	v_and_b32_e32 v2, v2, v4
	s_waitcnt vmcnt(0)
	s_delay_alu instid0(VALU_DEP_2) | instskip(NEXT) | instid1(VALU_DEP_1)
	v_mad_u64_u32 v[5:6], null, v1, 24, v[8:9]
	v_mov_b32_e32 v1, v6
	s_delay_alu instid0(VALU_DEP_1)
	v_mad_u64_u32 v[6:7], null, v2, 24, v[1:2]
	global_load_b64 v[1:2], v[5:6], off glc
	s_waitcnt vmcnt(0)
	global_atomic_cmpswap_b64 v[6:7], v0, v[1:4], s[2:3] offset:24 glc
	s_waitcnt vmcnt(0)
	buffer_gl1_inv
	buffer_gl0_inv
	v_cmp_eq_u64_e32 vcc_lo, v[6:7], v[3:4]
	s_or_b32 s5, vcc_lo, s5
	s_delay_alu instid0(SALU_CYCLE_1)
	s_and_not1_b32 exec_lo, exec_lo, s5
	s_cbranch_execnz .LBB73_3
; %bb.4:
	s_or_b32 exec_lo, exec_lo, s5
.LBB73_5:
	s_delay_alu instid0(SALU_CYCLE_1)
	s_or_b32 exec_lo, exec_lo, s4
.LBB73_6:
	s_delay_alu instid0(SALU_CYCLE_1)
	s_or_b32 exec_lo, exec_lo, s1
	v_mov_b32_e32 v5, 0
	v_readfirstlane_b32 s4, v6
	v_readfirstlane_b32 s5, v7
	s_mov_b32 s1, exec_lo
	s_waitcnt lgkmcnt(0)
	s_clause 0x1
	global_load_b64 v[8:9], v5, s[2:3] offset:40
	global_load_b128 v[0:3], v5, s[2:3]
	s_waitcnt vmcnt(1)
	v_readfirstlane_b32 s6, v8
	v_readfirstlane_b32 s7, v9
	s_delay_alu instid0(VALU_DEP_1) | instskip(NEXT) | instid1(SALU_CYCLE_1)
	s_and_b64 s[6:7], s[4:5], s[6:7]
	s_mul_i32 s10, s7, 24
	s_mul_hi_u32 s11, s6, 24
	s_mul_i32 s12, s6, 24
	s_add_i32 s11, s11, s10
	s_waitcnt vmcnt(0)
	v_add_co_u32 v8, vcc_lo, v0, s12
	v_add_co_ci_u32_e32 v9, vcc_lo, s11, v1, vcc_lo
	s_and_saveexec_b32 s10, s0
	s_cbranch_execz .LBB73_8
; %bb.7:
	v_dual_mov_b32 v4, s1 :: v_dual_mov_b32 v7, 1
	v_mov_b32_e32 v6, 2
	global_store_b128 v[8:9], v[4:7], off offset:8
.LBB73_8:
	s_or_b32 exec_lo, exec_lo, s10
	s_lshl_b64 s[6:7], s[6:7], 12
	v_dual_mov_b32 v4, 33 :: v_dual_lshlrev_b32 v31, 6, v32
	v_add_co_u32 v2, vcc_lo, v2, s6
	v_add_co_ci_u32_e32 v3, vcc_lo, s7, v3, vcc_lo
	s_mov_b32 s12, 0
	s_delay_alu instid0(VALU_DEP_2)
	v_add_co_u32 v10, vcc_lo, v2, v31
	s_mov_b32 s13, s12
	s_mov_b32 s14, s12
	;; [unrolled: 1-line block ×3, first 2 shown]
	v_mov_b32_e32 v6, v5
	v_dual_mov_b32 v7, v5 :: v_dual_mov_b32 v12, s12
	v_readfirstlane_b32 s6, v2
	v_readfirstlane_b32 s7, v3
	v_add_co_ci_u32_e32 v11, vcc_lo, 0, v3, vcc_lo
	v_dual_mov_b32 v13, s13 :: v_dual_mov_b32 v14, s14
	v_mov_b32_e32 v15, s15
	s_clause 0x3
	global_store_b128 v31, v[4:7], s[6:7]
	global_store_b128 v31, v[12:15], s[6:7] offset:16
	global_store_b128 v31, v[12:15], s[6:7] offset:32
	;; [unrolled: 1-line block ×3, first 2 shown]
	s_and_saveexec_b32 s1, s0
	s_cbranch_execz .LBB73_16
; %bb.9:
	v_mov_b32_e32 v6, 0
	s_mov_b32 s6, exec_lo
	s_clause 0x1
	global_load_b64 v[14:15], v6, s[2:3] offset:32 glc
	global_load_b64 v[2:3], v6, s[2:3] offset:40
	v_dual_mov_b32 v13, s5 :: v_dual_mov_b32 v12, s4
	s_waitcnt vmcnt(0)
	v_and_b32_e32 v3, s5, v3
	v_and_b32_e32 v2, s4, v2
	s_delay_alu instid0(VALU_DEP_2) | instskip(NEXT) | instid1(VALU_DEP_2)
	v_mul_lo_u32 v3, v3, 24
	v_mul_hi_u32 v4, v2, 24
	v_mul_lo_u32 v2, v2, 24
	s_delay_alu instid0(VALU_DEP_2) | instskip(NEXT) | instid1(VALU_DEP_2)
	v_add_nc_u32_e32 v3, v4, v3
	v_add_co_u32 v4, vcc_lo, v0, v2
	s_delay_alu instid0(VALU_DEP_2)
	v_add_co_ci_u32_e32 v5, vcc_lo, v1, v3, vcc_lo
	global_store_b64 v[4:5], v[14:15], off
	s_waitcnt_vscnt null, 0x0
	global_atomic_cmpswap_b64 v[2:3], v6, v[12:15], s[2:3] offset:32 glc
	s_waitcnt vmcnt(0)
	v_cmpx_ne_u64_e64 v[2:3], v[14:15]
	s_cbranch_execz .LBB73_12
; %bb.10:
	s_mov_b32 s7, 0
.LBB73_11:                              ; =>This Inner Loop Header: Depth=1
	v_dual_mov_b32 v0, s4 :: v_dual_mov_b32 v1, s5
	s_sleep 1
	global_store_b64 v[4:5], v[2:3], off
	s_waitcnt_vscnt null, 0x0
	global_atomic_cmpswap_b64 v[0:1], v6, v[0:3], s[2:3] offset:32 glc
	s_waitcnt vmcnt(0)
	v_cmp_eq_u64_e32 vcc_lo, v[0:1], v[2:3]
	v_dual_mov_b32 v3, v1 :: v_dual_mov_b32 v2, v0
	s_or_b32 s7, vcc_lo, s7
	s_delay_alu instid0(SALU_CYCLE_1)
	s_and_not1_b32 exec_lo, exec_lo, s7
	s_cbranch_execnz .LBB73_11
.LBB73_12:
	s_or_b32 exec_lo, exec_lo, s6
	v_mov_b32_e32 v3, 0
	s_mov_b32 s7, exec_lo
	s_mov_b32 s6, exec_lo
	v_mbcnt_lo_u32_b32 v2, s7, 0
	global_load_b64 v[0:1], v3, s[2:3] offset:16
	v_cmpx_eq_u32_e32 0, v2
	s_cbranch_execz .LBB73_14
; %bb.13:
	s_bcnt1_i32_b32 s7, s7
	s_delay_alu instid0(SALU_CYCLE_1)
	v_mov_b32_e32 v2, s7
	s_waitcnt vmcnt(0)
	global_atomic_add_u64 v[0:1], v[2:3], off offset:8
.LBB73_14:
	s_or_b32 exec_lo, exec_lo, s6
	s_waitcnt vmcnt(0)
	global_load_b64 v[2:3], v[0:1], off offset:16
	s_waitcnt vmcnt(0)
	v_cmp_eq_u64_e32 vcc_lo, 0, v[2:3]
	s_cbranch_vccnz .LBB73_16
; %bb.15:
	global_load_b32 v0, v[0:1], off offset:24
	s_waitcnt vmcnt(0)
	v_dual_mov_b32 v1, 0 :: v_dual_and_b32 v4, 0xffffff, v0
	s_waitcnt_vscnt null, 0x0
	global_store_b64 v[2:3], v[0:1], off
	v_readfirstlane_b32 m0, v4
	s_sendmsg sendmsg(MSG_INTERRUPT)
.LBB73_16:
	s_or_b32 exec_lo, exec_lo, s1
	s_branch .LBB73_20
	.p2align	6
.LBB73_17:                              ;   in Loop: Header=BB73_20 Depth=1
	s_or_b32 exec_lo, exec_lo, s1
	s_delay_alu instid0(VALU_DEP_1) | instskip(NEXT) | instid1(VALU_DEP_1)
	v_readfirstlane_b32 s1, v0
	s_cmp_eq_u32 s1, 0
	s_cbranch_scc1 .LBB73_19
; %bb.18:                               ;   in Loop: Header=BB73_20 Depth=1
	s_sleep 1
	s_cbranch_execnz .LBB73_20
	s_branch .LBB73_22
	.p2align	6
.LBB73_19:
	s_branch .LBB73_22
.LBB73_20:                              ; =>This Inner Loop Header: Depth=1
	v_mov_b32_e32 v0, 1
	s_and_saveexec_b32 s1, s0
	s_cbranch_execz .LBB73_17
; %bb.21:                               ;   in Loop: Header=BB73_20 Depth=1
	global_load_b32 v0, v[8:9], off offset:20 glc
	s_waitcnt vmcnt(0)
	buffer_gl1_inv
	buffer_gl0_inv
	v_and_b32_e32 v0, 1, v0
	s_branch .LBB73_17
.LBB73_22:
	global_load_b64 v[4:5], v[10:11], off
	s_and_saveexec_b32 s1, s0
	s_cbranch_execz .LBB73_26
; %bb.23:
	v_mov_b32_e32 v8, 0
	s_clause 0x2
	global_load_b64 v[2:3], v8, s[2:3] offset:40
	global_load_b64 v[9:10], v8, s[2:3] offset:24 glc
	global_load_b64 v[6:7], v8, s[2:3]
	s_waitcnt vmcnt(2)
	v_add_co_u32 v11, vcc_lo, v2, 1
	v_add_co_ci_u32_e32 v12, vcc_lo, 0, v3, vcc_lo
	s_delay_alu instid0(VALU_DEP_2) | instskip(NEXT) | instid1(VALU_DEP_2)
	v_add_co_u32 v0, vcc_lo, v11, s4
	v_add_co_ci_u32_e32 v1, vcc_lo, s5, v12, vcc_lo
	s_delay_alu instid0(VALU_DEP_1) | instskip(SKIP_1) | instid1(VALU_DEP_1)
	v_cmp_eq_u64_e32 vcc_lo, 0, v[0:1]
	v_dual_cndmask_b32 v1, v1, v12 :: v_dual_cndmask_b32 v0, v0, v11
	v_and_b32_e32 v3, v1, v3
	s_delay_alu instid0(VALU_DEP_2) | instskip(NEXT) | instid1(VALU_DEP_2)
	v_and_b32_e32 v2, v0, v2
	v_mul_lo_u32 v3, v3, 24
	s_delay_alu instid0(VALU_DEP_2) | instskip(SKIP_1) | instid1(VALU_DEP_2)
	v_mul_hi_u32 v11, v2, 24
	v_mul_lo_u32 v2, v2, 24
	v_add_nc_u32_e32 v3, v11, v3
	s_waitcnt vmcnt(0)
	s_delay_alu instid0(VALU_DEP_2) | instskip(SKIP_1) | instid1(VALU_DEP_3)
	v_add_co_u32 v6, vcc_lo, v6, v2
	v_mov_b32_e32 v2, v9
	v_add_co_ci_u32_e32 v7, vcc_lo, v7, v3, vcc_lo
	v_mov_b32_e32 v3, v10
	global_store_b64 v[6:7], v[9:10], off
	s_waitcnt_vscnt null, 0x0
	global_atomic_cmpswap_b64 v[2:3], v8, v[0:3], s[2:3] offset:24 glc
	s_waitcnt vmcnt(0)
	v_cmp_ne_u64_e32 vcc_lo, v[2:3], v[9:10]
	s_and_b32 exec_lo, exec_lo, vcc_lo
	s_cbranch_execz .LBB73_26
; %bb.24:
	s_mov_b32 s0, 0
.LBB73_25:                              ; =>This Inner Loop Header: Depth=1
	s_sleep 1
	global_store_b64 v[6:7], v[2:3], off
	s_waitcnt_vscnt null, 0x0
	global_atomic_cmpswap_b64 v[9:10], v8, v[0:3], s[2:3] offset:24 glc
	s_waitcnt vmcnt(0)
	v_cmp_eq_u64_e32 vcc_lo, v[9:10], v[2:3]
	v_dual_mov_b32 v2, v9 :: v_dual_mov_b32 v3, v10
	s_or_b32 s0, vcc_lo, s0
	s_delay_alu instid0(SALU_CYCLE_1)
	s_and_not1_b32 exec_lo, exec_lo, s0
	s_cbranch_execnz .LBB73_25
.LBB73_26:
	s_or_b32 exec_lo, exec_lo, s1
	s_getpc_b64 s[4:5]
	s_add_u32 s4, s4, .str.3@rel32@lo+4
	s_addc_u32 s5, s5, .str.3@rel32@hi+12
	s_delay_alu instid0(SALU_CYCLE_1)
	s_cmp_lg_u64 s[4:5], 0
	s_cbranch_scc0 .LBB73_104
; %bb.27:
	s_waitcnt vmcnt(0)
	v_dual_mov_b32 v7, 0 :: v_dual_and_b32 v28, 2, v4
	v_dual_mov_b32 v1, v5 :: v_dual_and_b32 v0, -3, v4
	v_dual_mov_b32 v8, 2 :: v_dual_mov_b32 v9, 1
	s_mov_b64 s[6:7], 0x4d
	s_branch .LBB73_29
.LBB73_28:                              ;   in Loop: Header=BB73_29 Depth=1
	s_or_b32 exec_lo, exec_lo, s1
	s_sub_u32 s6, s6, s10
	s_subb_u32 s7, s7, s11
	s_add_u32 s4, s4, s10
	s_addc_u32 s5, s5, s11
	s_cmp_lg_u64 s[6:7], 0
	s_cbranch_scc0 .LBB73_105
.LBB73_29:                              ; =>This Loop Header: Depth=1
                                        ;     Child Loop BB73_38 Depth 2
                                        ;     Child Loop BB73_34 Depth 2
	;; [unrolled: 1-line block ×11, first 2 shown]
	v_cmp_lt_u64_e64 s0, s[6:7], 56
	v_cmp_gt_u64_e64 s1, s[6:7], 7
                                        ; implicit-def: $vgpr2_vgpr3
                                        ; implicit-def: $sgpr16
	s_delay_alu instid0(VALU_DEP_2) | instskip(SKIP_2) | instid1(VALU_DEP_1)
	s_and_b32 s0, s0, exec_lo
	s_cselect_b32 s11, s7, 0
	s_cselect_b32 s10, s6, 56
	s_and_b32 vcc_lo, exec_lo, s1
	s_mov_b32 s0, -1
	s_cbranch_vccz .LBB73_36
; %bb.30:                               ;   in Loop: Header=BB73_29 Depth=1
	s_and_not1_b32 vcc_lo, exec_lo, s0
	s_mov_b64 s[0:1], s[4:5]
	s_cbranch_vccz .LBB73_40
.LBB73_31:                              ;   in Loop: Header=BB73_29 Depth=1
	s_cmp_gt_u32 s16, 7
	s_cbranch_scc1 .LBB73_41
.LBB73_32:                              ;   in Loop: Header=BB73_29 Depth=1
	v_mov_b32_e32 v10, 0
	v_mov_b32_e32 v11, 0
	s_cmp_eq_u32 s16, 0
	s_cbranch_scc1 .LBB73_35
; %bb.33:                               ;   in Loop: Header=BB73_29 Depth=1
	s_mov_b64 s[12:13], 0
	s_mov_b64 s[14:15], 0
.LBB73_34:                              ;   Parent Loop BB73_29 Depth=1
                                        ; =>  This Inner Loop Header: Depth=2
	s_delay_alu instid0(SALU_CYCLE_1)
	s_add_u32 s18, s0, s14
	s_addc_u32 s19, s1, s15
	s_add_u32 s14, s14, 1
	global_load_u8 v6, v7, s[18:19]
	s_addc_u32 s15, s15, 0
	s_waitcnt vmcnt(0)
	v_and_b32_e32 v6, 0xffff, v6
	s_delay_alu instid0(VALU_DEP_1) | instskip(SKIP_3) | instid1(VALU_DEP_1)
	v_lshlrev_b64 v[12:13], s12, v[6:7]
	s_add_u32 s12, s12, 8
	s_addc_u32 s13, s13, 0
	s_cmp_lg_u32 s16, s14
	v_or_b32_e32 v10, v12, v10
	s_delay_alu instid0(VALU_DEP_2)
	v_or_b32_e32 v11, v13, v11
	s_cbranch_scc1 .LBB73_34
.LBB73_35:                              ;   in Loop: Header=BB73_29 Depth=1
	s_mov_b32 s17, 0
	s_cbranch_execz .LBB73_42
	s_branch .LBB73_43
.LBB73_36:                              ;   in Loop: Header=BB73_29 Depth=1
	s_waitcnt vmcnt(0)
	v_mov_b32_e32 v2, 0
	v_mov_b32_e32 v3, 0
	s_cmp_eq_u64 s[6:7], 0
	s_mov_b64 s[0:1], 0
	s_cbranch_scc1 .LBB73_39
; %bb.37:                               ;   in Loop: Header=BB73_29 Depth=1
	v_mov_b32_e32 v2, 0
	v_mov_b32_e32 v3, 0
	s_lshl_b64 s[12:13], s[10:11], 3
	s_mov_b64 s[14:15], s[4:5]
.LBB73_38:                              ;   Parent Loop BB73_29 Depth=1
                                        ; =>  This Inner Loop Header: Depth=2
	global_load_u8 v6, v7, s[14:15]
	s_waitcnt vmcnt(0)
	v_and_b32_e32 v6, 0xffff, v6
	s_delay_alu instid0(VALU_DEP_1)
	v_lshlrev_b64 v[10:11], s0, v[6:7]
	s_add_u32 s0, s0, 8
	s_addc_u32 s1, s1, 0
	s_add_u32 s14, s14, 1
	s_addc_u32 s15, s15, 0
	s_cmp_lg_u32 s12, s0
	v_or_b32_e32 v2, v10, v2
	v_or_b32_e32 v3, v11, v3
	s_cbranch_scc1 .LBB73_38
.LBB73_39:                              ;   in Loop: Header=BB73_29 Depth=1
	s_mov_b32 s16, 0
	s_mov_b64 s[0:1], s[4:5]
	s_cbranch_execnz .LBB73_31
.LBB73_40:                              ;   in Loop: Header=BB73_29 Depth=1
	global_load_b64 v[2:3], v7, s[4:5]
	s_add_i32 s16, s10, -8
	s_add_u32 s0, s4, 8
	s_addc_u32 s1, s5, 0
	s_cmp_gt_u32 s16, 7
	s_cbranch_scc0 .LBB73_32
.LBB73_41:                              ;   in Loop: Header=BB73_29 Depth=1
                                        ; implicit-def: $vgpr10_vgpr11
                                        ; implicit-def: $sgpr17
.LBB73_42:                              ;   in Loop: Header=BB73_29 Depth=1
	global_load_b64 v[10:11], v7, s[0:1]
	s_add_i32 s17, s16, -8
	s_add_u32 s0, s0, 8
	s_addc_u32 s1, s1, 0
.LBB73_43:                              ;   in Loop: Header=BB73_29 Depth=1
	s_cmp_gt_u32 s17, 7
	s_cbranch_scc1 .LBB73_48
; %bb.44:                               ;   in Loop: Header=BB73_29 Depth=1
	v_mov_b32_e32 v12, 0
	v_mov_b32_e32 v13, 0
	s_cmp_eq_u32 s17, 0
	s_cbranch_scc1 .LBB73_47
; %bb.45:                               ;   in Loop: Header=BB73_29 Depth=1
	s_mov_b64 s[12:13], 0
	s_mov_b64 s[14:15], 0
.LBB73_46:                              ;   Parent Loop BB73_29 Depth=1
                                        ; =>  This Inner Loop Header: Depth=2
	s_delay_alu instid0(SALU_CYCLE_1)
	s_add_u32 s18, s0, s14
	s_addc_u32 s19, s1, s15
	s_add_u32 s14, s14, 1
	global_load_u8 v6, v7, s[18:19]
	s_addc_u32 s15, s15, 0
	s_waitcnt vmcnt(0)
	v_and_b32_e32 v6, 0xffff, v6
	s_delay_alu instid0(VALU_DEP_1) | instskip(SKIP_3) | instid1(VALU_DEP_1)
	v_lshlrev_b64 v[14:15], s12, v[6:7]
	s_add_u32 s12, s12, 8
	s_addc_u32 s13, s13, 0
	s_cmp_lg_u32 s17, s14
	v_or_b32_e32 v12, v14, v12
	s_delay_alu instid0(VALU_DEP_2)
	v_or_b32_e32 v13, v15, v13
	s_cbranch_scc1 .LBB73_46
.LBB73_47:                              ;   in Loop: Header=BB73_29 Depth=1
	s_mov_b32 s16, 0
	s_cbranch_execz .LBB73_49
	s_branch .LBB73_50
.LBB73_48:                              ;   in Loop: Header=BB73_29 Depth=1
                                        ; implicit-def: $sgpr16
.LBB73_49:                              ;   in Loop: Header=BB73_29 Depth=1
	global_load_b64 v[12:13], v7, s[0:1]
	s_add_i32 s16, s17, -8
	s_add_u32 s0, s0, 8
	s_addc_u32 s1, s1, 0
.LBB73_50:                              ;   in Loop: Header=BB73_29 Depth=1
	s_cmp_gt_u32 s16, 7
	s_cbranch_scc1 .LBB73_55
; %bb.51:                               ;   in Loop: Header=BB73_29 Depth=1
	v_mov_b32_e32 v14, 0
	v_mov_b32_e32 v15, 0
	s_cmp_eq_u32 s16, 0
	s_cbranch_scc1 .LBB73_54
; %bb.52:                               ;   in Loop: Header=BB73_29 Depth=1
	s_mov_b64 s[12:13], 0
	s_mov_b64 s[14:15], 0
.LBB73_53:                              ;   Parent Loop BB73_29 Depth=1
                                        ; =>  This Inner Loop Header: Depth=2
	s_delay_alu instid0(SALU_CYCLE_1)
	s_add_u32 s18, s0, s14
	s_addc_u32 s19, s1, s15
	s_add_u32 s14, s14, 1
	global_load_u8 v6, v7, s[18:19]
	s_addc_u32 s15, s15, 0
	s_waitcnt vmcnt(0)
	v_and_b32_e32 v6, 0xffff, v6
	s_delay_alu instid0(VALU_DEP_1) | instskip(SKIP_3) | instid1(VALU_DEP_1)
	v_lshlrev_b64 v[16:17], s12, v[6:7]
	s_add_u32 s12, s12, 8
	s_addc_u32 s13, s13, 0
	s_cmp_lg_u32 s16, s14
	v_or_b32_e32 v14, v16, v14
	s_delay_alu instid0(VALU_DEP_2)
	v_or_b32_e32 v15, v17, v15
	s_cbranch_scc1 .LBB73_53
.LBB73_54:                              ;   in Loop: Header=BB73_29 Depth=1
	s_mov_b32 s17, 0
	s_cbranch_execz .LBB73_56
	s_branch .LBB73_57
.LBB73_55:                              ;   in Loop: Header=BB73_29 Depth=1
                                        ; implicit-def: $vgpr14_vgpr15
                                        ; implicit-def: $sgpr17
.LBB73_56:                              ;   in Loop: Header=BB73_29 Depth=1
	global_load_b64 v[14:15], v7, s[0:1]
	s_add_i32 s17, s16, -8
	s_add_u32 s0, s0, 8
	s_addc_u32 s1, s1, 0
.LBB73_57:                              ;   in Loop: Header=BB73_29 Depth=1
	s_cmp_gt_u32 s17, 7
	s_cbranch_scc1 .LBB73_62
; %bb.58:                               ;   in Loop: Header=BB73_29 Depth=1
	v_mov_b32_e32 v16, 0
	v_mov_b32_e32 v17, 0
	s_cmp_eq_u32 s17, 0
	s_cbranch_scc1 .LBB73_61
; %bb.59:                               ;   in Loop: Header=BB73_29 Depth=1
	s_mov_b64 s[12:13], 0
	s_mov_b64 s[14:15], 0
.LBB73_60:                              ;   Parent Loop BB73_29 Depth=1
                                        ; =>  This Inner Loop Header: Depth=2
	s_delay_alu instid0(SALU_CYCLE_1)
	s_add_u32 s18, s0, s14
	s_addc_u32 s19, s1, s15
	s_add_u32 s14, s14, 1
	global_load_u8 v6, v7, s[18:19]
	s_addc_u32 s15, s15, 0
	s_waitcnt vmcnt(0)
	v_and_b32_e32 v6, 0xffff, v6
	s_delay_alu instid0(VALU_DEP_1) | instskip(SKIP_3) | instid1(VALU_DEP_1)
	v_lshlrev_b64 v[18:19], s12, v[6:7]
	s_add_u32 s12, s12, 8
	s_addc_u32 s13, s13, 0
	s_cmp_lg_u32 s17, s14
	v_or_b32_e32 v16, v18, v16
	s_delay_alu instid0(VALU_DEP_2)
	v_or_b32_e32 v17, v19, v17
	s_cbranch_scc1 .LBB73_60
.LBB73_61:                              ;   in Loop: Header=BB73_29 Depth=1
	s_mov_b32 s16, 0
	s_cbranch_execz .LBB73_63
	s_branch .LBB73_64
.LBB73_62:                              ;   in Loop: Header=BB73_29 Depth=1
                                        ; implicit-def: $sgpr16
.LBB73_63:                              ;   in Loop: Header=BB73_29 Depth=1
	global_load_b64 v[16:17], v7, s[0:1]
	s_add_i32 s16, s17, -8
	s_add_u32 s0, s0, 8
	s_addc_u32 s1, s1, 0
.LBB73_64:                              ;   in Loop: Header=BB73_29 Depth=1
	s_cmp_gt_u32 s16, 7
	s_cbranch_scc1 .LBB73_69
; %bb.65:                               ;   in Loop: Header=BB73_29 Depth=1
	v_mov_b32_e32 v18, 0
	v_mov_b32_e32 v19, 0
	s_cmp_eq_u32 s16, 0
	s_cbranch_scc1 .LBB73_68
; %bb.66:                               ;   in Loop: Header=BB73_29 Depth=1
	s_mov_b64 s[12:13], 0
	s_mov_b64 s[14:15], 0
.LBB73_67:                              ;   Parent Loop BB73_29 Depth=1
                                        ; =>  This Inner Loop Header: Depth=2
	s_delay_alu instid0(SALU_CYCLE_1)
	s_add_u32 s18, s0, s14
	s_addc_u32 s19, s1, s15
	s_add_u32 s14, s14, 1
	global_load_u8 v6, v7, s[18:19]
	s_addc_u32 s15, s15, 0
	s_waitcnt vmcnt(0)
	v_and_b32_e32 v6, 0xffff, v6
	s_delay_alu instid0(VALU_DEP_1) | instskip(SKIP_3) | instid1(VALU_DEP_1)
	v_lshlrev_b64 v[20:21], s12, v[6:7]
	s_add_u32 s12, s12, 8
	s_addc_u32 s13, s13, 0
	s_cmp_lg_u32 s16, s14
	v_or_b32_e32 v18, v20, v18
	s_delay_alu instid0(VALU_DEP_2)
	v_or_b32_e32 v19, v21, v19
	s_cbranch_scc1 .LBB73_67
.LBB73_68:                              ;   in Loop: Header=BB73_29 Depth=1
	s_mov_b32 s17, 0
	s_cbranch_execz .LBB73_70
	s_branch .LBB73_71
.LBB73_69:                              ;   in Loop: Header=BB73_29 Depth=1
                                        ; implicit-def: $vgpr18_vgpr19
                                        ; implicit-def: $sgpr17
.LBB73_70:                              ;   in Loop: Header=BB73_29 Depth=1
	global_load_b64 v[18:19], v7, s[0:1]
	s_add_i32 s17, s16, -8
	s_add_u32 s0, s0, 8
	s_addc_u32 s1, s1, 0
.LBB73_71:                              ;   in Loop: Header=BB73_29 Depth=1
	s_cmp_gt_u32 s17, 7
	s_cbranch_scc1 .LBB73_76
; %bb.72:                               ;   in Loop: Header=BB73_29 Depth=1
	v_mov_b32_e32 v20, 0
	v_mov_b32_e32 v21, 0
	s_cmp_eq_u32 s17, 0
	s_cbranch_scc1 .LBB73_75
; %bb.73:                               ;   in Loop: Header=BB73_29 Depth=1
	s_mov_b64 s[12:13], 0
	s_mov_b64 s[14:15], s[0:1]
.LBB73_74:                              ;   Parent Loop BB73_29 Depth=1
                                        ; =>  This Inner Loop Header: Depth=2
	global_load_u8 v6, v7, s[14:15]
	s_add_i32 s17, s17, -1
	s_waitcnt vmcnt(0)
	v_and_b32_e32 v6, 0xffff, v6
	s_delay_alu instid0(VALU_DEP_1)
	v_lshlrev_b64 v[22:23], s12, v[6:7]
	s_add_u32 s12, s12, 8
	s_addc_u32 s13, s13, 0
	s_add_u32 s14, s14, 1
	s_addc_u32 s15, s15, 0
	s_cmp_lg_u32 s17, 0
	v_or_b32_e32 v20, v22, v20
	v_or_b32_e32 v21, v23, v21
	s_cbranch_scc1 .LBB73_74
.LBB73_75:                              ;   in Loop: Header=BB73_29 Depth=1
	s_cbranch_execz .LBB73_77
	s_branch .LBB73_78
.LBB73_76:                              ;   in Loop: Header=BB73_29 Depth=1
.LBB73_77:                              ;   in Loop: Header=BB73_29 Depth=1
	global_load_b64 v[20:21], v7, s[0:1]
.LBB73_78:                              ;   in Loop: Header=BB73_29 Depth=1
	v_readfirstlane_b32 s0, v32
	v_mov_b32_e32 v26, 0
	v_mov_b32_e32 v27, 0
	s_delay_alu instid0(VALU_DEP_3) | instskip(NEXT) | instid1(VALU_DEP_1)
	v_cmp_eq_u32_e64 s0, s0, v32
	s_and_saveexec_b32 s1, s0
	s_cbranch_execz .LBB73_84
; %bb.79:                               ;   in Loop: Header=BB73_29 Depth=1
	global_load_b64 v[24:25], v7, s[2:3] offset:24 glc
	s_waitcnt vmcnt(0)
	buffer_gl1_inv
	buffer_gl0_inv
	s_clause 0x1
	global_load_b64 v[22:23], v7, s[2:3] offset:40
	global_load_b64 v[26:27], v7, s[2:3]
	s_mov_b32 s12, exec_lo
	s_waitcnt vmcnt(1)
	v_and_b32_e32 v6, v23, v25
	v_and_b32_e32 v22, v22, v24
	s_delay_alu instid0(VALU_DEP_2) | instskip(NEXT) | instid1(VALU_DEP_2)
	v_mul_lo_u32 v6, v6, 24
	v_mul_hi_u32 v23, v22, 24
	v_mul_lo_u32 v22, v22, 24
	s_delay_alu instid0(VALU_DEP_2) | instskip(SKIP_1) | instid1(VALU_DEP_2)
	v_add_nc_u32_e32 v6, v23, v6
	s_waitcnt vmcnt(0)
	v_add_co_u32 v22, vcc_lo, v26, v22
	s_delay_alu instid0(VALU_DEP_2)
	v_add_co_ci_u32_e32 v23, vcc_lo, v27, v6, vcc_lo
	global_load_b64 v[22:23], v[22:23], off glc
	s_waitcnt vmcnt(0)
	global_atomic_cmpswap_b64 v[26:27], v7, v[22:25], s[2:3] offset:24 glc
	s_waitcnt vmcnt(0)
	buffer_gl1_inv
	buffer_gl0_inv
	v_cmpx_ne_u64_e64 v[26:27], v[24:25]
	s_cbranch_execz .LBB73_83
; %bb.80:                               ;   in Loop: Header=BB73_29 Depth=1
	s_mov_b32 s13, 0
	.p2align	6
.LBB73_81:                              ;   Parent Loop BB73_29 Depth=1
                                        ; =>  This Inner Loop Header: Depth=2
	s_sleep 1
	s_clause 0x1
	global_load_b64 v[22:23], v7, s[2:3] offset:40
	global_load_b64 v[29:30], v7, s[2:3]
	v_dual_mov_b32 v24, v26 :: v_dual_mov_b32 v25, v27
	s_waitcnt vmcnt(1)
	s_delay_alu instid0(VALU_DEP_1) | instskip(SKIP_1) | instid1(VALU_DEP_1)
	v_and_b32_e32 v6, v22, v24
	s_waitcnt vmcnt(0)
	v_mad_u64_u32 v[26:27], null, v6, 24, v[29:30]
	v_and_b32_e32 v29, v23, v25
	s_delay_alu instid0(VALU_DEP_2) | instskip(NEXT) | instid1(VALU_DEP_1)
	v_mov_b32_e32 v6, v27
	v_mad_u64_u32 v[22:23], null, v29, 24, v[6:7]
	s_delay_alu instid0(VALU_DEP_1)
	v_mov_b32_e32 v27, v22
	global_load_b64 v[22:23], v[26:27], off glc
	s_waitcnt vmcnt(0)
	global_atomic_cmpswap_b64 v[26:27], v7, v[22:25], s[2:3] offset:24 glc
	s_waitcnt vmcnt(0)
	buffer_gl1_inv
	buffer_gl0_inv
	v_cmp_eq_u64_e32 vcc_lo, v[26:27], v[24:25]
	s_or_b32 s13, vcc_lo, s13
	s_delay_alu instid0(SALU_CYCLE_1)
	s_and_not1_b32 exec_lo, exec_lo, s13
	s_cbranch_execnz .LBB73_81
; %bb.82:                               ;   in Loop: Header=BB73_29 Depth=1
	s_or_b32 exec_lo, exec_lo, s13
.LBB73_83:                              ;   in Loop: Header=BB73_29 Depth=1
	s_delay_alu instid0(SALU_CYCLE_1)
	s_or_b32 exec_lo, exec_lo, s12
.LBB73_84:                              ;   in Loop: Header=BB73_29 Depth=1
	s_delay_alu instid0(SALU_CYCLE_1)
	s_or_b32 exec_lo, exec_lo, s1
	s_clause 0x1
	global_load_b64 v[29:30], v7, s[2:3] offset:40
	global_load_b128 v[22:25], v7, s[2:3]
	v_readfirstlane_b32 s12, v26
	v_readfirstlane_b32 s13, v27
	s_mov_b32 s1, exec_lo
	s_waitcnt vmcnt(1)
	v_readfirstlane_b32 s14, v29
	v_readfirstlane_b32 s15, v30
	s_delay_alu instid0(VALU_DEP_1) | instskip(NEXT) | instid1(SALU_CYCLE_1)
	s_and_b64 s[14:15], s[12:13], s[14:15]
	s_mul_i32 s16, s15, 24
	s_mul_hi_u32 s17, s14, 24
	s_mul_i32 s18, s14, 24
	s_add_i32 s17, s17, s16
	s_waitcnt vmcnt(0)
	v_add_co_u32 v26, vcc_lo, v22, s18
	v_add_co_ci_u32_e32 v27, vcc_lo, s17, v23, vcc_lo
	s_and_saveexec_b32 s16, s0
	s_cbranch_execz .LBB73_86
; %bb.85:                               ;   in Loop: Header=BB73_29 Depth=1
	v_mov_b32_e32 v6, s1
	global_store_b128 v[26:27], v[6:9], off offset:8
.LBB73_86:                              ;   in Loop: Header=BB73_29 Depth=1
	s_or_b32 exec_lo, exec_lo, s16
	s_lshl_b64 s[14:15], s[14:15], 12
	v_cmp_gt_u64_e64 vcc_lo, s[6:7], 56
	v_or_b32_e32 v6, 0, v1
	v_or_b32_e32 v29, v0, v28
	v_add_co_u32 v24, s1, v24, s14
	s_delay_alu instid0(VALU_DEP_1) | instskip(SKIP_1) | instid1(VALU_DEP_3)
	v_add_co_ci_u32_e64 v25, s1, s15, v25, s1
	s_lshl_b32 s1, s10, 2
	v_dual_cndmask_b32 v1, v6, v1 :: v_dual_cndmask_b32 v0, v29, v0
	s_add_i32 s1, s1, 28
	v_readfirstlane_b32 s14, v24
	s_and_b32 s1, s1, 0x1e0
	v_readfirstlane_b32 s15, v25
	v_and_or_b32 v0, 0xffffff1f, v0, s1
	s_clause 0x3
	global_store_b128 v31, v[0:3], s[14:15]
	global_store_b128 v31, v[10:13], s[14:15] offset:16
	global_store_b128 v31, v[14:17], s[14:15] offset:32
	;; [unrolled: 1-line block ×3, first 2 shown]
	s_and_saveexec_b32 s1, s0
	s_cbranch_execz .LBB73_94
; %bb.87:                               ;   in Loop: Header=BB73_29 Depth=1
	s_clause 0x1
	global_load_b64 v[14:15], v7, s[2:3] offset:32 glc
	global_load_b64 v[0:1], v7, s[2:3] offset:40
	v_dual_mov_b32 v12, s12 :: v_dual_mov_b32 v13, s13
	s_waitcnt vmcnt(0)
	v_readfirstlane_b32 s14, v0
	v_readfirstlane_b32 s15, v1
	s_delay_alu instid0(VALU_DEP_1) | instskip(NEXT) | instid1(SALU_CYCLE_1)
	s_and_b64 s[14:15], s[14:15], s[12:13]
	s_mul_i32 s15, s15, 24
	s_mul_hi_u32 s16, s14, 24
	s_mul_i32 s14, s14, 24
	s_add_i32 s16, s16, s15
	v_add_co_u32 v10, vcc_lo, v22, s14
	v_add_co_ci_u32_e32 v11, vcc_lo, s16, v23, vcc_lo
	s_mov_b32 s14, exec_lo
	global_store_b64 v[10:11], v[14:15], off
	s_waitcnt_vscnt null, 0x0
	global_atomic_cmpswap_b64 v[2:3], v7, v[12:15], s[2:3] offset:32 glc
	s_waitcnt vmcnt(0)
	v_cmpx_ne_u64_e64 v[2:3], v[14:15]
	s_cbranch_execz .LBB73_90
; %bb.88:                               ;   in Loop: Header=BB73_29 Depth=1
	s_mov_b32 s15, 0
.LBB73_89:                              ;   Parent Loop BB73_29 Depth=1
                                        ; =>  This Inner Loop Header: Depth=2
	v_dual_mov_b32 v0, s12 :: v_dual_mov_b32 v1, s13
	s_sleep 1
	global_store_b64 v[10:11], v[2:3], off
	s_waitcnt_vscnt null, 0x0
	global_atomic_cmpswap_b64 v[0:1], v7, v[0:3], s[2:3] offset:32 glc
	s_waitcnt vmcnt(0)
	v_cmp_eq_u64_e32 vcc_lo, v[0:1], v[2:3]
	v_dual_mov_b32 v3, v1 :: v_dual_mov_b32 v2, v0
	s_or_b32 s15, vcc_lo, s15
	s_delay_alu instid0(SALU_CYCLE_1)
	s_and_not1_b32 exec_lo, exec_lo, s15
	s_cbranch_execnz .LBB73_89
.LBB73_90:                              ;   in Loop: Header=BB73_29 Depth=1
	s_or_b32 exec_lo, exec_lo, s14
	global_load_b64 v[0:1], v7, s[2:3] offset:16
	s_mov_b32 s15, exec_lo
	s_mov_b32 s14, exec_lo
	v_mbcnt_lo_u32_b32 v2, s15, 0
	s_delay_alu instid0(VALU_DEP_1)
	v_cmpx_eq_u32_e32 0, v2
	s_cbranch_execz .LBB73_92
; %bb.91:                               ;   in Loop: Header=BB73_29 Depth=1
	s_bcnt1_i32_b32 s15, s15
	s_delay_alu instid0(SALU_CYCLE_1)
	v_mov_b32_e32 v6, s15
	s_waitcnt vmcnt(0)
	global_atomic_add_u64 v[0:1], v[6:7], off offset:8
.LBB73_92:                              ;   in Loop: Header=BB73_29 Depth=1
	s_or_b32 exec_lo, exec_lo, s14
	s_waitcnt vmcnt(0)
	global_load_b64 v[2:3], v[0:1], off offset:16
	s_waitcnt vmcnt(0)
	v_cmp_eq_u64_e32 vcc_lo, 0, v[2:3]
	s_cbranch_vccnz .LBB73_94
; %bb.93:                               ;   in Loop: Header=BB73_29 Depth=1
	global_load_b32 v6, v[0:1], off offset:24
	s_waitcnt vmcnt(0)
	v_and_b32_e32 v0, 0xffffff, v6
	s_waitcnt_vscnt null, 0x0
	global_store_b64 v[2:3], v[6:7], off
	v_readfirstlane_b32 m0, v0
	s_sendmsg sendmsg(MSG_INTERRUPT)
.LBB73_94:                              ;   in Loop: Header=BB73_29 Depth=1
	s_or_b32 exec_lo, exec_lo, s1
	v_add_co_u32 v0, vcc_lo, v24, v31
	v_add_co_ci_u32_e32 v1, vcc_lo, 0, v25, vcc_lo
	s_branch .LBB73_98
	.p2align	6
.LBB73_95:                              ;   in Loop: Header=BB73_98 Depth=2
	s_or_b32 exec_lo, exec_lo, s1
	s_delay_alu instid0(VALU_DEP_1) | instskip(NEXT) | instid1(VALU_DEP_1)
	v_readfirstlane_b32 s1, v2
	s_cmp_eq_u32 s1, 0
	s_cbranch_scc1 .LBB73_97
; %bb.96:                               ;   in Loop: Header=BB73_98 Depth=2
	s_sleep 1
	s_cbranch_execnz .LBB73_98
	s_branch .LBB73_100
	.p2align	6
.LBB73_97:                              ;   in Loop: Header=BB73_29 Depth=1
	s_branch .LBB73_100
.LBB73_98:                              ;   Parent Loop BB73_29 Depth=1
                                        ; =>  This Inner Loop Header: Depth=2
	v_mov_b32_e32 v2, 1
	s_and_saveexec_b32 s1, s0
	s_cbranch_execz .LBB73_95
; %bb.99:                               ;   in Loop: Header=BB73_98 Depth=2
	global_load_b32 v2, v[26:27], off offset:20 glc
	s_waitcnt vmcnt(0)
	buffer_gl1_inv
	buffer_gl0_inv
	v_and_b32_e32 v2, 1, v2
	s_branch .LBB73_95
.LBB73_100:                             ;   in Loop: Header=BB73_29 Depth=1
	global_load_b128 v[0:3], v[0:1], off
	s_and_saveexec_b32 s1, s0
	s_cbranch_execz .LBB73_28
; %bb.101:                              ;   in Loop: Header=BB73_29 Depth=1
	s_clause 0x2
	global_load_b64 v[2:3], v7, s[2:3] offset:40
	global_load_b64 v[14:15], v7, s[2:3] offset:24 glc
	global_load_b64 v[12:13], v7, s[2:3]
	s_waitcnt vmcnt(2)
	v_add_co_u32 v6, vcc_lo, v2, 1
	v_add_co_ci_u32_e32 v16, vcc_lo, 0, v3, vcc_lo
	s_delay_alu instid0(VALU_DEP_2) | instskip(NEXT) | instid1(VALU_DEP_2)
	v_add_co_u32 v10, vcc_lo, v6, s12
	v_add_co_ci_u32_e32 v11, vcc_lo, s13, v16, vcc_lo
	s_delay_alu instid0(VALU_DEP_1) | instskip(SKIP_1) | instid1(VALU_DEP_1)
	v_cmp_eq_u64_e32 vcc_lo, 0, v[10:11]
	v_dual_cndmask_b32 v11, v11, v16 :: v_dual_cndmask_b32 v10, v10, v6
	v_and_b32_e32 v3, v11, v3
	s_delay_alu instid0(VALU_DEP_2) | instskip(NEXT) | instid1(VALU_DEP_1)
	v_and_b32_e32 v2, v10, v2
	v_mul_hi_u32 v6, v2, 24
	v_mul_lo_u32 v2, v2, 24
	s_waitcnt vmcnt(0)
	s_delay_alu instid0(VALU_DEP_1) | instskip(SKIP_2) | instid1(VALU_DEP_1)
	v_add_co_u32 v2, vcc_lo, v12, v2
	v_mov_b32_e32 v12, v14
	v_mul_lo_u32 v3, v3, 24
	v_add_nc_u32_e32 v3, v6, v3
	s_delay_alu instid0(VALU_DEP_1)
	v_add_co_ci_u32_e32 v3, vcc_lo, v13, v3, vcc_lo
	v_mov_b32_e32 v13, v15
	global_store_b64 v[2:3], v[14:15], off
	s_waitcnt_vscnt null, 0x0
	global_atomic_cmpswap_b64 v[12:13], v7, v[10:13], s[2:3] offset:24 glc
	s_waitcnt vmcnt(0)
	v_cmp_ne_u64_e32 vcc_lo, v[12:13], v[14:15]
	s_and_b32 exec_lo, exec_lo, vcc_lo
	s_cbranch_execz .LBB73_28
; %bb.102:                              ;   in Loop: Header=BB73_29 Depth=1
	s_mov_b32 s0, 0
.LBB73_103:                             ;   Parent Loop BB73_29 Depth=1
                                        ; =>  This Inner Loop Header: Depth=2
	s_sleep 1
	global_store_b64 v[2:3], v[12:13], off
	s_waitcnt_vscnt null, 0x0
	global_atomic_cmpswap_b64 v[14:15], v7, v[10:13], s[2:3] offset:24 glc
	s_waitcnt vmcnt(0)
	v_cmp_eq_u64_e32 vcc_lo, v[14:15], v[12:13]
	v_dual_mov_b32 v12, v14 :: v_dual_mov_b32 v13, v15
	s_or_b32 s0, vcc_lo, s0
	s_delay_alu instid0(SALU_CYCLE_1)
	s_and_not1_b32 exec_lo, exec_lo, s0
	s_cbranch_execnz .LBB73_103
	s_branch .LBB73_28
.LBB73_104:
                                        ; implicit-def: $vgpr0_vgpr1
	s_cbranch_execnz .LBB73_106
	s_branch .LBB73_133
.LBB73_105:
	s_branch .LBB73_133
.LBB73_106:
	v_readfirstlane_b32 s0, v32
	v_mov_b32_e32 v7, 0
	v_mov_b32_e32 v8, 0
	s_delay_alu instid0(VALU_DEP_3) | instskip(NEXT) | instid1(VALU_DEP_1)
	v_cmp_eq_u32_e64 s0, s0, v32
	s_and_saveexec_b32 s1, s0
	s_cbranch_execz .LBB73_112
; %bb.107:
	s_waitcnt vmcnt(0)
	v_mov_b32_e32 v0, 0
	s_mov_b32 s4, exec_lo
	global_load_b64 v[9:10], v0, s[2:3] offset:24 glc
	s_waitcnt vmcnt(0)
	buffer_gl1_inv
	buffer_gl0_inv
	s_clause 0x1
	global_load_b64 v[1:2], v0, s[2:3] offset:40
	global_load_b64 v[6:7], v0, s[2:3]
	s_waitcnt vmcnt(1)
	v_and_b32_e32 v1, v1, v9
	v_and_b32_e32 v2, v2, v10
	s_delay_alu instid0(VALU_DEP_2) | instskip(NEXT) | instid1(VALU_DEP_2)
	v_mul_hi_u32 v3, v1, 24
	v_mul_lo_u32 v2, v2, 24
	v_mul_lo_u32 v1, v1, 24
	s_delay_alu instid0(VALU_DEP_2) | instskip(SKIP_1) | instid1(VALU_DEP_2)
	v_add_nc_u32_e32 v2, v3, v2
	s_waitcnt vmcnt(0)
	v_add_co_u32 v1, vcc_lo, v6, v1
	s_delay_alu instid0(VALU_DEP_2)
	v_add_co_ci_u32_e32 v2, vcc_lo, v7, v2, vcc_lo
	global_load_b64 v[7:8], v[1:2], off glc
	s_waitcnt vmcnt(0)
	global_atomic_cmpswap_b64 v[7:8], v0, v[7:10], s[2:3] offset:24 glc
	s_waitcnt vmcnt(0)
	buffer_gl1_inv
	buffer_gl0_inv
	v_cmpx_ne_u64_e64 v[7:8], v[9:10]
	s_cbranch_execz .LBB73_111
; %bb.108:
	s_mov_b32 s5, 0
	.p2align	6
.LBB73_109:                             ; =>This Inner Loop Header: Depth=1
	s_sleep 1
	s_clause 0x1
	global_load_b64 v[1:2], v0, s[2:3] offset:40
	global_load_b64 v[11:12], v0, s[2:3]
	v_dual_mov_b32 v10, v8 :: v_dual_mov_b32 v9, v7
	s_waitcnt vmcnt(1)
	s_delay_alu instid0(VALU_DEP_1) | instskip(SKIP_1) | instid1(VALU_DEP_1)
	v_and_b32_e32 v1, v1, v9
	s_waitcnt vmcnt(0)
	v_mad_u64_u32 v[6:7], null, v1, 24, v[11:12]
	s_delay_alu instid0(VALU_DEP_1) | instskip(NEXT) | instid1(VALU_DEP_1)
	v_dual_mov_b32 v1, v7 :: v_dual_and_b32 v8, v2, v10
	v_mad_u64_u32 v[2:3], null, v8, 24, v[1:2]
	s_delay_alu instid0(VALU_DEP_1)
	v_mov_b32_e32 v7, v2
	global_load_b64 v[7:8], v[6:7], off glc
	s_waitcnt vmcnt(0)
	global_atomic_cmpswap_b64 v[7:8], v0, v[7:10], s[2:3] offset:24 glc
	s_waitcnt vmcnt(0)
	buffer_gl1_inv
	buffer_gl0_inv
	v_cmp_eq_u64_e32 vcc_lo, v[7:8], v[9:10]
	s_or_b32 s5, vcc_lo, s5
	s_delay_alu instid0(SALU_CYCLE_1)
	s_and_not1_b32 exec_lo, exec_lo, s5
	s_cbranch_execnz .LBB73_109
; %bb.110:
	s_or_b32 exec_lo, exec_lo, s5
.LBB73_111:
	s_delay_alu instid0(SALU_CYCLE_1)
	s_or_b32 exec_lo, exec_lo, s4
.LBB73_112:
	s_delay_alu instid0(SALU_CYCLE_1)
	s_or_b32 exec_lo, exec_lo, s1
	v_mov_b32_e32 v6, 0
	v_readfirstlane_b32 s4, v7
	v_readfirstlane_b32 s5, v8
	s_mov_b32 s1, exec_lo
	s_clause 0x1
	global_load_b64 v[9:10], v6, s[2:3] offset:40
	global_load_b128 v[0:3], v6, s[2:3]
	s_waitcnt vmcnt(1)
	v_readfirstlane_b32 s6, v9
	v_readfirstlane_b32 s7, v10
	s_delay_alu instid0(VALU_DEP_1) | instskip(NEXT) | instid1(SALU_CYCLE_1)
	s_and_b64 s[6:7], s[4:5], s[6:7]
	s_mul_i32 s10, s7, 24
	s_mul_hi_u32 s11, s6, 24
	s_mul_i32 s12, s6, 24
	s_add_i32 s11, s11, s10
	s_waitcnt vmcnt(0)
	v_add_co_u32 v8, vcc_lo, v0, s12
	v_add_co_ci_u32_e32 v9, vcc_lo, s11, v1, vcc_lo
	s_and_saveexec_b32 s10, s0
	s_cbranch_execz .LBB73_114
; %bb.113:
	v_dual_mov_b32 v10, s1 :: v_dual_mov_b32 v11, v6
	v_dual_mov_b32 v12, 2 :: v_dual_mov_b32 v13, 1
	global_store_b128 v[8:9], v[10:13], off offset:8
.LBB73_114:
	s_or_b32 exec_lo, exec_lo, s10
	s_lshl_b64 s[6:7], s[6:7], 12
	s_mov_b32 s12, 0
	v_add_co_u32 v2, vcc_lo, v2, s6
	v_add_co_ci_u32_e32 v3, vcc_lo, s7, v3, vcc_lo
	s_mov_b32 s13, s12
	s_delay_alu instid0(VALU_DEP_2)
	v_add_co_u32 v10, vcc_lo, v2, v31
	s_mov_b32 s14, s12
	s_mov_b32 s15, s12
	v_and_or_b32 v4, 0xffffff1f, v4, 32
	v_dual_mov_b32 v7, v6 :: v_dual_mov_b32 v12, s12
	v_readfirstlane_b32 s6, v2
	v_readfirstlane_b32 s7, v3
	v_add_co_ci_u32_e32 v11, vcc_lo, 0, v3, vcc_lo
	v_dual_mov_b32 v13, s13 :: v_dual_mov_b32 v14, s14
	v_mov_b32_e32 v15, s15
	s_clause 0x3
	global_store_b128 v31, v[4:7], s[6:7]
	global_store_b128 v31, v[12:15], s[6:7] offset:16
	global_store_b128 v31, v[12:15], s[6:7] offset:32
	;; [unrolled: 1-line block ×3, first 2 shown]
	s_and_saveexec_b32 s1, s0
	s_cbranch_execz .LBB73_122
; %bb.115:
	v_dual_mov_b32 v6, 0 :: v_dual_mov_b32 v13, s5
	v_mov_b32_e32 v12, s4
	s_clause 0x1
	global_load_b64 v[14:15], v6, s[2:3] offset:32 glc
	global_load_b64 v[2:3], v6, s[2:3] offset:40
	s_waitcnt vmcnt(0)
	v_readfirstlane_b32 s6, v2
	v_readfirstlane_b32 s7, v3
	s_delay_alu instid0(VALU_DEP_1) | instskip(NEXT) | instid1(SALU_CYCLE_1)
	s_and_b64 s[6:7], s[6:7], s[4:5]
	s_mul_i32 s7, s7, 24
	s_mul_hi_u32 s10, s6, 24
	s_mul_i32 s6, s6, 24
	s_add_i32 s10, s10, s7
	v_add_co_u32 v4, vcc_lo, v0, s6
	v_add_co_ci_u32_e32 v5, vcc_lo, s10, v1, vcc_lo
	s_mov_b32 s6, exec_lo
	global_store_b64 v[4:5], v[14:15], off
	s_waitcnt_vscnt null, 0x0
	global_atomic_cmpswap_b64 v[2:3], v6, v[12:15], s[2:3] offset:32 glc
	s_waitcnt vmcnt(0)
	v_cmpx_ne_u64_e64 v[2:3], v[14:15]
	s_cbranch_execz .LBB73_118
; %bb.116:
	s_mov_b32 s7, 0
.LBB73_117:                             ; =>This Inner Loop Header: Depth=1
	v_dual_mov_b32 v0, s4 :: v_dual_mov_b32 v1, s5
	s_sleep 1
	global_store_b64 v[4:5], v[2:3], off
	s_waitcnt_vscnt null, 0x0
	global_atomic_cmpswap_b64 v[0:1], v6, v[0:3], s[2:3] offset:32 glc
	s_waitcnt vmcnt(0)
	v_cmp_eq_u64_e32 vcc_lo, v[0:1], v[2:3]
	v_dual_mov_b32 v3, v1 :: v_dual_mov_b32 v2, v0
	s_or_b32 s7, vcc_lo, s7
	s_delay_alu instid0(SALU_CYCLE_1)
	s_and_not1_b32 exec_lo, exec_lo, s7
	s_cbranch_execnz .LBB73_117
.LBB73_118:
	s_or_b32 exec_lo, exec_lo, s6
	v_mov_b32_e32 v3, 0
	s_mov_b32 s7, exec_lo
	s_mov_b32 s6, exec_lo
	v_mbcnt_lo_u32_b32 v2, s7, 0
	global_load_b64 v[0:1], v3, s[2:3] offset:16
	v_cmpx_eq_u32_e32 0, v2
	s_cbranch_execz .LBB73_120
; %bb.119:
	s_bcnt1_i32_b32 s7, s7
	s_delay_alu instid0(SALU_CYCLE_1)
	v_mov_b32_e32 v2, s7
	s_waitcnt vmcnt(0)
	global_atomic_add_u64 v[0:1], v[2:3], off offset:8
.LBB73_120:
	s_or_b32 exec_lo, exec_lo, s6
	s_waitcnt vmcnt(0)
	global_load_b64 v[2:3], v[0:1], off offset:16
	s_waitcnt vmcnt(0)
	v_cmp_eq_u64_e32 vcc_lo, 0, v[2:3]
	s_cbranch_vccnz .LBB73_122
; %bb.121:
	global_load_b32 v0, v[0:1], off offset:24
	s_waitcnt vmcnt(0)
	v_dual_mov_b32 v1, 0 :: v_dual_and_b32 v4, 0xffffff, v0
	s_waitcnt_vscnt null, 0x0
	global_store_b64 v[2:3], v[0:1], off
	v_readfirstlane_b32 m0, v4
	s_sendmsg sendmsg(MSG_INTERRUPT)
.LBB73_122:
	s_or_b32 exec_lo, exec_lo, s1
	s_branch .LBB73_126
	.p2align	6
.LBB73_123:                             ;   in Loop: Header=BB73_126 Depth=1
	s_or_b32 exec_lo, exec_lo, s1
	s_delay_alu instid0(VALU_DEP_1) | instskip(NEXT) | instid1(VALU_DEP_1)
	v_readfirstlane_b32 s1, v0
	s_cmp_eq_u32 s1, 0
	s_cbranch_scc1 .LBB73_125
; %bb.124:                              ;   in Loop: Header=BB73_126 Depth=1
	s_sleep 1
	s_cbranch_execnz .LBB73_126
	s_branch .LBB73_128
	.p2align	6
.LBB73_125:
	s_branch .LBB73_128
.LBB73_126:                             ; =>This Inner Loop Header: Depth=1
	v_mov_b32_e32 v0, 1
	s_and_saveexec_b32 s1, s0
	s_cbranch_execz .LBB73_123
; %bb.127:                              ;   in Loop: Header=BB73_126 Depth=1
	global_load_b32 v0, v[8:9], off offset:20 glc
	s_waitcnt vmcnt(0)
	buffer_gl1_inv
	buffer_gl0_inv
	v_and_b32_e32 v0, 1, v0
	s_branch .LBB73_123
.LBB73_128:
	global_load_b64 v[0:1], v[10:11], off
	s_and_saveexec_b32 s1, s0
	s_cbranch_execz .LBB73_132
; %bb.129:
	v_mov_b32_e32 v8, 0
	s_clause 0x2
	global_load_b64 v[4:5], v8, s[2:3] offset:40
	global_load_b64 v[9:10], v8, s[2:3] offset:24 glc
	global_load_b64 v[6:7], v8, s[2:3]
	s_waitcnt vmcnt(2)
	v_add_co_u32 v11, vcc_lo, v4, 1
	v_add_co_ci_u32_e32 v12, vcc_lo, 0, v5, vcc_lo
	s_delay_alu instid0(VALU_DEP_2) | instskip(NEXT) | instid1(VALU_DEP_2)
	v_add_co_u32 v2, vcc_lo, v11, s4
	v_add_co_ci_u32_e32 v3, vcc_lo, s5, v12, vcc_lo
	s_delay_alu instid0(VALU_DEP_1) | instskip(SKIP_1) | instid1(VALU_DEP_1)
	v_cmp_eq_u64_e32 vcc_lo, 0, v[2:3]
	v_dual_cndmask_b32 v3, v3, v12 :: v_dual_cndmask_b32 v2, v2, v11
	v_and_b32_e32 v5, v3, v5
	s_delay_alu instid0(VALU_DEP_2) | instskip(NEXT) | instid1(VALU_DEP_2)
	v_and_b32_e32 v4, v2, v4
	v_mul_lo_u32 v5, v5, 24
	s_delay_alu instid0(VALU_DEP_2) | instskip(SKIP_1) | instid1(VALU_DEP_2)
	v_mul_hi_u32 v11, v4, 24
	v_mul_lo_u32 v4, v4, 24
	v_add_nc_u32_e32 v5, v11, v5
	s_waitcnt vmcnt(0)
	s_delay_alu instid0(VALU_DEP_2) | instskip(SKIP_1) | instid1(VALU_DEP_3)
	v_add_co_u32 v6, vcc_lo, v6, v4
	v_mov_b32_e32 v4, v9
	v_add_co_ci_u32_e32 v7, vcc_lo, v7, v5, vcc_lo
	v_mov_b32_e32 v5, v10
	global_store_b64 v[6:7], v[9:10], off
	s_waitcnt_vscnt null, 0x0
	global_atomic_cmpswap_b64 v[4:5], v8, v[2:5], s[2:3] offset:24 glc
	s_waitcnt vmcnt(0)
	v_cmp_ne_u64_e32 vcc_lo, v[4:5], v[9:10]
	s_and_b32 exec_lo, exec_lo, vcc_lo
	s_cbranch_execz .LBB73_132
; %bb.130:
	s_mov_b32 s0, 0
.LBB73_131:                             ; =>This Inner Loop Header: Depth=1
	s_sleep 1
	global_store_b64 v[6:7], v[4:5], off
	s_waitcnt_vscnt null, 0x0
	global_atomic_cmpswap_b64 v[9:10], v8, v[2:5], s[2:3] offset:24 glc
	s_waitcnt vmcnt(0)
	v_cmp_eq_u64_e32 vcc_lo, v[9:10], v[4:5]
	v_dual_mov_b32 v4, v9 :: v_dual_mov_b32 v5, v10
	s_or_b32 s0, vcc_lo, s0
	s_delay_alu instid0(SALU_CYCLE_1)
	s_and_not1_b32 exec_lo, exec_lo, s0
	s_cbranch_execnz .LBB73_131
.LBB73_132:
	s_or_b32 exec_lo, exec_lo, s1
.LBB73_133:
	s_getpc_b64 s[0:1]
	s_add_u32 s0, s0, .str.1@rel32@lo+4
	s_addc_u32 s1, s1, .str.1@rel32@hi+12
	s_mov_b64 s[4:5], 0
	s_cmp_lg_u64 s[0:1], 0
	s_cselect_b32 s6, -1, 0
	s_cmp_eq_u64 s[0:1], 0
	s_cbranch_scc1 .LBB73_137
; %bb.134:
	s_waitcnt vmcnt(0)
	v_mov_b32_e32 v2, 0
	s_getpc_b64 s[0:1]
	s_add_u32 s0, s0, .str.1@rel32@lo+3
	s_addc_u32 s1, s1, .str.1@rel32@hi+11
.LBB73_135:                             ; =>This Inner Loop Header: Depth=1
	global_load_u8 v3, v2, s[0:1] offset:1
	s_add_u32 s4, s0, 1
	s_addc_u32 s5, s1, 0
	s_delay_alu instid0(SALU_CYCLE_1)
	s_mov_b64 s[0:1], s[4:5]
	s_waitcnt vmcnt(0)
	v_cmp_ne_u16_e32 vcc_lo, 0, v3
	s_cbranch_vccnz .LBB73_135
; %bb.136:
	s_getpc_b64 s[0:1]
	s_add_u32 s0, s0, .str.1@rel32@lo+4
	s_addc_u32 s1, s1, .str.1@rel32@hi+12
	s_sub_u32 s0, s4, s0
	s_subb_u32 s1, s5, s1
	s_add_u32 s4, s0, 1
	s_addc_u32 s5, s1, 0
.LBB73_137:
	s_and_b32 vcc_lo, exec_lo, s6
	s_cbranch_vccz .LBB73_215
; %bb.138:
	s_waitcnt vmcnt(0)
	v_dual_mov_b32 v6, 0 :: v_dual_and_b32 v33, 2, v0
	v_dual_mov_b32 v3, v1 :: v_dual_and_b32 v2, -3, v0
	v_dual_mov_b32 v7, 2 :: v_dual_mov_b32 v8, 1
	s_getpc_b64 s[6:7]
	s_add_u32 s6, s6, .str.1@rel32@lo+4
	s_addc_u32 s7, s7, .str.1@rel32@hi+12
	s_branch .LBB73_140
.LBB73_139:                             ;   in Loop: Header=BB73_140 Depth=1
	s_or_b32 exec_lo, exec_lo, s1
	s_sub_u32 s4, s4, s10
	s_subb_u32 s5, s5, s11
	s_add_u32 s6, s6, s10
	s_addc_u32 s7, s7, s11
	s_cmp_lg_u64 s[4:5], 0
	s_cbranch_scc0 .LBB73_216
.LBB73_140:                             ; =>This Loop Header: Depth=1
                                        ;     Child Loop BB73_149 Depth 2
                                        ;     Child Loop BB73_145 Depth 2
	;; [unrolled: 1-line block ×11, first 2 shown]
	v_cmp_lt_u64_e64 s0, s[4:5], 56
	v_cmp_gt_u64_e64 s1, s[4:5], 7
                                        ; implicit-def: $vgpr11_vgpr12
                                        ; implicit-def: $sgpr16
	s_delay_alu instid0(VALU_DEP_2) | instskip(SKIP_2) | instid1(VALU_DEP_1)
	s_and_b32 s0, s0, exec_lo
	s_cselect_b32 s11, s5, 0
	s_cselect_b32 s10, s4, 56
	s_and_b32 vcc_lo, exec_lo, s1
	s_mov_b32 s0, -1
	s_cbranch_vccz .LBB73_147
; %bb.141:                              ;   in Loop: Header=BB73_140 Depth=1
	s_and_not1_b32 vcc_lo, exec_lo, s0
	s_mov_b64 s[0:1], s[6:7]
	s_cbranch_vccz .LBB73_151
.LBB73_142:                             ;   in Loop: Header=BB73_140 Depth=1
	s_cmp_gt_u32 s16, 7
	s_cbranch_scc1 .LBB73_152
.LBB73_143:                             ;   in Loop: Header=BB73_140 Depth=1
	v_mov_b32_e32 v13, 0
	v_mov_b32_e32 v14, 0
	s_cmp_eq_u32 s16, 0
	s_cbranch_scc1 .LBB73_146
; %bb.144:                              ;   in Loop: Header=BB73_140 Depth=1
	s_mov_b64 s[12:13], 0
	s_mov_b64 s[14:15], 0
.LBB73_145:                             ;   Parent Loop BB73_140 Depth=1
                                        ; =>  This Inner Loop Header: Depth=2
	s_delay_alu instid0(SALU_CYCLE_1)
	s_add_u32 s18, s0, s14
	s_addc_u32 s19, s1, s15
	s_add_u32 s14, s14, 1
	global_load_u8 v4, v6, s[18:19]
	s_addc_u32 s15, s15, 0
	s_waitcnt vmcnt(0)
	v_and_b32_e32 v5, 0xffff, v4
	s_delay_alu instid0(VALU_DEP_1) | instskip(SKIP_3) | instid1(VALU_DEP_1)
	v_lshlrev_b64 v[4:5], s12, v[5:6]
	s_add_u32 s12, s12, 8
	s_addc_u32 s13, s13, 0
	s_cmp_lg_u32 s16, s14
	v_or_b32_e32 v13, v4, v13
	s_delay_alu instid0(VALU_DEP_2)
	v_or_b32_e32 v14, v5, v14
	s_cbranch_scc1 .LBB73_145
.LBB73_146:                             ;   in Loop: Header=BB73_140 Depth=1
	s_mov_b32 s17, 0
	s_cbranch_execz .LBB73_153
	s_branch .LBB73_154
.LBB73_147:                             ;   in Loop: Header=BB73_140 Depth=1
	v_mov_b32_e32 v11, 0
	v_mov_b32_e32 v12, 0
	s_cmp_eq_u64 s[4:5], 0
	s_mov_b64 s[0:1], 0
	s_cbranch_scc1 .LBB73_150
; %bb.148:                              ;   in Loop: Header=BB73_140 Depth=1
	v_mov_b32_e32 v11, 0
	v_mov_b32_e32 v12, 0
	s_lshl_b64 s[12:13], s[10:11], 3
	s_mov_b64 s[14:15], s[6:7]
.LBB73_149:                             ;   Parent Loop BB73_140 Depth=1
                                        ; =>  This Inner Loop Header: Depth=2
	global_load_u8 v4, v6, s[14:15]
	s_waitcnt vmcnt(0)
	v_and_b32_e32 v5, 0xffff, v4
	s_delay_alu instid0(VALU_DEP_1)
	v_lshlrev_b64 v[4:5], s0, v[5:6]
	s_add_u32 s0, s0, 8
	s_addc_u32 s1, s1, 0
	s_add_u32 s14, s14, 1
	s_addc_u32 s15, s15, 0
	s_cmp_lg_u32 s12, s0
	v_or_b32_e32 v11, v4, v11
	v_or_b32_e32 v12, v5, v12
	s_cbranch_scc1 .LBB73_149
.LBB73_150:                             ;   in Loop: Header=BB73_140 Depth=1
	s_mov_b32 s16, 0
	s_mov_b64 s[0:1], s[6:7]
	s_cbranch_execnz .LBB73_142
.LBB73_151:                             ;   in Loop: Header=BB73_140 Depth=1
	global_load_b64 v[11:12], v6, s[6:7]
	s_add_i32 s16, s10, -8
	s_add_u32 s0, s6, 8
	s_addc_u32 s1, s7, 0
	s_cmp_gt_u32 s16, 7
	s_cbranch_scc0 .LBB73_143
.LBB73_152:                             ;   in Loop: Header=BB73_140 Depth=1
                                        ; implicit-def: $vgpr13_vgpr14
                                        ; implicit-def: $sgpr17
.LBB73_153:                             ;   in Loop: Header=BB73_140 Depth=1
	global_load_b64 v[13:14], v6, s[0:1]
	s_add_i32 s17, s16, -8
	s_add_u32 s0, s0, 8
	s_addc_u32 s1, s1, 0
.LBB73_154:                             ;   in Loop: Header=BB73_140 Depth=1
	s_cmp_gt_u32 s17, 7
	s_cbranch_scc1 .LBB73_159
; %bb.155:                              ;   in Loop: Header=BB73_140 Depth=1
	v_mov_b32_e32 v15, 0
	v_mov_b32_e32 v16, 0
	s_cmp_eq_u32 s17, 0
	s_cbranch_scc1 .LBB73_158
; %bb.156:                              ;   in Loop: Header=BB73_140 Depth=1
	s_mov_b64 s[12:13], 0
	s_mov_b64 s[14:15], 0
.LBB73_157:                             ;   Parent Loop BB73_140 Depth=1
                                        ; =>  This Inner Loop Header: Depth=2
	s_delay_alu instid0(SALU_CYCLE_1)
	s_add_u32 s18, s0, s14
	s_addc_u32 s19, s1, s15
	s_add_u32 s14, s14, 1
	global_load_u8 v4, v6, s[18:19]
	s_addc_u32 s15, s15, 0
	s_waitcnt vmcnt(0)
	v_and_b32_e32 v5, 0xffff, v4
	s_delay_alu instid0(VALU_DEP_1) | instskip(SKIP_3) | instid1(VALU_DEP_1)
	v_lshlrev_b64 v[4:5], s12, v[5:6]
	s_add_u32 s12, s12, 8
	s_addc_u32 s13, s13, 0
	s_cmp_lg_u32 s17, s14
	v_or_b32_e32 v15, v4, v15
	s_delay_alu instid0(VALU_DEP_2)
	v_or_b32_e32 v16, v5, v16
	s_cbranch_scc1 .LBB73_157
.LBB73_158:                             ;   in Loop: Header=BB73_140 Depth=1
	s_mov_b32 s16, 0
	s_cbranch_execz .LBB73_160
	s_branch .LBB73_161
.LBB73_159:                             ;   in Loop: Header=BB73_140 Depth=1
                                        ; implicit-def: $sgpr16
.LBB73_160:                             ;   in Loop: Header=BB73_140 Depth=1
	global_load_b64 v[15:16], v6, s[0:1]
	s_add_i32 s16, s17, -8
	s_add_u32 s0, s0, 8
	s_addc_u32 s1, s1, 0
.LBB73_161:                             ;   in Loop: Header=BB73_140 Depth=1
	s_cmp_gt_u32 s16, 7
	s_cbranch_scc1 .LBB73_166
; %bb.162:                              ;   in Loop: Header=BB73_140 Depth=1
	v_mov_b32_e32 v17, 0
	v_mov_b32_e32 v18, 0
	s_cmp_eq_u32 s16, 0
	s_cbranch_scc1 .LBB73_165
; %bb.163:                              ;   in Loop: Header=BB73_140 Depth=1
	s_mov_b64 s[12:13], 0
	s_mov_b64 s[14:15], 0
.LBB73_164:                             ;   Parent Loop BB73_140 Depth=1
                                        ; =>  This Inner Loop Header: Depth=2
	s_delay_alu instid0(SALU_CYCLE_1)
	s_add_u32 s18, s0, s14
	s_addc_u32 s19, s1, s15
	s_add_u32 s14, s14, 1
	global_load_u8 v4, v6, s[18:19]
	s_addc_u32 s15, s15, 0
	s_waitcnt vmcnt(0)
	v_and_b32_e32 v5, 0xffff, v4
	s_delay_alu instid0(VALU_DEP_1) | instskip(SKIP_3) | instid1(VALU_DEP_1)
	v_lshlrev_b64 v[4:5], s12, v[5:6]
	s_add_u32 s12, s12, 8
	s_addc_u32 s13, s13, 0
	s_cmp_lg_u32 s16, s14
	v_or_b32_e32 v17, v4, v17
	s_delay_alu instid0(VALU_DEP_2)
	v_or_b32_e32 v18, v5, v18
	s_cbranch_scc1 .LBB73_164
.LBB73_165:                             ;   in Loop: Header=BB73_140 Depth=1
	s_mov_b32 s17, 0
	s_cbranch_execz .LBB73_167
	s_branch .LBB73_168
.LBB73_166:                             ;   in Loop: Header=BB73_140 Depth=1
                                        ; implicit-def: $vgpr17_vgpr18
                                        ; implicit-def: $sgpr17
.LBB73_167:                             ;   in Loop: Header=BB73_140 Depth=1
	global_load_b64 v[17:18], v6, s[0:1]
	s_add_i32 s17, s16, -8
	s_add_u32 s0, s0, 8
	s_addc_u32 s1, s1, 0
.LBB73_168:                             ;   in Loop: Header=BB73_140 Depth=1
	s_cmp_gt_u32 s17, 7
	s_cbranch_scc1 .LBB73_173
; %bb.169:                              ;   in Loop: Header=BB73_140 Depth=1
	v_mov_b32_e32 v19, 0
	v_mov_b32_e32 v20, 0
	s_cmp_eq_u32 s17, 0
	s_cbranch_scc1 .LBB73_172
; %bb.170:                              ;   in Loop: Header=BB73_140 Depth=1
	s_mov_b64 s[12:13], 0
	s_mov_b64 s[14:15], 0
.LBB73_171:                             ;   Parent Loop BB73_140 Depth=1
                                        ; =>  This Inner Loop Header: Depth=2
	s_delay_alu instid0(SALU_CYCLE_1)
	s_add_u32 s18, s0, s14
	s_addc_u32 s19, s1, s15
	s_add_u32 s14, s14, 1
	global_load_u8 v4, v6, s[18:19]
	s_addc_u32 s15, s15, 0
	s_waitcnt vmcnt(0)
	v_and_b32_e32 v5, 0xffff, v4
	s_delay_alu instid0(VALU_DEP_1) | instskip(SKIP_3) | instid1(VALU_DEP_1)
	v_lshlrev_b64 v[4:5], s12, v[5:6]
	s_add_u32 s12, s12, 8
	s_addc_u32 s13, s13, 0
	s_cmp_lg_u32 s17, s14
	v_or_b32_e32 v19, v4, v19
	s_delay_alu instid0(VALU_DEP_2)
	v_or_b32_e32 v20, v5, v20
	s_cbranch_scc1 .LBB73_171
.LBB73_172:                             ;   in Loop: Header=BB73_140 Depth=1
	s_mov_b32 s16, 0
	s_cbranch_execz .LBB73_174
	s_branch .LBB73_175
.LBB73_173:                             ;   in Loop: Header=BB73_140 Depth=1
                                        ; implicit-def: $sgpr16
.LBB73_174:                             ;   in Loop: Header=BB73_140 Depth=1
	global_load_b64 v[19:20], v6, s[0:1]
	s_add_i32 s16, s17, -8
	s_add_u32 s0, s0, 8
	s_addc_u32 s1, s1, 0
.LBB73_175:                             ;   in Loop: Header=BB73_140 Depth=1
	s_cmp_gt_u32 s16, 7
	s_cbranch_scc1 .LBB73_180
; %bb.176:                              ;   in Loop: Header=BB73_140 Depth=1
	v_mov_b32_e32 v21, 0
	v_mov_b32_e32 v22, 0
	s_cmp_eq_u32 s16, 0
	s_cbranch_scc1 .LBB73_179
; %bb.177:                              ;   in Loop: Header=BB73_140 Depth=1
	s_mov_b64 s[12:13], 0
	s_mov_b64 s[14:15], 0
.LBB73_178:                             ;   Parent Loop BB73_140 Depth=1
                                        ; =>  This Inner Loop Header: Depth=2
	s_delay_alu instid0(SALU_CYCLE_1)
	s_add_u32 s18, s0, s14
	s_addc_u32 s19, s1, s15
	s_add_u32 s14, s14, 1
	global_load_u8 v4, v6, s[18:19]
	s_addc_u32 s15, s15, 0
	s_waitcnt vmcnt(0)
	v_and_b32_e32 v5, 0xffff, v4
	s_delay_alu instid0(VALU_DEP_1) | instskip(SKIP_3) | instid1(VALU_DEP_1)
	v_lshlrev_b64 v[4:5], s12, v[5:6]
	s_add_u32 s12, s12, 8
	s_addc_u32 s13, s13, 0
	s_cmp_lg_u32 s16, s14
	v_or_b32_e32 v21, v4, v21
	s_delay_alu instid0(VALU_DEP_2)
	v_or_b32_e32 v22, v5, v22
	s_cbranch_scc1 .LBB73_178
.LBB73_179:                             ;   in Loop: Header=BB73_140 Depth=1
	s_mov_b32 s17, 0
	s_cbranch_execz .LBB73_181
	s_branch .LBB73_182
.LBB73_180:                             ;   in Loop: Header=BB73_140 Depth=1
                                        ; implicit-def: $vgpr21_vgpr22
                                        ; implicit-def: $sgpr17
.LBB73_181:                             ;   in Loop: Header=BB73_140 Depth=1
	global_load_b64 v[21:22], v6, s[0:1]
	s_add_i32 s17, s16, -8
	s_add_u32 s0, s0, 8
	s_addc_u32 s1, s1, 0
.LBB73_182:                             ;   in Loop: Header=BB73_140 Depth=1
	s_cmp_gt_u32 s17, 7
	s_cbranch_scc1 .LBB73_187
; %bb.183:                              ;   in Loop: Header=BB73_140 Depth=1
	v_mov_b32_e32 v23, 0
	v_mov_b32_e32 v24, 0
	s_cmp_eq_u32 s17, 0
	s_cbranch_scc1 .LBB73_186
; %bb.184:                              ;   in Loop: Header=BB73_140 Depth=1
	s_mov_b64 s[12:13], 0
	s_mov_b64 s[14:15], s[0:1]
.LBB73_185:                             ;   Parent Loop BB73_140 Depth=1
                                        ; =>  This Inner Loop Header: Depth=2
	global_load_u8 v4, v6, s[14:15]
	s_add_i32 s17, s17, -1
	s_waitcnt vmcnt(0)
	v_and_b32_e32 v5, 0xffff, v4
	s_delay_alu instid0(VALU_DEP_1)
	v_lshlrev_b64 v[4:5], s12, v[5:6]
	s_add_u32 s12, s12, 8
	s_addc_u32 s13, s13, 0
	s_add_u32 s14, s14, 1
	s_addc_u32 s15, s15, 0
	s_cmp_lg_u32 s17, 0
	v_or_b32_e32 v23, v4, v23
	v_or_b32_e32 v24, v5, v24
	s_cbranch_scc1 .LBB73_185
.LBB73_186:                             ;   in Loop: Header=BB73_140 Depth=1
	s_cbranch_execz .LBB73_188
	s_branch .LBB73_189
.LBB73_187:                             ;   in Loop: Header=BB73_140 Depth=1
.LBB73_188:                             ;   in Loop: Header=BB73_140 Depth=1
	global_load_b64 v[23:24], v6, s[0:1]
.LBB73_189:                             ;   in Loop: Header=BB73_140 Depth=1
	v_readfirstlane_b32 s0, v32
	s_waitcnt vmcnt(0)
	v_mov_b32_e32 v4, 0
	v_mov_b32_e32 v5, 0
	s_delay_alu instid0(VALU_DEP_3) | instskip(NEXT) | instid1(VALU_DEP_1)
	v_cmp_eq_u32_e64 s0, s0, v32
	s_and_saveexec_b32 s1, s0
	s_cbranch_execz .LBB73_195
; %bb.190:                              ;   in Loop: Header=BB73_140 Depth=1
	global_load_b64 v[27:28], v6, s[2:3] offset:24 glc
	s_waitcnt vmcnt(0)
	buffer_gl1_inv
	buffer_gl0_inv
	s_clause 0x1
	global_load_b64 v[4:5], v6, s[2:3] offset:40
	global_load_b64 v[9:10], v6, s[2:3]
	s_mov_b32 s12, exec_lo
	s_waitcnt vmcnt(1)
	v_and_b32_e32 v5, v5, v28
	v_and_b32_e32 v4, v4, v27
	s_delay_alu instid0(VALU_DEP_2) | instskip(NEXT) | instid1(VALU_DEP_2)
	v_mul_lo_u32 v5, v5, 24
	v_mul_hi_u32 v25, v4, 24
	v_mul_lo_u32 v4, v4, 24
	s_delay_alu instid0(VALU_DEP_2) | instskip(SKIP_1) | instid1(VALU_DEP_2)
	v_add_nc_u32_e32 v5, v25, v5
	s_waitcnt vmcnt(0)
	v_add_co_u32 v4, vcc_lo, v9, v4
	s_delay_alu instid0(VALU_DEP_2)
	v_add_co_ci_u32_e32 v5, vcc_lo, v10, v5, vcc_lo
	global_load_b64 v[25:26], v[4:5], off glc
	s_waitcnt vmcnt(0)
	global_atomic_cmpswap_b64 v[4:5], v6, v[25:28], s[2:3] offset:24 glc
	s_waitcnt vmcnt(0)
	buffer_gl1_inv
	buffer_gl0_inv
	v_cmpx_ne_u64_e64 v[4:5], v[27:28]
	s_cbranch_execz .LBB73_194
; %bb.191:                              ;   in Loop: Header=BB73_140 Depth=1
	s_mov_b32 s13, 0
	.p2align	6
.LBB73_192:                             ;   Parent Loop BB73_140 Depth=1
                                        ; =>  This Inner Loop Header: Depth=2
	s_sleep 1
	s_clause 0x1
	global_load_b64 v[9:10], v6, s[2:3] offset:40
	global_load_b64 v[25:26], v6, s[2:3]
	v_dual_mov_b32 v28, v5 :: v_dual_mov_b32 v27, v4
	s_waitcnt vmcnt(1)
	s_delay_alu instid0(VALU_DEP_1) | instskip(SKIP_1) | instid1(VALU_DEP_1)
	v_and_b32_e32 v9, v9, v27
	s_waitcnt vmcnt(0)
	v_mad_u64_u32 v[4:5], null, v9, 24, v[25:26]
	v_and_b32_e32 v25, v10, v28
	s_delay_alu instid0(VALU_DEP_1) | instskip(NEXT) | instid1(VALU_DEP_1)
	v_mad_u64_u32 v[9:10], null, v25, 24, v[5:6]
	v_mov_b32_e32 v5, v9
	global_load_b64 v[25:26], v[4:5], off glc
	s_waitcnt vmcnt(0)
	global_atomic_cmpswap_b64 v[4:5], v6, v[25:28], s[2:3] offset:24 glc
	s_waitcnt vmcnt(0)
	buffer_gl1_inv
	buffer_gl0_inv
	v_cmp_eq_u64_e32 vcc_lo, v[4:5], v[27:28]
	s_or_b32 s13, vcc_lo, s13
	s_delay_alu instid0(SALU_CYCLE_1)
	s_and_not1_b32 exec_lo, exec_lo, s13
	s_cbranch_execnz .LBB73_192
; %bb.193:                              ;   in Loop: Header=BB73_140 Depth=1
	s_or_b32 exec_lo, exec_lo, s13
.LBB73_194:                             ;   in Loop: Header=BB73_140 Depth=1
	s_delay_alu instid0(SALU_CYCLE_1)
	s_or_b32 exec_lo, exec_lo, s12
.LBB73_195:                             ;   in Loop: Header=BB73_140 Depth=1
	s_delay_alu instid0(SALU_CYCLE_1)
	s_or_b32 exec_lo, exec_lo, s1
	s_clause 0x1
	global_load_b64 v[9:10], v6, s[2:3] offset:40
	global_load_b128 v[25:28], v6, s[2:3]
	v_readfirstlane_b32 s12, v4
	v_readfirstlane_b32 s13, v5
	s_mov_b32 s1, exec_lo
	s_waitcnt vmcnt(1)
	v_readfirstlane_b32 s14, v9
	v_readfirstlane_b32 s15, v10
	s_delay_alu instid0(VALU_DEP_1) | instskip(NEXT) | instid1(SALU_CYCLE_1)
	s_and_b64 s[14:15], s[12:13], s[14:15]
	s_mul_i32 s16, s15, 24
	s_mul_hi_u32 s17, s14, 24
	s_mul_i32 s18, s14, 24
	s_add_i32 s17, s17, s16
	s_waitcnt vmcnt(0)
	v_add_co_u32 v29, vcc_lo, v25, s18
	v_add_co_ci_u32_e32 v30, vcc_lo, s17, v26, vcc_lo
	s_and_saveexec_b32 s16, s0
	s_cbranch_execz .LBB73_197
; %bb.196:                              ;   in Loop: Header=BB73_140 Depth=1
	v_mov_b32_e32 v5, s1
	global_store_b128 v[29:30], v[5:8], off offset:8
.LBB73_197:                             ;   in Loop: Header=BB73_140 Depth=1
	s_or_b32 exec_lo, exec_lo, s16
	s_lshl_b64 s[14:15], s[14:15], 12
	v_cmp_gt_u64_e64 vcc_lo, s[4:5], 56
	v_or_b32_e32 v5, v2, v33
	v_add_co_u32 v27, s1, v27, s14
	s_delay_alu instid0(VALU_DEP_1)
	v_add_co_ci_u32_e64 v28, s1, s15, v28, s1
	s_lshl_b32 s1, s10, 2
	v_or_b32_e32 v4, 0, v3
	v_cndmask_b32_e32 v2, v5, v2, vcc_lo
	s_add_i32 s1, s1, 28
	v_readfirstlane_b32 s14, v27
	s_and_b32 s1, s1, 0x1e0
	v_cndmask_b32_e32 v10, v4, v3, vcc_lo
	v_readfirstlane_b32 s15, v28
	v_and_or_b32 v9, 0xffffff1f, v2, s1
	s_clause 0x3
	global_store_b128 v31, v[9:12], s[14:15]
	global_store_b128 v31, v[13:16], s[14:15] offset:16
	global_store_b128 v31, v[17:20], s[14:15] offset:32
	;; [unrolled: 1-line block ×3, first 2 shown]
	s_and_saveexec_b32 s1, s0
	s_cbranch_execz .LBB73_205
; %bb.198:                              ;   in Loop: Header=BB73_140 Depth=1
	s_clause 0x1
	global_load_b64 v[13:14], v6, s[2:3] offset:32 glc
	global_load_b64 v[2:3], v6, s[2:3] offset:40
	v_dual_mov_b32 v11, s12 :: v_dual_mov_b32 v12, s13
	s_waitcnt vmcnt(0)
	v_readfirstlane_b32 s14, v2
	v_readfirstlane_b32 s15, v3
	s_delay_alu instid0(VALU_DEP_1) | instskip(NEXT) | instid1(SALU_CYCLE_1)
	s_and_b64 s[14:15], s[14:15], s[12:13]
	s_mul_i32 s15, s15, 24
	s_mul_hi_u32 s16, s14, 24
	s_mul_i32 s14, s14, 24
	s_add_i32 s16, s16, s15
	v_add_co_u32 v9, vcc_lo, v25, s14
	v_add_co_ci_u32_e32 v10, vcc_lo, s16, v26, vcc_lo
	s_mov_b32 s14, exec_lo
	global_store_b64 v[9:10], v[13:14], off
	s_waitcnt_vscnt null, 0x0
	global_atomic_cmpswap_b64 v[4:5], v6, v[11:14], s[2:3] offset:32 glc
	s_waitcnt vmcnt(0)
	v_cmpx_ne_u64_e64 v[4:5], v[13:14]
	s_cbranch_execz .LBB73_201
; %bb.199:                              ;   in Loop: Header=BB73_140 Depth=1
	s_mov_b32 s15, 0
.LBB73_200:                             ;   Parent Loop BB73_140 Depth=1
                                        ; =>  This Inner Loop Header: Depth=2
	v_dual_mov_b32 v2, s12 :: v_dual_mov_b32 v3, s13
	s_sleep 1
	global_store_b64 v[9:10], v[4:5], off
	s_waitcnt_vscnt null, 0x0
	global_atomic_cmpswap_b64 v[2:3], v6, v[2:5], s[2:3] offset:32 glc
	s_waitcnt vmcnt(0)
	v_cmp_eq_u64_e32 vcc_lo, v[2:3], v[4:5]
	v_dual_mov_b32 v5, v3 :: v_dual_mov_b32 v4, v2
	s_or_b32 s15, vcc_lo, s15
	s_delay_alu instid0(SALU_CYCLE_1)
	s_and_not1_b32 exec_lo, exec_lo, s15
	s_cbranch_execnz .LBB73_200
.LBB73_201:                             ;   in Loop: Header=BB73_140 Depth=1
	s_or_b32 exec_lo, exec_lo, s14
	global_load_b64 v[2:3], v6, s[2:3] offset:16
	s_mov_b32 s15, exec_lo
	s_mov_b32 s14, exec_lo
	v_mbcnt_lo_u32_b32 v4, s15, 0
	s_delay_alu instid0(VALU_DEP_1)
	v_cmpx_eq_u32_e32 0, v4
	s_cbranch_execz .LBB73_203
; %bb.202:                              ;   in Loop: Header=BB73_140 Depth=1
	s_bcnt1_i32_b32 s15, s15
	s_delay_alu instid0(SALU_CYCLE_1)
	v_mov_b32_e32 v5, s15
	s_waitcnt vmcnt(0)
	global_atomic_add_u64 v[2:3], v[5:6], off offset:8
.LBB73_203:                             ;   in Loop: Header=BB73_140 Depth=1
	s_or_b32 exec_lo, exec_lo, s14
	s_waitcnt vmcnt(0)
	global_load_b64 v[9:10], v[2:3], off offset:16
	s_waitcnt vmcnt(0)
	v_cmp_eq_u64_e32 vcc_lo, 0, v[9:10]
	s_cbranch_vccnz .LBB73_205
; %bb.204:                              ;   in Loop: Header=BB73_140 Depth=1
	global_load_b32 v5, v[2:3], off offset:24
	s_waitcnt vmcnt(0)
	v_and_b32_e32 v2, 0xffffff, v5
	s_waitcnt_vscnt null, 0x0
	global_store_b64 v[9:10], v[5:6], off
	v_readfirstlane_b32 m0, v2
	s_sendmsg sendmsg(MSG_INTERRUPT)
.LBB73_205:                             ;   in Loop: Header=BB73_140 Depth=1
	s_or_b32 exec_lo, exec_lo, s1
	v_add_co_u32 v2, vcc_lo, v27, v31
	v_add_co_ci_u32_e32 v3, vcc_lo, 0, v28, vcc_lo
	s_branch .LBB73_209
	.p2align	6
.LBB73_206:                             ;   in Loop: Header=BB73_209 Depth=2
	s_or_b32 exec_lo, exec_lo, s1
	s_delay_alu instid0(VALU_DEP_1) | instskip(NEXT) | instid1(VALU_DEP_1)
	v_readfirstlane_b32 s1, v4
	s_cmp_eq_u32 s1, 0
	s_cbranch_scc1 .LBB73_208
; %bb.207:                              ;   in Loop: Header=BB73_209 Depth=2
	s_sleep 1
	s_cbranch_execnz .LBB73_209
	s_branch .LBB73_211
	.p2align	6
.LBB73_208:                             ;   in Loop: Header=BB73_140 Depth=1
	s_branch .LBB73_211
.LBB73_209:                             ;   Parent Loop BB73_140 Depth=1
                                        ; =>  This Inner Loop Header: Depth=2
	v_mov_b32_e32 v4, 1
	s_and_saveexec_b32 s1, s0
	s_cbranch_execz .LBB73_206
; %bb.210:                              ;   in Loop: Header=BB73_209 Depth=2
	global_load_b32 v4, v[29:30], off offset:20 glc
	s_waitcnt vmcnt(0)
	buffer_gl1_inv
	buffer_gl0_inv
	v_and_b32_e32 v4, 1, v4
	s_branch .LBB73_206
.LBB73_211:                             ;   in Loop: Header=BB73_140 Depth=1
	global_load_b128 v[2:5], v[2:3], off
	s_and_saveexec_b32 s1, s0
	s_cbranch_execz .LBB73_139
; %bb.212:                              ;   in Loop: Header=BB73_140 Depth=1
	s_clause 0x2
	global_load_b64 v[4:5], v6, s[2:3] offset:40
	global_load_b64 v[13:14], v6, s[2:3] offset:24 glc
	global_load_b64 v[11:12], v6, s[2:3]
	s_waitcnt vmcnt(2)
	v_add_co_u32 v15, vcc_lo, v4, 1
	v_add_co_ci_u32_e32 v16, vcc_lo, 0, v5, vcc_lo
	s_delay_alu instid0(VALU_DEP_2) | instskip(NEXT) | instid1(VALU_DEP_2)
	v_add_co_u32 v9, vcc_lo, v15, s12
	v_add_co_ci_u32_e32 v10, vcc_lo, s13, v16, vcc_lo
	s_delay_alu instid0(VALU_DEP_1) | instskip(SKIP_1) | instid1(VALU_DEP_1)
	v_cmp_eq_u64_e32 vcc_lo, 0, v[9:10]
	v_dual_cndmask_b32 v10, v10, v16 :: v_dual_cndmask_b32 v9, v9, v15
	v_and_b32_e32 v5, v10, v5
	s_delay_alu instid0(VALU_DEP_2) | instskip(NEXT) | instid1(VALU_DEP_2)
	v_and_b32_e32 v4, v9, v4
	v_mul_lo_u32 v5, v5, 24
	s_delay_alu instid0(VALU_DEP_2) | instskip(SKIP_1) | instid1(VALU_DEP_2)
	v_mul_hi_u32 v15, v4, 24
	v_mul_lo_u32 v4, v4, 24
	v_add_nc_u32_e32 v5, v15, v5
	s_waitcnt vmcnt(0)
	s_delay_alu instid0(VALU_DEP_2) | instskip(SKIP_1) | instid1(VALU_DEP_3)
	v_add_co_u32 v4, vcc_lo, v11, v4
	v_mov_b32_e32 v11, v13
	v_add_co_ci_u32_e32 v5, vcc_lo, v12, v5, vcc_lo
	v_mov_b32_e32 v12, v14
	global_store_b64 v[4:5], v[13:14], off
	s_waitcnt_vscnt null, 0x0
	global_atomic_cmpswap_b64 v[11:12], v6, v[9:12], s[2:3] offset:24 glc
	s_waitcnt vmcnt(0)
	v_cmp_ne_u64_e32 vcc_lo, v[11:12], v[13:14]
	s_and_b32 exec_lo, exec_lo, vcc_lo
	s_cbranch_execz .LBB73_139
; %bb.213:                              ;   in Loop: Header=BB73_140 Depth=1
	s_mov_b32 s0, 0
.LBB73_214:                             ;   Parent Loop BB73_140 Depth=1
                                        ; =>  This Inner Loop Header: Depth=2
	s_sleep 1
	global_store_b64 v[4:5], v[11:12], off
	s_waitcnt_vscnt null, 0x0
	global_atomic_cmpswap_b64 v[13:14], v6, v[9:12], s[2:3] offset:24 glc
	s_waitcnt vmcnt(0)
	v_cmp_eq_u64_e32 vcc_lo, v[13:14], v[11:12]
	v_dual_mov_b32 v11, v13 :: v_dual_mov_b32 v12, v14
	s_or_b32 s0, vcc_lo, s0
	s_delay_alu instid0(SALU_CYCLE_1)
	s_and_not1_b32 exec_lo, exec_lo, s0
	s_cbranch_execnz .LBB73_214
	s_branch .LBB73_139
.LBB73_215:
                                        ; implicit-def: $vgpr2_vgpr3
	s_cbranch_execnz .LBB73_217
	s_branch .LBB73_244
.LBB73_216:
	s_branch .LBB73_244
.LBB73_217:
	v_readfirstlane_b32 s0, v32
	v_mov_b32_e32 v8, 0
	v_mov_b32_e32 v9, 0
	s_delay_alu instid0(VALU_DEP_3) | instskip(NEXT) | instid1(VALU_DEP_1)
	v_cmp_eq_u32_e64 s0, s0, v32
	s_and_saveexec_b32 s1, s0
	s_cbranch_execz .LBB73_223
; %bb.218:
	s_waitcnt vmcnt(0)
	v_mov_b32_e32 v2, 0
	s_mov_b32 s4, exec_lo
	global_load_b64 v[5:6], v2, s[2:3] offset:24 glc
	s_waitcnt vmcnt(0)
	buffer_gl1_inv
	buffer_gl0_inv
	s_clause 0x1
	global_load_b64 v[3:4], v2, s[2:3] offset:40
	global_load_b64 v[7:8], v2, s[2:3]
	s_waitcnt vmcnt(1)
	v_and_b32_e32 v3, v3, v5
	v_and_b32_e32 v4, v4, v6
	s_delay_alu instid0(VALU_DEP_2) | instskip(NEXT) | instid1(VALU_DEP_2)
	v_mul_hi_u32 v9, v3, 24
	v_mul_lo_u32 v4, v4, 24
	v_mul_lo_u32 v3, v3, 24
	s_delay_alu instid0(VALU_DEP_2) | instskip(SKIP_1) | instid1(VALU_DEP_2)
	v_add_nc_u32_e32 v4, v9, v4
	s_waitcnt vmcnt(0)
	v_add_co_u32 v3, vcc_lo, v7, v3
	s_delay_alu instid0(VALU_DEP_2)
	v_add_co_ci_u32_e32 v4, vcc_lo, v8, v4, vcc_lo
	global_load_b64 v[3:4], v[3:4], off glc
	s_waitcnt vmcnt(0)
	global_atomic_cmpswap_b64 v[8:9], v2, v[3:6], s[2:3] offset:24 glc
	s_waitcnt vmcnt(0)
	buffer_gl1_inv
	buffer_gl0_inv
	v_cmpx_ne_u64_e64 v[8:9], v[5:6]
	s_cbranch_execz .LBB73_222
; %bb.219:
	s_mov_b32 s5, 0
	.p2align	6
.LBB73_220:                             ; =>This Inner Loop Header: Depth=1
	s_sleep 1
	s_clause 0x1
	global_load_b64 v[3:4], v2, s[2:3] offset:40
	global_load_b64 v[10:11], v2, s[2:3]
	v_dual_mov_b32 v5, v8 :: v_dual_mov_b32 v6, v9
	s_waitcnt vmcnt(1)
	s_delay_alu instid0(VALU_DEP_1) | instskip(NEXT) | instid1(VALU_DEP_2)
	v_and_b32_e32 v3, v3, v5
	v_and_b32_e32 v4, v4, v6
	s_waitcnt vmcnt(0)
	s_delay_alu instid0(VALU_DEP_2) | instskip(NEXT) | instid1(VALU_DEP_1)
	v_mad_u64_u32 v[7:8], null, v3, 24, v[10:11]
	v_mov_b32_e32 v3, v8
	s_delay_alu instid0(VALU_DEP_1)
	v_mad_u64_u32 v[8:9], null, v4, 24, v[3:4]
	global_load_b64 v[3:4], v[7:8], off glc
	s_waitcnt vmcnt(0)
	global_atomic_cmpswap_b64 v[8:9], v2, v[3:6], s[2:3] offset:24 glc
	s_waitcnt vmcnt(0)
	buffer_gl1_inv
	buffer_gl0_inv
	v_cmp_eq_u64_e32 vcc_lo, v[8:9], v[5:6]
	s_or_b32 s5, vcc_lo, s5
	s_delay_alu instid0(SALU_CYCLE_1)
	s_and_not1_b32 exec_lo, exec_lo, s5
	s_cbranch_execnz .LBB73_220
; %bb.221:
	s_or_b32 exec_lo, exec_lo, s5
.LBB73_222:
	s_delay_alu instid0(SALU_CYCLE_1)
	s_or_b32 exec_lo, exec_lo, s4
.LBB73_223:
	s_delay_alu instid0(SALU_CYCLE_1)
	s_or_b32 exec_lo, exec_lo, s1
	s_waitcnt vmcnt(0)
	v_mov_b32_e32 v2, 0
	v_readfirstlane_b32 s4, v8
	v_readfirstlane_b32 s5, v9
	s_mov_b32 s1, exec_lo
	s_clause 0x1
	global_load_b64 v[10:11], v2, s[2:3] offset:40
	global_load_b128 v[4:7], v2, s[2:3]
	s_waitcnt vmcnt(1)
	v_readfirstlane_b32 s6, v10
	v_readfirstlane_b32 s7, v11
	s_delay_alu instid0(VALU_DEP_1) | instskip(NEXT) | instid1(SALU_CYCLE_1)
	s_and_b64 s[6:7], s[4:5], s[6:7]
	s_mul_i32 s10, s7, 24
	s_mul_hi_u32 s11, s6, 24
	s_mul_i32 s12, s6, 24
	s_add_i32 s11, s11, s10
	s_waitcnt vmcnt(0)
	v_add_co_u32 v8, vcc_lo, v4, s12
	v_add_co_ci_u32_e32 v9, vcc_lo, s11, v5, vcc_lo
	s_and_saveexec_b32 s10, s0
	s_cbranch_execz .LBB73_225
; %bb.224:
	v_dual_mov_b32 v10, s1 :: v_dual_mov_b32 v11, v2
	v_dual_mov_b32 v12, 2 :: v_dual_mov_b32 v13, 1
	global_store_b128 v[8:9], v[10:13], off offset:8
.LBB73_225:
	s_or_b32 exec_lo, exec_lo, s10
	s_lshl_b64 s[6:7], s[6:7], 12
	s_mov_b32 s12, 0
	v_add_co_u32 v6, vcc_lo, v6, s6
	v_add_co_ci_u32_e32 v7, vcc_lo, s7, v7, vcc_lo
	s_mov_b32 s13, s12
	s_delay_alu instid0(VALU_DEP_2)
	v_readfirstlane_b32 s6, v6
	v_add_co_u32 v6, vcc_lo, v6, v31
	s_mov_b32 s14, s12
	s_mov_b32 s15, s12
	v_and_or_b32 v0, 0xffffff1f, v0, 32
	v_dual_mov_b32 v3, v2 :: v_dual_mov_b32 v10, s12
	v_readfirstlane_b32 s7, v7
	v_add_co_ci_u32_e32 v7, vcc_lo, 0, v7, vcc_lo
	v_dual_mov_b32 v11, s13 :: v_dual_mov_b32 v12, s14
	v_mov_b32_e32 v13, s15
	s_clause 0x3
	global_store_b128 v31, v[0:3], s[6:7]
	global_store_b128 v31, v[10:13], s[6:7] offset:16
	global_store_b128 v31, v[10:13], s[6:7] offset:32
	;; [unrolled: 1-line block ×3, first 2 shown]
	s_and_saveexec_b32 s1, s0
	s_cbranch_execz .LBB73_233
; %bb.226:
	v_dual_mov_b32 v10, 0 :: v_dual_mov_b32 v11, s4
	v_mov_b32_e32 v12, s5
	s_clause 0x1
	global_load_b64 v[13:14], v10, s[2:3] offset:32 glc
	global_load_b64 v[0:1], v10, s[2:3] offset:40
	s_waitcnt vmcnt(0)
	v_readfirstlane_b32 s6, v0
	v_readfirstlane_b32 s7, v1
	s_delay_alu instid0(VALU_DEP_1) | instskip(NEXT) | instid1(SALU_CYCLE_1)
	s_and_b64 s[6:7], s[6:7], s[4:5]
	s_mul_i32 s7, s7, 24
	s_mul_hi_u32 s10, s6, 24
	s_mul_i32 s6, s6, 24
	s_add_i32 s10, s10, s7
	v_add_co_u32 v4, vcc_lo, v4, s6
	v_add_co_ci_u32_e32 v5, vcc_lo, s10, v5, vcc_lo
	s_mov_b32 s6, exec_lo
	global_store_b64 v[4:5], v[13:14], off
	s_waitcnt_vscnt null, 0x0
	global_atomic_cmpswap_b64 v[2:3], v10, v[11:14], s[2:3] offset:32 glc
	s_waitcnt vmcnt(0)
	v_cmpx_ne_u64_e64 v[2:3], v[13:14]
	s_cbranch_execz .LBB73_229
; %bb.227:
	s_mov_b32 s7, 0
.LBB73_228:                             ; =>This Inner Loop Header: Depth=1
	v_dual_mov_b32 v0, s4 :: v_dual_mov_b32 v1, s5
	s_sleep 1
	global_store_b64 v[4:5], v[2:3], off
	s_waitcnt_vscnt null, 0x0
	global_atomic_cmpswap_b64 v[0:1], v10, v[0:3], s[2:3] offset:32 glc
	s_waitcnt vmcnt(0)
	v_cmp_eq_u64_e32 vcc_lo, v[0:1], v[2:3]
	v_dual_mov_b32 v3, v1 :: v_dual_mov_b32 v2, v0
	s_or_b32 s7, vcc_lo, s7
	s_delay_alu instid0(SALU_CYCLE_1)
	s_and_not1_b32 exec_lo, exec_lo, s7
	s_cbranch_execnz .LBB73_228
.LBB73_229:
	s_or_b32 exec_lo, exec_lo, s6
	v_mov_b32_e32 v3, 0
	s_mov_b32 s7, exec_lo
	s_mov_b32 s6, exec_lo
	v_mbcnt_lo_u32_b32 v2, s7, 0
	global_load_b64 v[0:1], v3, s[2:3] offset:16
	v_cmpx_eq_u32_e32 0, v2
	s_cbranch_execz .LBB73_231
; %bb.230:
	s_bcnt1_i32_b32 s7, s7
	s_delay_alu instid0(SALU_CYCLE_1)
	v_mov_b32_e32 v2, s7
	s_waitcnt vmcnt(0)
	global_atomic_add_u64 v[0:1], v[2:3], off offset:8
.LBB73_231:
	s_or_b32 exec_lo, exec_lo, s6
	s_waitcnt vmcnt(0)
	global_load_b64 v[2:3], v[0:1], off offset:16
	s_waitcnt vmcnt(0)
	v_cmp_eq_u64_e32 vcc_lo, 0, v[2:3]
	s_cbranch_vccnz .LBB73_233
; %bb.232:
	global_load_b32 v0, v[0:1], off offset:24
	s_waitcnt vmcnt(0)
	v_dual_mov_b32 v1, 0 :: v_dual_and_b32 v4, 0xffffff, v0
	s_waitcnt_vscnt null, 0x0
	global_store_b64 v[2:3], v[0:1], off
	v_readfirstlane_b32 m0, v4
	s_sendmsg sendmsg(MSG_INTERRUPT)
.LBB73_233:
	s_or_b32 exec_lo, exec_lo, s1
	s_branch .LBB73_237
	.p2align	6
.LBB73_234:                             ;   in Loop: Header=BB73_237 Depth=1
	s_or_b32 exec_lo, exec_lo, s1
	s_delay_alu instid0(VALU_DEP_1) | instskip(NEXT) | instid1(VALU_DEP_1)
	v_readfirstlane_b32 s1, v0
	s_cmp_eq_u32 s1, 0
	s_cbranch_scc1 .LBB73_236
; %bb.235:                              ;   in Loop: Header=BB73_237 Depth=1
	s_sleep 1
	s_cbranch_execnz .LBB73_237
	s_branch .LBB73_239
	.p2align	6
.LBB73_236:
	s_branch .LBB73_239
.LBB73_237:                             ; =>This Inner Loop Header: Depth=1
	v_mov_b32_e32 v0, 1
	s_and_saveexec_b32 s1, s0
	s_cbranch_execz .LBB73_234
; %bb.238:                              ;   in Loop: Header=BB73_237 Depth=1
	global_load_b32 v0, v[8:9], off offset:20 glc
	s_waitcnt vmcnt(0)
	buffer_gl1_inv
	buffer_gl0_inv
	v_and_b32_e32 v0, 1, v0
	s_branch .LBB73_234
.LBB73_239:
	global_load_b64 v[2:3], v[6:7], off
	s_and_saveexec_b32 s1, s0
	s_cbranch_execz .LBB73_243
; %bb.240:
	v_mov_b32_e32 v8, 0
	s_clause 0x2
	global_load_b64 v[0:1], v8, s[2:3] offset:40
	global_load_b64 v[9:10], v8, s[2:3] offset:24 glc
	global_load_b64 v[6:7], v8, s[2:3]
	s_waitcnt vmcnt(2)
	v_add_co_u32 v11, vcc_lo, v0, 1
	v_add_co_ci_u32_e32 v12, vcc_lo, 0, v1, vcc_lo
	s_delay_alu instid0(VALU_DEP_2) | instskip(NEXT) | instid1(VALU_DEP_2)
	v_add_co_u32 v4, vcc_lo, v11, s4
	v_add_co_ci_u32_e32 v5, vcc_lo, s5, v12, vcc_lo
	s_delay_alu instid0(VALU_DEP_1) | instskip(SKIP_1) | instid1(VALU_DEP_1)
	v_cmp_eq_u64_e32 vcc_lo, 0, v[4:5]
	v_dual_cndmask_b32 v5, v5, v12 :: v_dual_cndmask_b32 v4, v4, v11
	v_and_b32_e32 v1, v5, v1
	s_delay_alu instid0(VALU_DEP_2) | instskip(NEXT) | instid1(VALU_DEP_2)
	v_and_b32_e32 v0, v4, v0
	v_mul_lo_u32 v1, v1, 24
	s_delay_alu instid0(VALU_DEP_2) | instskip(SKIP_1) | instid1(VALU_DEP_2)
	v_mul_hi_u32 v11, v0, 24
	v_mul_lo_u32 v0, v0, 24
	v_add_nc_u32_e32 v1, v11, v1
	s_waitcnt vmcnt(0)
	s_delay_alu instid0(VALU_DEP_2) | instskip(SKIP_1) | instid1(VALU_DEP_3)
	v_add_co_u32 v0, vcc_lo, v6, v0
	v_mov_b32_e32 v6, v9
	v_add_co_ci_u32_e32 v1, vcc_lo, v7, v1, vcc_lo
	v_mov_b32_e32 v7, v10
	global_store_b64 v[0:1], v[9:10], off
	s_waitcnt_vscnt null, 0x0
	global_atomic_cmpswap_b64 v[6:7], v8, v[4:7], s[2:3] offset:24 glc
	s_waitcnt vmcnt(0)
	v_cmp_ne_u64_e32 vcc_lo, v[6:7], v[9:10]
	s_and_b32 exec_lo, exec_lo, vcc_lo
	s_cbranch_execz .LBB73_243
; %bb.241:
	s_mov_b32 s0, 0
.LBB73_242:                             ; =>This Inner Loop Header: Depth=1
	s_sleep 1
	global_store_b64 v[0:1], v[6:7], off
	s_waitcnt_vscnt null, 0x0
	global_atomic_cmpswap_b64 v[9:10], v8, v[4:7], s[2:3] offset:24 glc
	s_waitcnt vmcnt(0)
	v_cmp_eq_u64_e32 vcc_lo, v[9:10], v[6:7]
	v_dual_mov_b32 v6, v9 :: v_dual_mov_b32 v7, v10
	s_or_b32 s0, vcc_lo, s0
	s_delay_alu instid0(SALU_CYCLE_1)
	s_and_not1_b32 exec_lo, exec_lo, s0
	s_cbranch_execnz .LBB73_242
.LBB73_243:
	s_or_b32 exec_lo, exec_lo, s1
.LBB73_244:
	v_readfirstlane_b32 s0, v32
	s_waitcnt vmcnt(0)
	v_mov_b32_e32 v0, 0
	v_mov_b32_e32 v1, 0
	s_delay_alu instid0(VALU_DEP_3) | instskip(NEXT) | instid1(VALU_DEP_1)
	v_cmp_eq_u32_e64 s0, s0, v32
	s_and_saveexec_b32 s1, s0
	s_cbranch_execz .LBB73_250
; %bb.245:
	v_mov_b32_e32 v4, 0
	s_mov_b32 s4, exec_lo
	global_load_b64 v[7:8], v4, s[2:3] offset:24 glc
	s_waitcnt vmcnt(0)
	buffer_gl1_inv
	buffer_gl0_inv
	s_clause 0x1
	global_load_b64 v[0:1], v4, s[2:3] offset:40
	global_load_b64 v[5:6], v4, s[2:3]
	s_waitcnt vmcnt(1)
	v_and_b32_e32 v1, v1, v8
	v_and_b32_e32 v0, v0, v7
	s_delay_alu instid0(VALU_DEP_2) | instskip(NEXT) | instid1(VALU_DEP_2)
	v_mul_lo_u32 v1, v1, 24
	v_mul_hi_u32 v9, v0, 24
	v_mul_lo_u32 v0, v0, 24
	s_delay_alu instid0(VALU_DEP_2) | instskip(SKIP_1) | instid1(VALU_DEP_2)
	v_add_nc_u32_e32 v1, v9, v1
	s_waitcnt vmcnt(0)
	v_add_co_u32 v0, vcc_lo, v5, v0
	s_delay_alu instid0(VALU_DEP_2)
	v_add_co_ci_u32_e32 v1, vcc_lo, v6, v1, vcc_lo
	global_load_b64 v[5:6], v[0:1], off glc
	s_waitcnt vmcnt(0)
	global_atomic_cmpswap_b64 v[0:1], v4, v[5:8], s[2:3] offset:24 glc
	s_waitcnt vmcnt(0)
	buffer_gl1_inv
	buffer_gl0_inv
	v_cmpx_ne_u64_e64 v[0:1], v[7:8]
	s_cbranch_execz .LBB73_249
; %bb.246:
	s_mov_b32 s5, 0
	.p2align	6
.LBB73_247:                             ; =>This Inner Loop Header: Depth=1
	s_sleep 1
	s_clause 0x1
	global_load_b64 v[5:6], v4, s[2:3] offset:40
	global_load_b64 v[9:10], v4, s[2:3]
	v_dual_mov_b32 v8, v1 :: v_dual_mov_b32 v7, v0
	s_waitcnt vmcnt(1)
	s_delay_alu instid0(VALU_DEP_1) | instskip(SKIP_1) | instid1(VALU_DEP_1)
	v_and_b32_e32 v5, v5, v7
	s_waitcnt vmcnt(0)
	v_mad_u64_u32 v[0:1], null, v5, 24, v[9:10]
	v_and_b32_e32 v9, v6, v8
	s_delay_alu instid0(VALU_DEP_1) | instskip(NEXT) | instid1(VALU_DEP_1)
	v_mad_u64_u32 v[5:6], null, v9, 24, v[1:2]
	v_mov_b32_e32 v1, v5
	global_load_b64 v[5:6], v[0:1], off glc
	s_waitcnt vmcnt(0)
	global_atomic_cmpswap_b64 v[0:1], v4, v[5:8], s[2:3] offset:24 glc
	s_waitcnt vmcnt(0)
	buffer_gl1_inv
	buffer_gl0_inv
	v_cmp_eq_u64_e32 vcc_lo, v[0:1], v[7:8]
	s_or_b32 s5, vcc_lo, s5
	s_delay_alu instid0(SALU_CYCLE_1)
	s_and_not1_b32 exec_lo, exec_lo, s5
	s_cbranch_execnz .LBB73_247
; %bb.248:
	s_or_b32 exec_lo, exec_lo, s5
.LBB73_249:
	s_delay_alu instid0(SALU_CYCLE_1)
	s_or_b32 exec_lo, exec_lo, s4
.LBB73_250:
	s_delay_alu instid0(SALU_CYCLE_1)
	s_or_b32 exec_lo, exec_lo, s1
	v_mov_b32_e32 v5, 0
	v_readfirstlane_b32 s4, v0
	v_readfirstlane_b32 s5, v1
	s_mov_b32 s1, exec_lo
	s_clause 0x1
	global_load_b64 v[10:11], v5, s[2:3] offset:40
	global_load_b128 v[6:9], v5, s[2:3]
	s_waitcnt vmcnt(1)
	v_readfirstlane_b32 s6, v10
	v_readfirstlane_b32 s7, v11
	s_delay_alu instid0(VALU_DEP_1) | instskip(NEXT) | instid1(SALU_CYCLE_1)
	s_and_b64 s[6:7], s[4:5], s[6:7]
	s_mul_i32 s10, s7, 24
	s_mul_hi_u32 s11, s6, 24
	s_mul_i32 s12, s6, 24
	s_add_i32 s11, s11, s10
	s_waitcnt vmcnt(0)
	v_add_co_u32 v10, vcc_lo, v6, s12
	v_add_co_ci_u32_e32 v11, vcc_lo, s11, v7, vcc_lo
	s_and_saveexec_b32 s10, s0
	s_cbranch_execz .LBB73_252
; %bb.251:
	v_dual_mov_b32 v4, s1 :: v_dual_mov_b32 v15, 1
	v_dual_mov_b32 v14, 2 :: v_dual_mov_b32 v13, v5
	s_delay_alu instid0(VALU_DEP_2)
	v_mov_b32_e32 v12, v4
	global_store_b128 v[10:11], v[12:15], off offset:8
.LBB73_252:
	s_or_b32 exec_lo, exec_lo, s10
	s_lshl_b64 s[6:7], s[6:7], 12
	s_mov_b32 s12, 0
	v_add_co_u32 v0, vcc_lo, v8, s6
	v_add_co_ci_u32_e32 v1, vcc_lo, s7, v9, vcc_lo
	s_mov_b32 s13, s12
	s_delay_alu instid0(VALU_DEP_2)
	v_add_co_u32 v8, vcc_lo, v0, v31
	s_mov_b32 s14, s12
	s_mov_b32 s15, s12
	v_and_or_b32 v2, 0xffffff1f, v2, 32
	v_mov_b32_e32 v4, 0x347
	v_readfirstlane_b32 s6, v0
	v_readfirstlane_b32 s7, v1
	v_dual_mov_b32 v12, s12 :: v_dual_mov_b32 v15, s15
	v_add_co_ci_u32_e32 v9, vcc_lo, 0, v1, vcc_lo
	v_dual_mov_b32 v13, s13 :: v_dual_mov_b32 v14, s14
	s_clause 0x3
	global_store_b128 v31, v[2:5], s[6:7]
	global_store_b128 v31, v[12:15], s[6:7] offset:16
	global_store_b128 v31, v[12:15], s[6:7] offset:32
	;; [unrolled: 1-line block ×3, first 2 shown]
	s_and_saveexec_b32 s1, s0
	s_cbranch_execz .LBB73_260
; %bb.253:
	v_dual_mov_b32 v12, 0 :: v_dual_mov_b32 v13, s4
	v_mov_b32_e32 v14, s5
	s_clause 0x1
	global_load_b64 v[15:16], v12, s[2:3] offset:32 glc
	global_load_b64 v[0:1], v12, s[2:3] offset:40
	s_waitcnt vmcnt(0)
	v_readfirstlane_b32 s6, v0
	v_readfirstlane_b32 s7, v1
	s_delay_alu instid0(VALU_DEP_1) | instskip(NEXT) | instid1(SALU_CYCLE_1)
	s_and_b64 s[6:7], s[6:7], s[4:5]
	s_mul_i32 s7, s7, 24
	s_mul_hi_u32 s10, s6, 24
	s_mul_i32 s6, s6, 24
	s_add_i32 s10, s10, s7
	v_add_co_u32 v4, vcc_lo, v6, s6
	v_add_co_ci_u32_e32 v5, vcc_lo, s10, v7, vcc_lo
	s_mov_b32 s6, exec_lo
	global_store_b64 v[4:5], v[15:16], off
	s_waitcnt_vscnt null, 0x0
	global_atomic_cmpswap_b64 v[2:3], v12, v[13:16], s[2:3] offset:32 glc
	s_waitcnt vmcnt(0)
	v_cmpx_ne_u64_e64 v[2:3], v[15:16]
	s_cbranch_execz .LBB73_256
; %bb.254:
	s_mov_b32 s7, 0
.LBB73_255:                             ; =>This Inner Loop Header: Depth=1
	v_dual_mov_b32 v0, s4 :: v_dual_mov_b32 v1, s5
	s_sleep 1
	global_store_b64 v[4:5], v[2:3], off
	s_waitcnt_vscnt null, 0x0
	global_atomic_cmpswap_b64 v[0:1], v12, v[0:3], s[2:3] offset:32 glc
	s_waitcnt vmcnt(0)
	v_cmp_eq_u64_e32 vcc_lo, v[0:1], v[2:3]
	v_dual_mov_b32 v3, v1 :: v_dual_mov_b32 v2, v0
	s_or_b32 s7, vcc_lo, s7
	s_delay_alu instid0(SALU_CYCLE_1)
	s_and_not1_b32 exec_lo, exec_lo, s7
	s_cbranch_execnz .LBB73_255
.LBB73_256:
	s_or_b32 exec_lo, exec_lo, s6
	v_mov_b32_e32 v3, 0
	s_mov_b32 s7, exec_lo
	s_mov_b32 s6, exec_lo
	v_mbcnt_lo_u32_b32 v2, s7, 0
	global_load_b64 v[0:1], v3, s[2:3] offset:16
	v_cmpx_eq_u32_e32 0, v2
	s_cbranch_execz .LBB73_258
; %bb.257:
	s_bcnt1_i32_b32 s7, s7
	s_delay_alu instid0(SALU_CYCLE_1)
	v_mov_b32_e32 v2, s7
	s_waitcnt vmcnt(0)
	global_atomic_add_u64 v[0:1], v[2:3], off offset:8
.LBB73_258:
	s_or_b32 exec_lo, exec_lo, s6
	s_waitcnt vmcnt(0)
	global_load_b64 v[2:3], v[0:1], off offset:16
	s_waitcnt vmcnt(0)
	v_cmp_eq_u64_e32 vcc_lo, 0, v[2:3]
	s_cbranch_vccnz .LBB73_260
; %bb.259:
	global_load_b32 v0, v[0:1], off offset:24
	s_waitcnt vmcnt(0)
	v_dual_mov_b32 v1, 0 :: v_dual_and_b32 v4, 0xffffff, v0
	s_waitcnt_vscnt null, 0x0
	global_store_b64 v[2:3], v[0:1], off
	v_readfirstlane_b32 m0, v4
	s_sendmsg sendmsg(MSG_INTERRUPT)
.LBB73_260:
	s_or_b32 exec_lo, exec_lo, s1
	s_branch .LBB73_264
	.p2align	6
.LBB73_261:                             ;   in Loop: Header=BB73_264 Depth=1
	s_or_b32 exec_lo, exec_lo, s1
	s_delay_alu instid0(VALU_DEP_1) | instskip(NEXT) | instid1(VALU_DEP_1)
	v_readfirstlane_b32 s1, v0
	s_cmp_eq_u32 s1, 0
	s_cbranch_scc1 .LBB73_263
; %bb.262:                              ;   in Loop: Header=BB73_264 Depth=1
	s_sleep 1
	s_cbranch_execnz .LBB73_264
	s_branch .LBB73_266
	.p2align	6
.LBB73_263:
	s_branch .LBB73_266
.LBB73_264:                             ; =>This Inner Loop Header: Depth=1
	v_mov_b32_e32 v0, 1
	s_and_saveexec_b32 s1, s0
	s_cbranch_execz .LBB73_261
; %bb.265:                              ;   in Loop: Header=BB73_264 Depth=1
	global_load_b32 v0, v[10:11], off offset:20 glc
	s_waitcnt vmcnt(0)
	buffer_gl1_inv
	buffer_gl0_inv
	v_and_b32_e32 v0, 1, v0
	s_branch .LBB73_261
.LBB73_266:
	global_load_b64 v[0:1], v[8:9], off
	s_and_saveexec_b32 s1, s0
	s_cbranch_execz .LBB73_270
; %bb.267:
	v_mov_b32_e32 v8, 0
	s_clause 0x2
	global_load_b64 v[4:5], v8, s[2:3] offset:40
	global_load_b64 v[9:10], v8, s[2:3] offset:24 glc
	global_load_b64 v[6:7], v8, s[2:3]
	s_waitcnt vmcnt(2)
	v_add_co_u32 v11, vcc_lo, v4, 1
	v_add_co_ci_u32_e32 v12, vcc_lo, 0, v5, vcc_lo
	s_delay_alu instid0(VALU_DEP_2) | instskip(NEXT) | instid1(VALU_DEP_2)
	v_add_co_u32 v2, vcc_lo, v11, s4
	v_add_co_ci_u32_e32 v3, vcc_lo, s5, v12, vcc_lo
	s_delay_alu instid0(VALU_DEP_1) | instskip(SKIP_1) | instid1(VALU_DEP_1)
	v_cmp_eq_u64_e32 vcc_lo, 0, v[2:3]
	v_dual_cndmask_b32 v3, v3, v12 :: v_dual_cndmask_b32 v2, v2, v11
	v_and_b32_e32 v5, v3, v5
	s_delay_alu instid0(VALU_DEP_2) | instskip(NEXT) | instid1(VALU_DEP_2)
	v_and_b32_e32 v4, v2, v4
	v_mul_lo_u32 v5, v5, 24
	s_delay_alu instid0(VALU_DEP_2) | instskip(SKIP_1) | instid1(VALU_DEP_2)
	v_mul_hi_u32 v11, v4, 24
	v_mul_lo_u32 v4, v4, 24
	v_add_nc_u32_e32 v5, v11, v5
	s_waitcnt vmcnt(0)
	s_delay_alu instid0(VALU_DEP_2) | instskip(SKIP_1) | instid1(VALU_DEP_3)
	v_add_co_u32 v6, vcc_lo, v6, v4
	v_mov_b32_e32 v4, v9
	v_add_co_ci_u32_e32 v7, vcc_lo, v7, v5, vcc_lo
	v_mov_b32_e32 v5, v10
	global_store_b64 v[6:7], v[9:10], off
	s_waitcnt_vscnt null, 0x0
	global_atomic_cmpswap_b64 v[4:5], v8, v[2:5], s[2:3] offset:24 glc
	s_waitcnt vmcnt(0)
	v_cmp_ne_u64_e32 vcc_lo, v[4:5], v[9:10]
	s_and_b32 exec_lo, exec_lo, vcc_lo
	s_cbranch_execz .LBB73_270
; %bb.268:
	s_mov_b32 s0, 0
.LBB73_269:                             ; =>This Inner Loop Header: Depth=1
	s_sleep 1
	global_store_b64 v[6:7], v[4:5], off
	s_waitcnt_vscnt null, 0x0
	global_atomic_cmpswap_b64 v[9:10], v8, v[2:5], s[2:3] offset:24 glc
	s_waitcnt vmcnt(0)
	v_cmp_eq_u64_e32 vcc_lo, v[9:10], v[4:5]
	v_dual_mov_b32 v4, v9 :: v_dual_mov_b32 v5, v10
	s_or_b32 s0, vcc_lo, s0
	s_delay_alu instid0(SALU_CYCLE_1)
	s_and_not1_b32 exec_lo, exec_lo, s0
	s_cbranch_execnz .LBB73_269
.LBB73_270:
	s_or_b32 exec_lo, exec_lo, s1
	s_getpc_b64 s[0:1]
	s_add_u32 s0, s0, __FUNCTION__._ZL15flash_attn_tileILi64ELi64ELi8ELi8ELb1EEvPKcS1_S1_S1_S1_PKiPfP15HIP_vector_typeIfLj2EEffffjfiS5_IjLj3EEiiiiiiiiiiiliiliiiiil@rel32@lo+4
	s_addc_u32 s1, s1, __FUNCTION__._ZL15flash_attn_tileILi64ELi64ELi8ELi8ELb1EEvPKcS1_S1_S1_S1_PKiPfP15HIP_vector_typeIfLj2EEffffjfiS5_IjLj3EEiiiiiiiiiiiliiliiiiil@rel32@hi+12
	s_mov_b64 s[16:17], s[8:9]
	s_cmp_lg_u64 s[0:1], 0
	v_mov_b32_e32 v3, s1
	s_cselect_b32 s2, -1, 0
	v_mov_b32_e32 v5, 0
	v_cndmask_b32_e64 v2, 0, 1, s2
	s_getpc_b64 s[2:3]
	s_add_u32 s2, s2, __ockl_printf_append_string_n@rel32@lo+4
	s_addc_u32 s3, s3, __ockl_printf_append_string_n@rel32@hi+12
	s_delay_alu instid0(VALU_DEP_1)
	v_lshlrev_b32_e32 v4, 4, v2
	v_mov_b32_e32 v2, s0
	s_swappc_b64 s[30:31], s[2:3]
	v_dual_mov_b32 v2, 0x514 :: v_dual_mov_b32 v3, 0
	v_mov_b32_e32 v4, 1
	s_mov_b64 s[8:9], s[16:17]
	s_getpc_b64 s[0:1]
	s_add_u32 s0, s0, __ockl_printf_append_args@rel32@lo+4
	s_addc_u32 s1, s1, __ockl_printf_append_args@rel32@hi+12
	s_delay_alu instid0(SALU_CYCLE_1)
	s_swappc_b64 s[30:31], s[0:1]
	s_trap 2
	s_sendmsg_rtn_b32 s0, sendmsg(MSG_RTN_GET_DOORBELL)
	s_mov_b32 ttmp2, m0
	s_waitcnt lgkmcnt(0)
	s_and_b32 s0, s0, 0x3ff
	s_delay_alu instid0(SALU_CYCLE_1) | instskip(NEXT) | instid1(SALU_CYCLE_1)
	s_bitset1_b32 s0, 10
	s_mov_b32 m0, s0
	s_sendmsg sendmsg(MSG_INTERRUPT)
	s_mov_b32 m0, ttmp2
.LBB73_271:                             ; =>This Inner Loop Header: Depth=1
	s_sethalt 5
	s_branch .LBB73_271
.Lfunc_end73:
	.size	_ZL14no_device_codePKciS0_iS0_, .Lfunc_end73-_ZL14no_device_codePKciS0_iS0_
                                        ; -- End function
	.section	.AMDGPU.csdata,"",@progbits
; Function info:
; codeLenInByte = 10548
; NumSgprs: 36
; NumVgprs: 37
; ScratchSize: 16
; MemoryBound: 0
	.section	.text._ZL15flash_attn_tileILi64ELi64ELi8ELi8ELb1EEvPKcS1_S1_S1_S1_PKiPfP15HIP_vector_typeIfLj2EEffffjfiS5_IjLj3EEiiiiiiiiiiiliiliiiiil,"axG",@progbits,_ZL15flash_attn_tileILi64ELi64ELi8ELi8ELb1EEvPKcS1_S1_S1_S1_PKiPfP15HIP_vector_typeIfLj2EEffffjfiS5_IjLj3EEiiiiiiiiiiiliiliiiiil,comdat
	.globl	_ZL15flash_attn_tileILi64ELi64ELi8ELi8ELb1EEvPKcS1_S1_S1_S1_PKiPfP15HIP_vector_typeIfLj2EEffffjfiS5_IjLj3EEiiiiiiiiiiiliiliiiiil ; -- Begin function _ZL15flash_attn_tileILi64ELi64ELi8ELi8ELb1EEvPKcS1_S1_S1_S1_PKiPfP15HIP_vector_typeIfLj2EEffffjfiS5_IjLj3EEiiiiiiiiiiiliiliiiiil
	.p2align	8
	.type	_ZL15flash_attn_tileILi64ELi64ELi8ELi8ELb1EEvPKcS1_S1_S1_S1_PKiPfP15HIP_vector_typeIfLj2EEffffjfiS5_IjLj3EEiiiiiiiiiiiliiliiiiil,@function
_ZL15flash_attn_tileILi64ELi64ELi8ELi8ELb1EEvPKcS1_S1_S1_S1_PKiPfP15HIP_vector_typeIfLj2EEffffjfiS5_IjLj3EEiiiiiiiiiiiliiliiiiil: ; @_ZL15flash_attn_tileILi64ELi64ELi8ELi8ELb1EEvPKcS1_S1_S1_S1_PKiPfP15HIP_vector_typeIfLj2EEffffjfiS5_IjLj3EEiiiiiiiiiiiliiliiiiil
; %bb.0:
	s_add_u32 s8, s0, 0xd0
	s_addc_u32 s9, s1, 0
	s_mov_b32 s32, 0
	s_getpc_b64 s[0:1]
	s_add_u32 s0, s0, _ZL14no_device_codePKciS0_iS0_@rel32@lo+4
	s_addc_u32 s1, s1, _ZL14no_device_codePKciS0_iS0_@rel32@hi+12
	s_delay_alu instid0(SALU_CYCLE_1)
	s_swappc_b64 s[30:31], s[0:1]
	.section	.rodata,"a",@progbits
	.p2align	6, 0x0
	.amdhsa_kernel _ZL15flash_attn_tileILi64ELi64ELi8ELi8ELb1EEvPKcS1_S1_S1_S1_PKiPfP15HIP_vector_typeIfLj2EEffffjfiS5_IjLj3EEiiiiiiiiiiiliiliiiiil
		.amdhsa_group_segment_fixed_size 0
		.amdhsa_private_segment_fixed_size 16
		.amdhsa_kernarg_size 464
		.amdhsa_user_sgpr_count 15
		.amdhsa_user_sgpr_dispatch_ptr 0
		.amdhsa_user_sgpr_queue_ptr 0
		.amdhsa_user_sgpr_kernarg_segment_ptr 1
		.amdhsa_user_sgpr_dispatch_id 0
		.amdhsa_user_sgpr_private_segment_size 0
		.amdhsa_wavefront_size32 1
		.amdhsa_uses_dynamic_stack 0
		.amdhsa_enable_private_segment 1
		.amdhsa_system_sgpr_workgroup_id_x 1
		.amdhsa_system_sgpr_workgroup_id_y 0
		.amdhsa_system_sgpr_workgroup_id_z 0
		.amdhsa_system_sgpr_workgroup_info 0
		.amdhsa_system_vgpr_workitem_id 0
		.amdhsa_next_free_vgpr 37
		.amdhsa_next_free_sgpr 34
		.amdhsa_reserve_vcc 1
		.amdhsa_float_round_mode_32 0
		.amdhsa_float_round_mode_16_64 0
		.amdhsa_float_denorm_mode_32 3
		.amdhsa_float_denorm_mode_16_64 3
		.amdhsa_dx10_clamp 1
		.amdhsa_ieee_mode 1
		.amdhsa_fp16_overflow 0
		.amdhsa_workgroup_processor_mode 1
		.amdhsa_memory_ordered 1
		.amdhsa_forward_progress 0
		.amdhsa_shared_vgpr_count 0
		.amdhsa_exception_fp_ieee_invalid_op 0
		.amdhsa_exception_fp_denorm_src 0
		.amdhsa_exception_fp_ieee_div_zero 0
		.amdhsa_exception_fp_ieee_overflow 0
		.amdhsa_exception_fp_ieee_underflow 0
		.amdhsa_exception_fp_ieee_inexact 0
		.amdhsa_exception_int_div_zero 0
	.end_amdhsa_kernel
	.section	.text._ZL15flash_attn_tileILi64ELi64ELi8ELi8ELb1EEvPKcS1_S1_S1_S1_PKiPfP15HIP_vector_typeIfLj2EEffffjfiS5_IjLj3EEiiiiiiiiiiiliiliiiiil,"axG",@progbits,_ZL15flash_attn_tileILi64ELi64ELi8ELi8ELb1EEvPKcS1_S1_S1_S1_PKiPfP15HIP_vector_typeIfLj2EEffffjfiS5_IjLj3EEiiiiiiiiiiiliiliiiiil,comdat
.Lfunc_end74:
	.size	_ZL15flash_attn_tileILi64ELi64ELi8ELi8ELb1EEvPKcS1_S1_S1_S1_PKiPfP15HIP_vector_typeIfLj2EEffffjfiS5_IjLj3EEiiiiiiiiiiiliiliiiiil, .Lfunc_end74-_ZL15flash_attn_tileILi64ELi64ELi8ELi8ELb1EEvPKcS1_S1_S1_S1_PKiPfP15HIP_vector_typeIfLj2EEffffjfiS5_IjLj3EEiiiiiiiiiiiliiliiiiil
                                        ; -- End function
	.section	.AMDGPU.csdata,"",@progbits
; Kernel info:
; codeLenInByte = 44
; NumSgprs: 36
; NumVgprs: 37
; ScratchSize: 16
; MemoryBound: 0
; FloatMode: 240
; IeeeMode: 1
; LDSByteSize: 0 bytes/workgroup (compile time only)
; SGPRBlocks: 4
; VGPRBlocks: 4
; NumSGPRsForWavesPerEU: 36
; NumVGPRsForWavesPerEU: 37
; Occupancy: 16
; WaveLimiterHint : 1
; COMPUTE_PGM_RSRC2:SCRATCH_EN: 1
; COMPUTE_PGM_RSRC2:USER_SGPR: 15
; COMPUTE_PGM_RSRC2:TRAP_HANDLER: 0
; COMPUTE_PGM_RSRC2:TGID_X_EN: 1
; COMPUTE_PGM_RSRC2:TGID_Y_EN: 0
; COMPUTE_PGM_RSRC2:TGID_Z_EN: 0
; COMPUTE_PGM_RSRC2:TIDIG_COMP_CNT: 0
	.section	.text._ZL15flash_attn_tileILi64ELi64ELi4ELi8ELb1EEvPKcS1_S1_S1_S1_PKiPfP15HIP_vector_typeIfLj2EEffffjfiS5_IjLj3EEiiiiiiiiiiiliiliiiiil,"axG",@progbits,_ZL15flash_attn_tileILi64ELi64ELi4ELi8ELb1EEvPKcS1_S1_S1_S1_PKiPfP15HIP_vector_typeIfLj2EEffffjfiS5_IjLj3EEiiiiiiiiiiiliiliiiiil,comdat
	.globl	_ZL15flash_attn_tileILi64ELi64ELi4ELi8ELb1EEvPKcS1_S1_S1_S1_PKiPfP15HIP_vector_typeIfLj2EEffffjfiS5_IjLj3EEiiiiiiiiiiiliiliiiiil ; -- Begin function _ZL15flash_attn_tileILi64ELi64ELi4ELi8ELb1EEvPKcS1_S1_S1_S1_PKiPfP15HIP_vector_typeIfLj2EEffffjfiS5_IjLj3EEiiiiiiiiiiiliiliiiiil
	.p2align	8
	.type	_ZL15flash_attn_tileILi64ELi64ELi4ELi8ELb1EEvPKcS1_S1_S1_S1_PKiPfP15HIP_vector_typeIfLj2EEffffjfiS5_IjLj3EEiiiiiiiiiiiliiliiiiil,@function
_ZL15flash_attn_tileILi64ELi64ELi4ELi8ELb1EEvPKcS1_S1_S1_S1_PKiPfP15HIP_vector_typeIfLj2EEffffjfiS5_IjLj3EEiiiiiiiiiiiliiliiiiil: ; @_ZL15flash_attn_tileILi64ELi64ELi4ELi8ELb1EEvPKcS1_S1_S1_S1_PKiPfP15HIP_vector_typeIfLj2EEffffjfiS5_IjLj3EEiiiiiiiiiiiliiliiiiil
; %bb.0:
	s_add_u32 s8, s0, 0xd0
	s_addc_u32 s9, s1, 0
	s_mov_b32 s32, 0
	s_getpc_b64 s[0:1]
	s_add_u32 s0, s0, _ZL14no_device_codePKciS0_iS0_@rel32@lo+4
	s_addc_u32 s1, s1, _ZL14no_device_codePKciS0_iS0_@rel32@hi+12
	s_delay_alu instid0(SALU_CYCLE_1)
	s_swappc_b64 s[30:31], s[0:1]
	.section	.rodata,"a",@progbits
	.p2align	6, 0x0
	.amdhsa_kernel _ZL15flash_attn_tileILi64ELi64ELi4ELi8ELb1EEvPKcS1_S1_S1_S1_PKiPfP15HIP_vector_typeIfLj2EEffffjfiS5_IjLj3EEiiiiiiiiiiiliiliiiiil
		.amdhsa_group_segment_fixed_size 0
		.amdhsa_private_segment_fixed_size 16
		.amdhsa_kernarg_size 464
		.amdhsa_user_sgpr_count 15
		.amdhsa_user_sgpr_dispatch_ptr 0
		.amdhsa_user_sgpr_queue_ptr 0
		.amdhsa_user_sgpr_kernarg_segment_ptr 1
		.amdhsa_user_sgpr_dispatch_id 0
		.amdhsa_user_sgpr_private_segment_size 0
		.amdhsa_wavefront_size32 1
		.amdhsa_uses_dynamic_stack 0
		.amdhsa_enable_private_segment 1
		.amdhsa_system_sgpr_workgroup_id_x 1
		.amdhsa_system_sgpr_workgroup_id_y 0
		.amdhsa_system_sgpr_workgroup_id_z 0
		.amdhsa_system_sgpr_workgroup_info 0
		.amdhsa_system_vgpr_workitem_id 0
		.amdhsa_next_free_vgpr 37
		.amdhsa_next_free_sgpr 34
		.amdhsa_reserve_vcc 1
		.amdhsa_float_round_mode_32 0
		.amdhsa_float_round_mode_16_64 0
		.amdhsa_float_denorm_mode_32 3
		.amdhsa_float_denorm_mode_16_64 3
		.amdhsa_dx10_clamp 1
		.amdhsa_ieee_mode 1
		.amdhsa_fp16_overflow 0
		.amdhsa_workgroup_processor_mode 1
		.amdhsa_memory_ordered 1
		.amdhsa_forward_progress 0
		.amdhsa_shared_vgpr_count 0
		.amdhsa_exception_fp_ieee_invalid_op 0
		.amdhsa_exception_fp_denorm_src 0
		.amdhsa_exception_fp_ieee_div_zero 0
		.amdhsa_exception_fp_ieee_overflow 0
		.amdhsa_exception_fp_ieee_underflow 0
		.amdhsa_exception_fp_ieee_inexact 0
		.amdhsa_exception_int_div_zero 0
	.end_amdhsa_kernel
	.section	.text._ZL15flash_attn_tileILi64ELi64ELi4ELi8ELb1EEvPKcS1_S1_S1_S1_PKiPfP15HIP_vector_typeIfLj2EEffffjfiS5_IjLj3EEiiiiiiiiiiiliiliiiiil,"axG",@progbits,_ZL15flash_attn_tileILi64ELi64ELi4ELi8ELb1EEvPKcS1_S1_S1_S1_PKiPfP15HIP_vector_typeIfLj2EEffffjfiS5_IjLj3EEiiiiiiiiiiiliiliiiiil,comdat
.Lfunc_end75:
	.size	_ZL15flash_attn_tileILi64ELi64ELi4ELi8ELb1EEvPKcS1_S1_S1_S1_PKiPfP15HIP_vector_typeIfLj2EEffffjfiS5_IjLj3EEiiiiiiiiiiiliiliiiiil, .Lfunc_end75-_ZL15flash_attn_tileILi64ELi64ELi4ELi8ELb1EEvPKcS1_S1_S1_S1_PKiPfP15HIP_vector_typeIfLj2EEffffjfiS5_IjLj3EEiiiiiiiiiiiliiliiiiil
                                        ; -- End function
	.section	.AMDGPU.csdata,"",@progbits
; Kernel info:
; codeLenInByte = 44
; NumSgprs: 36
; NumVgprs: 37
; ScratchSize: 16
; MemoryBound: 0
; FloatMode: 240
; IeeeMode: 1
; LDSByteSize: 0 bytes/workgroup (compile time only)
; SGPRBlocks: 4
; VGPRBlocks: 4
; NumSGPRsForWavesPerEU: 36
; NumVGPRsForWavesPerEU: 37
; Occupancy: 16
; WaveLimiterHint : 1
; COMPUTE_PGM_RSRC2:SCRATCH_EN: 1
; COMPUTE_PGM_RSRC2:USER_SGPR: 15
; COMPUTE_PGM_RSRC2:TRAP_HANDLER: 0
; COMPUTE_PGM_RSRC2:TGID_X_EN: 1
; COMPUTE_PGM_RSRC2:TGID_Y_EN: 0
; COMPUTE_PGM_RSRC2:TGID_Z_EN: 0
; COMPUTE_PGM_RSRC2:TIDIG_COMP_CNT: 0
	.section	.text._ZL15flash_attn_tileILi64ELi64ELi2ELi8ELb1EEvPKcS1_S1_S1_S1_PKiPfP15HIP_vector_typeIfLj2EEffffjfiS5_IjLj3EEiiiiiiiiiiiliiliiiiil,"axG",@progbits,_ZL15flash_attn_tileILi64ELi64ELi2ELi8ELb1EEvPKcS1_S1_S1_S1_PKiPfP15HIP_vector_typeIfLj2EEffffjfiS5_IjLj3EEiiiiiiiiiiiliiliiiiil,comdat
	.globl	_ZL15flash_attn_tileILi64ELi64ELi2ELi8ELb1EEvPKcS1_S1_S1_S1_PKiPfP15HIP_vector_typeIfLj2EEffffjfiS5_IjLj3EEiiiiiiiiiiiliiliiiiil ; -- Begin function _ZL15flash_attn_tileILi64ELi64ELi2ELi8ELb1EEvPKcS1_S1_S1_S1_PKiPfP15HIP_vector_typeIfLj2EEffffjfiS5_IjLj3EEiiiiiiiiiiiliiliiiiil
	.p2align	8
	.type	_ZL15flash_attn_tileILi64ELi64ELi2ELi8ELb1EEvPKcS1_S1_S1_S1_PKiPfP15HIP_vector_typeIfLj2EEffffjfiS5_IjLj3EEiiiiiiiiiiiliiliiiiil,@function
_ZL15flash_attn_tileILi64ELi64ELi2ELi8ELb1EEvPKcS1_S1_S1_S1_PKiPfP15HIP_vector_typeIfLj2EEffffjfiS5_IjLj3EEiiiiiiiiiiiliiliiiiil: ; @_ZL15flash_attn_tileILi64ELi64ELi2ELi8ELb1EEvPKcS1_S1_S1_S1_PKiPfP15HIP_vector_typeIfLj2EEffffjfiS5_IjLj3EEiiiiiiiiiiiliiliiiiil
; %bb.0:
	s_add_u32 s8, s0, 0xd0
	s_addc_u32 s9, s1, 0
	s_mov_b32 s32, 0
	s_getpc_b64 s[0:1]
	s_add_u32 s0, s0, _ZL14no_device_codePKciS0_iS0_@rel32@lo+4
	s_addc_u32 s1, s1, _ZL14no_device_codePKciS0_iS0_@rel32@hi+12
	s_delay_alu instid0(SALU_CYCLE_1)
	s_swappc_b64 s[30:31], s[0:1]
	.section	.rodata,"a",@progbits
	.p2align	6, 0x0
	.amdhsa_kernel _ZL15flash_attn_tileILi64ELi64ELi2ELi8ELb1EEvPKcS1_S1_S1_S1_PKiPfP15HIP_vector_typeIfLj2EEffffjfiS5_IjLj3EEiiiiiiiiiiiliiliiiiil
		.amdhsa_group_segment_fixed_size 0
		.amdhsa_private_segment_fixed_size 16
		.amdhsa_kernarg_size 464
		.amdhsa_user_sgpr_count 15
		.amdhsa_user_sgpr_dispatch_ptr 0
		.amdhsa_user_sgpr_queue_ptr 0
		.amdhsa_user_sgpr_kernarg_segment_ptr 1
		.amdhsa_user_sgpr_dispatch_id 0
		.amdhsa_user_sgpr_private_segment_size 0
		.amdhsa_wavefront_size32 1
		.amdhsa_uses_dynamic_stack 0
		.amdhsa_enable_private_segment 1
		.amdhsa_system_sgpr_workgroup_id_x 1
		.amdhsa_system_sgpr_workgroup_id_y 0
		.amdhsa_system_sgpr_workgroup_id_z 0
		.amdhsa_system_sgpr_workgroup_info 0
		.amdhsa_system_vgpr_workitem_id 0
		.amdhsa_next_free_vgpr 37
		.amdhsa_next_free_sgpr 34
		.amdhsa_reserve_vcc 1
		.amdhsa_float_round_mode_32 0
		.amdhsa_float_round_mode_16_64 0
		.amdhsa_float_denorm_mode_32 3
		.amdhsa_float_denorm_mode_16_64 3
		.amdhsa_dx10_clamp 1
		.amdhsa_ieee_mode 1
		.amdhsa_fp16_overflow 0
		.amdhsa_workgroup_processor_mode 1
		.amdhsa_memory_ordered 1
		.amdhsa_forward_progress 0
		.amdhsa_shared_vgpr_count 0
		.amdhsa_exception_fp_ieee_invalid_op 0
		.amdhsa_exception_fp_denorm_src 0
		.amdhsa_exception_fp_ieee_div_zero 0
		.amdhsa_exception_fp_ieee_overflow 0
		.amdhsa_exception_fp_ieee_underflow 0
		.amdhsa_exception_fp_ieee_inexact 0
		.amdhsa_exception_int_div_zero 0
	.end_amdhsa_kernel
	.section	.text._ZL15flash_attn_tileILi64ELi64ELi2ELi8ELb1EEvPKcS1_S1_S1_S1_PKiPfP15HIP_vector_typeIfLj2EEffffjfiS5_IjLj3EEiiiiiiiiiiiliiliiiiil,"axG",@progbits,_ZL15flash_attn_tileILi64ELi64ELi2ELi8ELb1EEvPKcS1_S1_S1_S1_PKiPfP15HIP_vector_typeIfLj2EEffffjfiS5_IjLj3EEiiiiiiiiiiiliiliiiiil,comdat
.Lfunc_end76:
	.size	_ZL15flash_attn_tileILi64ELi64ELi2ELi8ELb1EEvPKcS1_S1_S1_S1_PKiPfP15HIP_vector_typeIfLj2EEffffjfiS5_IjLj3EEiiiiiiiiiiiliiliiiiil, .Lfunc_end76-_ZL15flash_attn_tileILi64ELi64ELi2ELi8ELb1EEvPKcS1_S1_S1_S1_PKiPfP15HIP_vector_typeIfLj2EEffffjfiS5_IjLj3EEiiiiiiiiiiiliiliiiiil
                                        ; -- End function
	.section	.AMDGPU.csdata,"",@progbits
; Kernel info:
; codeLenInByte = 44
; NumSgprs: 36
; NumVgprs: 37
; ScratchSize: 16
; MemoryBound: 0
; FloatMode: 240
; IeeeMode: 1
; LDSByteSize: 0 bytes/workgroup (compile time only)
; SGPRBlocks: 4
; VGPRBlocks: 4
; NumSGPRsForWavesPerEU: 36
; NumVGPRsForWavesPerEU: 37
; Occupancy: 16
; WaveLimiterHint : 1
; COMPUTE_PGM_RSRC2:SCRATCH_EN: 1
; COMPUTE_PGM_RSRC2:USER_SGPR: 15
; COMPUTE_PGM_RSRC2:TRAP_HANDLER: 0
; COMPUTE_PGM_RSRC2:TGID_X_EN: 1
; COMPUTE_PGM_RSRC2:TGID_Y_EN: 0
; COMPUTE_PGM_RSRC2:TGID_Z_EN: 0
; COMPUTE_PGM_RSRC2:TIDIG_COMP_CNT: 0
	.section	.text._ZL15flash_attn_tileILi64ELi64ELi1ELi8ELb1EEvPKcS1_S1_S1_S1_PKiPfP15HIP_vector_typeIfLj2EEffffjfiS5_IjLj3EEiiiiiiiiiiiliiliiiiil,"axG",@progbits,_ZL15flash_attn_tileILi64ELi64ELi1ELi8ELb1EEvPKcS1_S1_S1_S1_PKiPfP15HIP_vector_typeIfLj2EEffffjfiS5_IjLj3EEiiiiiiiiiiiliiliiiiil,comdat
	.globl	_ZL15flash_attn_tileILi64ELi64ELi1ELi8ELb1EEvPKcS1_S1_S1_S1_PKiPfP15HIP_vector_typeIfLj2EEffffjfiS5_IjLj3EEiiiiiiiiiiiliiliiiiil ; -- Begin function _ZL15flash_attn_tileILi64ELi64ELi1ELi8ELb1EEvPKcS1_S1_S1_S1_PKiPfP15HIP_vector_typeIfLj2EEffffjfiS5_IjLj3EEiiiiiiiiiiiliiliiiiil
	.p2align	8
	.type	_ZL15flash_attn_tileILi64ELi64ELi1ELi8ELb1EEvPKcS1_S1_S1_S1_PKiPfP15HIP_vector_typeIfLj2EEffffjfiS5_IjLj3EEiiiiiiiiiiiliiliiiiil,@function
_ZL15flash_attn_tileILi64ELi64ELi1ELi8ELb1EEvPKcS1_S1_S1_S1_PKiPfP15HIP_vector_typeIfLj2EEffffjfiS5_IjLj3EEiiiiiiiiiiiliiliiiiil: ; @_ZL15flash_attn_tileILi64ELi64ELi1ELi8ELb1EEvPKcS1_S1_S1_S1_PKiPfP15HIP_vector_typeIfLj2EEffffjfiS5_IjLj3EEiiiiiiiiiiiliiliiiiil
; %bb.0:
	s_add_u32 s8, s0, 0xd0
	s_addc_u32 s9, s1, 0
	s_mov_b32 s32, 0
	s_getpc_b64 s[0:1]
	s_add_u32 s0, s0, _ZL14no_device_codePKciS0_iS0_@rel32@lo+4
	s_addc_u32 s1, s1, _ZL14no_device_codePKciS0_iS0_@rel32@hi+12
	s_delay_alu instid0(SALU_CYCLE_1)
	s_swappc_b64 s[30:31], s[0:1]
	.section	.rodata,"a",@progbits
	.p2align	6, 0x0
	.amdhsa_kernel _ZL15flash_attn_tileILi64ELi64ELi1ELi8ELb1EEvPKcS1_S1_S1_S1_PKiPfP15HIP_vector_typeIfLj2EEffffjfiS5_IjLj3EEiiiiiiiiiiiliiliiiiil
		.amdhsa_group_segment_fixed_size 0
		.amdhsa_private_segment_fixed_size 16
		.amdhsa_kernarg_size 464
		.amdhsa_user_sgpr_count 15
		.amdhsa_user_sgpr_dispatch_ptr 0
		.amdhsa_user_sgpr_queue_ptr 0
		.amdhsa_user_sgpr_kernarg_segment_ptr 1
		.amdhsa_user_sgpr_dispatch_id 0
		.amdhsa_user_sgpr_private_segment_size 0
		.amdhsa_wavefront_size32 1
		.amdhsa_uses_dynamic_stack 0
		.amdhsa_enable_private_segment 1
		.amdhsa_system_sgpr_workgroup_id_x 1
		.amdhsa_system_sgpr_workgroup_id_y 0
		.amdhsa_system_sgpr_workgroup_id_z 0
		.amdhsa_system_sgpr_workgroup_info 0
		.amdhsa_system_vgpr_workitem_id 0
		.amdhsa_next_free_vgpr 37
		.amdhsa_next_free_sgpr 34
		.amdhsa_reserve_vcc 1
		.amdhsa_float_round_mode_32 0
		.amdhsa_float_round_mode_16_64 0
		.amdhsa_float_denorm_mode_32 3
		.amdhsa_float_denorm_mode_16_64 3
		.amdhsa_dx10_clamp 1
		.amdhsa_ieee_mode 1
		.amdhsa_fp16_overflow 0
		.amdhsa_workgroup_processor_mode 1
		.amdhsa_memory_ordered 1
		.amdhsa_forward_progress 0
		.amdhsa_shared_vgpr_count 0
		.amdhsa_exception_fp_ieee_invalid_op 0
		.amdhsa_exception_fp_denorm_src 0
		.amdhsa_exception_fp_ieee_div_zero 0
		.amdhsa_exception_fp_ieee_overflow 0
		.amdhsa_exception_fp_ieee_underflow 0
		.amdhsa_exception_fp_ieee_inexact 0
		.amdhsa_exception_int_div_zero 0
	.end_amdhsa_kernel
	.section	.text._ZL15flash_attn_tileILi64ELi64ELi1ELi8ELb1EEvPKcS1_S1_S1_S1_PKiPfP15HIP_vector_typeIfLj2EEffffjfiS5_IjLj3EEiiiiiiiiiiiliiliiiiil,"axG",@progbits,_ZL15flash_attn_tileILi64ELi64ELi1ELi8ELb1EEvPKcS1_S1_S1_S1_PKiPfP15HIP_vector_typeIfLj2EEffffjfiS5_IjLj3EEiiiiiiiiiiiliiliiiiil,comdat
.Lfunc_end77:
	.size	_ZL15flash_attn_tileILi64ELi64ELi1ELi8ELb1EEvPKcS1_S1_S1_S1_PKiPfP15HIP_vector_typeIfLj2EEffffjfiS5_IjLj3EEiiiiiiiiiiiliiliiiiil, .Lfunc_end77-_ZL15flash_attn_tileILi64ELi64ELi1ELi8ELb1EEvPKcS1_S1_S1_S1_PKiPfP15HIP_vector_typeIfLj2EEffffjfiS5_IjLj3EEiiiiiiiiiiiliiliiiiil
                                        ; -- End function
	.section	.AMDGPU.csdata,"",@progbits
; Kernel info:
; codeLenInByte = 44
; NumSgprs: 36
; NumVgprs: 37
; ScratchSize: 16
; MemoryBound: 0
; FloatMode: 240
; IeeeMode: 1
; LDSByteSize: 0 bytes/workgroup (compile time only)
; SGPRBlocks: 4
; VGPRBlocks: 4
; NumSGPRsForWavesPerEU: 36
; NumVGPRsForWavesPerEU: 37
; Occupancy: 16
; WaveLimiterHint : 1
; COMPUTE_PGM_RSRC2:SCRATCH_EN: 1
; COMPUTE_PGM_RSRC2:USER_SGPR: 15
; COMPUTE_PGM_RSRC2:TRAP_HANDLER: 0
; COMPUTE_PGM_RSRC2:TGID_X_EN: 1
; COMPUTE_PGM_RSRC2:TGID_Y_EN: 0
; COMPUTE_PGM_RSRC2:TGID_Z_EN: 0
; COMPUTE_PGM_RSRC2:TIDIG_COMP_CNT: 0
	.section	.text._ZL15flash_attn_tileILi64ELi64ELi16ELi4ELb1EEvPKcS1_S1_S1_S1_PKiPfP15HIP_vector_typeIfLj2EEffffjfiS5_IjLj3EEiiiiiiiiiiiliiliiiiil,"axG",@progbits,_ZL15flash_attn_tileILi64ELi64ELi16ELi4ELb1EEvPKcS1_S1_S1_S1_PKiPfP15HIP_vector_typeIfLj2EEffffjfiS5_IjLj3EEiiiiiiiiiiiliiliiiiil,comdat
	.globl	_ZL15flash_attn_tileILi64ELi64ELi16ELi4ELb1EEvPKcS1_S1_S1_S1_PKiPfP15HIP_vector_typeIfLj2EEffffjfiS5_IjLj3EEiiiiiiiiiiiliiliiiiil ; -- Begin function _ZL15flash_attn_tileILi64ELi64ELi16ELi4ELb1EEvPKcS1_S1_S1_S1_PKiPfP15HIP_vector_typeIfLj2EEffffjfiS5_IjLj3EEiiiiiiiiiiiliiliiiiil
	.p2align	8
	.type	_ZL15flash_attn_tileILi64ELi64ELi16ELi4ELb1EEvPKcS1_S1_S1_S1_PKiPfP15HIP_vector_typeIfLj2EEffffjfiS5_IjLj3EEiiiiiiiiiiiliiliiiiil,@function
_ZL15flash_attn_tileILi64ELi64ELi16ELi4ELb1EEvPKcS1_S1_S1_S1_PKiPfP15HIP_vector_typeIfLj2EEffffjfiS5_IjLj3EEiiiiiiiiiiiliiliiiiil: ; @_ZL15flash_attn_tileILi64ELi64ELi16ELi4ELb1EEvPKcS1_S1_S1_S1_PKiPfP15HIP_vector_typeIfLj2EEffffjfiS5_IjLj3EEiiiiiiiiiiiliiliiiiil
; %bb.0:
	s_add_u32 s8, s0, 0xd0
	s_addc_u32 s9, s1, 0
	s_mov_b32 s32, 0
	s_getpc_b64 s[0:1]
	s_add_u32 s0, s0, _ZL14no_device_codePKciS0_iS0_@rel32@lo+4
	s_addc_u32 s1, s1, _ZL14no_device_codePKciS0_iS0_@rel32@hi+12
	s_delay_alu instid0(SALU_CYCLE_1)
	s_swappc_b64 s[30:31], s[0:1]
	.section	.rodata,"a",@progbits
	.p2align	6, 0x0
	.amdhsa_kernel _ZL15flash_attn_tileILi64ELi64ELi16ELi4ELb1EEvPKcS1_S1_S1_S1_PKiPfP15HIP_vector_typeIfLj2EEffffjfiS5_IjLj3EEiiiiiiiiiiiliiliiiiil
		.amdhsa_group_segment_fixed_size 0
		.amdhsa_private_segment_fixed_size 16
		.amdhsa_kernarg_size 464
		.amdhsa_user_sgpr_count 15
		.amdhsa_user_sgpr_dispatch_ptr 0
		.amdhsa_user_sgpr_queue_ptr 0
		.amdhsa_user_sgpr_kernarg_segment_ptr 1
		.amdhsa_user_sgpr_dispatch_id 0
		.amdhsa_user_sgpr_private_segment_size 0
		.amdhsa_wavefront_size32 1
		.amdhsa_uses_dynamic_stack 0
		.amdhsa_enable_private_segment 1
		.amdhsa_system_sgpr_workgroup_id_x 1
		.amdhsa_system_sgpr_workgroup_id_y 0
		.amdhsa_system_sgpr_workgroup_id_z 0
		.amdhsa_system_sgpr_workgroup_info 0
		.amdhsa_system_vgpr_workitem_id 0
		.amdhsa_next_free_vgpr 37
		.amdhsa_next_free_sgpr 34
		.amdhsa_reserve_vcc 1
		.amdhsa_float_round_mode_32 0
		.amdhsa_float_round_mode_16_64 0
		.amdhsa_float_denorm_mode_32 3
		.amdhsa_float_denorm_mode_16_64 3
		.amdhsa_dx10_clamp 1
		.amdhsa_ieee_mode 1
		.amdhsa_fp16_overflow 0
		.amdhsa_workgroup_processor_mode 1
		.amdhsa_memory_ordered 1
		.amdhsa_forward_progress 0
		.amdhsa_shared_vgpr_count 0
		.amdhsa_exception_fp_ieee_invalid_op 0
		.amdhsa_exception_fp_denorm_src 0
		.amdhsa_exception_fp_ieee_div_zero 0
		.amdhsa_exception_fp_ieee_overflow 0
		.amdhsa_exception_fp_ieee_underflow 0
		.amdhsa_exception_fp_ieee_inexact 0
		.amdhsa_exception_int_div_zero 0
	.end_amdhsa_kernel
	.section	.text._ZL15flash_attn_tileILi64ELi64ELi16ELi4ELb1EEvPKcS1_S1_S1_S1_PKiPfP15HIP_vector_typeIfLj2EEffffjfiS5_IjLj3EEiiiiiiiiiiiliiliiiiil,"axG",@progbits,_ZL15flash_attn_tileILi64ELi64ELi16ELi4ELb1EEvPKcS1_S1_S1_S1_PKiPfP15HIP_vector_typeIfLj2EEffffjfiS5_IjLj3EEiiiiiiiiiiiliiliiiiil,comdat
.Lfunc_end78:
	.size	_ZL15flash_attn_tileILi64ELi64ELi16ELi4ELb1EEvPKcS1_S1_S1_S1_PKiPfP15HIP_vector_typeIfLj2EEffffjfiS5_IjLj3EEiiiiiiiiiiiliiliiiiil, .Lfunc_end78-_ZL15flash_attn_tileILi64ELi64ELi16ELi4ELb1EEvPKcS1_S1_S1_S1_PKiPfP15HIP_vector_typeIfLj2EEffffjfiS5_IjLj3EEiiiiiiiiiiiliiliiiiil
                                        ; -- End function
	.section	.AMDGPU.csdata,"",@progbits
; Kernel info:
; codeLenInByte = 44
; NumSgprs: 36
; NumVgprs: 37
; ScratchSize: 16
; MemoryBound: 0
; FloatMode: 240
; IeeeMode: 1
; LDSByteSize: 0 bytes/workgroup (compile time only)
; SGPRBlocks: 4
; VGPRBlocks: 4
; NumSGPRsForWavesPerEU: 36
; NumVGPRsForWavesPerEU: 37
; Occupancy: 16
; WaveLimiterHint : 1
; COMPUTE_PGM_RSRC2:SCRATCH_EN: 1
; COMPUTE_PGM_RSRC2:USER_SGPR: 15
; COMPUTE_PGM_RSRC2:TRAP_HANDLER: 0
; COMPUTE_PGM_RSRC2:TGID_X_EN: 1
; COMPUTE_PGM_RSRC2:TGID_Y_EN: 0
; COMPUTE_PGM_RSRC2:TGID_Z_EN: 0
; COMPUTE_PGM_RSRC2:TIDIG_COMP_CNT: 0
	.section	.text._ZL15flash_attn_tileILi64ELi64ELi8ELi4ELb1EEvPKcS1_S1_S1_S1_PKiPfP15HIP_vector_typeIfLj2EEffffjfiS5_IjLj3EEiiiiiiiiiiiliiliiiiil,"axG",@progbits,_ZL15flash_attn_tileILi64ELi64ELi8ELi4ELb1EEvPKcS1_S1_S1_S1_PKiPfP15HIP_vector_typeIfLj2EEffffjfiS5_IjLj3EEiiiiiiiiiiiliiliiiiil,comdat
	.globl	_ZL15flash_attn_tileILi64ELi64ELi8ELi4ELb1EEvPKcS1_S1_S1_S1_PKiPfP15HIP_vector_typeIfLj2EEffffjfiS5_IjLj3EEiiiiiiiiiiiliiliiiiil ; -- Begin function _ZL15flash_attn_tileILi64ELi64ELi8ELi4ELb1EEvPKcS1_S1_S1_S1_PKiPfP15HIP_vector_typeIfLj2EEffffjfiS5_IjLj3EEiiiiiiiiiiiliiliiiiil
	.p2align	8
	.type	_ZL15flash_attn_tileILi64ELi64ELi8ELi4ELb1EEvPKcS1_S1_S1_S1_PKiPfP15HIP_vector_typeIfLj2EEffffjfiS5_IjLj3EEiiiiiiiiiiiliiliiiiil,@function
_ZL15flash_attn_tileILi64ELi64ELi8ELi4ELb1EEvPKcS1_S1_S1_S1_PKiPfP15HIP_vector_typeIfLj2EEffffjfiS5_IjLj3EEiiiiiiiiiiiliiliiiiil: ; @_ZL15flash_attn_tileILi64ELi64ELi8ELi4ELb1EEvPKcS1_S1_S1_S1_PKiPfP15HIP_vector_typeIfLj2EEffffjfiS5_IjLj3EEiiiiiiiiiiiliiliiiiil
; %bb.0:
	s_add_u32 s8, s0, 0xd0
	s_addc_u32 s9, s1, 0
	s_mov_b32 s32, 0
	s_getpc_b64 s[0:1]
	s_add_u32 s0, s0, _ZL14no_device_codePKciS0_iS0_@rel32@lo+4
	s_addc_u32 s1, s1, _ZL14no_device_codePKciS0_iS0_@rel32@hi+12
	s_delay_alu instid0(SALU_CYCLE_1)
	s_swappc_b64 s[30:31], s[0:1]
	.section	.rodata,"a",@progbits
	.p2align	6, 0x0
	.amdhsa_kernel _ZL15flash_attn_tileILi64ELi64ELi8ELi4ELb1EEvPKcS1_S1_S1_S1_PKiPfP15HIP_vector_typeIfLj2EEffffjfiS5_IjLj3EEiiiiiiiiiiiliiliiiiil
		.amdhsa_group_segment_fixed_size 0
		.amdhsa_private_segment_fixed_size 16
		.amdhsa_kernarg_size 464
		.amdhsa_user_sgpr_count 15
		.amdhsa_user_sgpr_dispatch_ptr 0
		.amdhsa_user_sgpr_queue_ptr 0
		.amdhsa_user_sgpr_kernarg_segment_ptr 1
		.amdhsa_user_sgpr_dispatch_id 0
		.amdhsa_user_sgpr_private_segment_size 0
		.amdhsa_wavefront_size32 1
		.amdhsa_uses_dynamic_stack 0
		.amdhsa_enable_private_segment 1
		.amdhsa_system_sgpr_workgroup_id_x 1
		.amdhsa_system_sgpr_workgroup_id_y 0
		.amdhsa_system_sgpr_workgroup_id_z 0
		.amdhsa_system_sgpr_workgroup_info 0
		.amdhsa_system_vgpr_workitem_id 0
		.amdhsa_next_free_vgpr 37
		.amdhsa_next_free_sgpr 34
		.amdhsa_reserve_vcc 1
		.amdhsa_float_round_mode_32 0
		.amdhsa_float_round_mode_16_64 0
		.amdhsa_float_denorm_mode_32 3
		.amdhsa_float_denorm_mode_16_64 3
		.amdhsa_dx10_clamp 1
		.amdhsa_ieee_mode 1
		.amdhsa_fp16_overflow 0
		.amdhsa_workgroup_processor_mode 1
		.amdhsa_memory_ordered 1
		.amdhsa_forward_progress 0
		.amdhsa_shared_vgpr_count 0
		.amdhsa_exception_fp_ieee_invalid_op 0
		.amdhsa_exception_fp_denorm_src 0
		.amdhsa_exception_fp_ieee_div_zero 0
		.amdhsa_exception_fp_ieee_overflow 0
		.amdhsa_exception_fp_ieee_underflow 0
		.amdhsa_exception_fp_ieee_inexact 0
		.amdhsa_exception_int_div_zero 0
	.end_amdhsa_kernel
	.section	.text._ZL15flash_attn_tileILi64ELi64ELi8ELi4ELb1EEvPKcS1_S1_S1_S1_PKiPfP15HIP_vector_typeIfLj2EEffffjfiS5_IjLj3EEiiiiiiiiiiiliiliiiiil,"axG",@progbits,_ZL15flash_attn_tileILi64ELi64ELi8ELi4ELb1EEvPKcS1_S1_S1_S1_PKiPfP15HIP_vector_typeIfLj2EEffffjfiS5_IjLj3EEiiiiiiiiiiiliiliiiiil,comdat
.Lfunc_end79:
	.size	_ZL15flash_attn_tileILi64ELi64ELi8ELi4ELb1EEvPKcS1_S1_S1_S1_PKiPfP15HIP_vector_typeIfLj2EEffffjfiS5_IjLj3EEiiiiiiiiiiiliiliiiiil, .Lfunc_end79-_ZL15flash_attn_tileILi64ELi64ELi8ELi4ELb1EEvPKcS1_S1_S1_S1_PKiPfP15HIP_vector_typeIfLj2EEffffjfiS5_IjLj3EEiiiiiiiiiiiliiliiiiil
                                        ; -- End function
	.section	.AMDGPU.csdata,"",@progbits
; Kernel info:
; codeLenInByte = 44
; NumSgprs: 36
; NumVgprs: 37
; ScratchSize: 16
; MemoryBound: 0
; FloatMode: 240
; IeeeMode: 1
; LDSByteSize: 0 bytes/workgroup (compile time only)
; SGPRBlocks: 4
; VGPRBlocks: 4
; NumSGPRsForWavesPerEU: 36
; NumVGPRsForWavesPerEU: 37
; Occupancy: 16
; WaveLimiterHint : 1
; COMPUTE_PGM_RSRC2:SCRATCH_EN: 1
; COMPUTE_PGM_RSRC2:USER_SGPR: 15
; COMPUTE_PGM_RSRC2:TRAP_HANDLER: 0
; COMPUTE_PGM_RSRC2:TGID_X_EN: 1
; COMPUTE_PGM_RSRC2:TGID_Y_EN: 0
; COMPUTE_PGM_RSRC2:TGID_Z_EN: 0
; COMPUTE_PGM_RSRC2:TIDIG_COMP_CNT: 0
	.section	.text._ZL15flash_attn_tileILi64ELi64ELi4ELi4ELb1EEvPKcS1_S1_S1_S1_PKiPfP15HIP_vector_typeIfLj2EEffffjfiS5_IjLj3EEiiiiiiiiiiiliiliiiiil,"axG",@progbits,_ZL15flash_attn_tileILi64ELi64ELi4ELi4ELb1EEvPKcS1_S1_S1_S1_PKiPfP15HIP_vector_typeIfLj2EEffffjfiS5_IjLj3EEiiiiiiiiiiiliiliiiiil,comdat
	.globl	_ZL15flash_attn_tileILi64ELi64ELi4ELi4ELb1EEvPKcS1_S1_S1_S1_PKiPfP15HIP_vector_typeIfLj2EEffffjfiS5_IjLj3EEiiiiiiiiiiiliiliiiiil ; -- Begin function _ZL15flash_attn_tileILi64ELi64ELi4ELi4ELb1EEvPKcS1_S1_S1_S1_PKiPfP15HIP_vector_typeIfLj2EEffffjfiS5_IjLj3EEiiiiiiiiiiiliiliiiiil
	.p2align	8
	.type	_ZL15flash_attn_tileILi64ELi64ELi4ELi4ELb1EEvPKcS1_S1_S1_S1_PKiPfP15HIP_vector_typeIfLj2EEffffjfiS5_IjLj3EEiiiiiiiiiiiliiliiiiil,@function
_ZL15flash_attn_tileILi64ELi64ELi4ELi4ELb1EEvPKcS1_S1_S1_S1_PKiPfP15HIP_vector_typeIfLj2EEffffjfiS5_IjLj3EEiiiiiiiiiiiliiliiiiil: ; @_ZL15flash_attn_tileILi64ELi64ELi4ELi4ELb1EEvPKcS1_S1_S1_S1_PKiPfP15HIP_vector_typeIfLj2EEffffjfiS5_IjLj3EEiiiiiiiiiiiliiliiiiil
; %bb.0:
	s_add_u32 s8, s0, 0xd0
	s_addc_u32 s9, s1, 0
	s_mov_b32 s32, 0
	s_getpc_b64 s[0:1]
	s_add_u32 s0, s0, _ZL14no_device_codePKciS0_iS0_@rel32@lo+4
	s_addc_u32 s1, s1, _ZL14no_device_codePKciS0_iS0_@rel32@hi+12
	s_delay_alu instid0(SALU_CYCLE_1)
	s_swappc_b64 s[30:31], s[0:1]
	.section	.rodata,"a",@progbits
	.p2align	6, 0x0
	.amdhsa_kernel _ZL15flash_attn_tileILi64ELi64ELi4ELi4ELb1EEvPKcS1_S1_S1_S1_PKiPfP15HIP_vector_typeIfLj2EEffffjfiS5_IjLj3EEiiiiiiiiiiiliiliiiiil
		.amdhsa_group_segment_fixed_size 0
		.amdhsa_private_segment_fixed_size 16
		.amdhsa_kernarg_size 464
		.amdhsa_user_sgpr_count 15
		.amdhsa_user_sgpr_dispatch_ptr 0
		.amdhsa_user_sgpr_queue_ptr 0
		.amdhsa_user_sgpr_kernarg_segment_ptr 1
		.amdhsa_user_sgpr_dispatch_id 0
		.amdhsa_user_sgpr_private_segment_size 0
		.amdhsa_wavefront_size32 1
		.amdhsa_uses_dynamic_stack 0
		.amdhsa_enable_private_segment 1
		.amdhsa_system_sgpr_workgroup_id_x 1
		.amdhsa_system_sgpr_workgroup_id_y 0
		.amdhsa_system_sgpr_workgroup_id_z 0
		.amdhsa_system_sgpr_workgroup_info 0
		.amdhsa_system_vgpr_workitem_id 0
		.amdhsa_next_free_vgpr 37
		.amdhsa_next_free_sgpr 34
		.amdhsa_reserve_vcc 1
		.amdhsa_float_round_mode_32 0
		.amdhsa_float_round_mode_16_64 0
		.amdhsa_float_denorm_mode_32 3
		.amdhsa_float_denorm_mode_16_64 3
		.amdhsa_dx10_clamp 1
		.amdhsa_ieee_mode 1
		.amdhsa_fp16_overflow 0
		.amdhsa_workgroup_processor_mode 1
		.amdhsa_memory_ordered 1
		.amdhsa_forward_progress 0
		.amdhsa_shared_vgpr_count 0
		.amdhsa_exception_fp_ieee_invalid_op 0
		.amdhsa_exception_fp_denorm_src 0
		.amdhsa_exception_fp_ieee_div_zero 0
		.amdhsa_exception_fp_ieee_overflow 0
		.amdhsa_exception_fp_ieee_underflow 0
		.amdhsa_exception_fp_ieee_inexact 0
		.amdhsa_exception_int_div_zero 0
	.end_amdhsa_kernel
	.section	.text._ZL15flash_attn_tileILi64ELi64ELi4ELi4ELb1EEvPKcS1_S1_S1_S1_PKiPfP15HIP_vector_typeIfLj2EEffffjfiS5_IjLj3EEiiiiiiiiiiiliiliiiiil,"axG",@progbits,_ZL15flash_attn_tileILi64ELi64ELi4ELi4ELb1EEvPKcS1_S1_S1_S1_PKiPfP15HIP_vector_typeIfLj2EEffffjfiS5_IjLj3EEiiiiiiiiiiiliiliiiiil,comdat
.Lfunc_end80:
	.size	_ZL15flash_attn_tileILi64ELi64ELi4ELi4ELb1EEvPKcS1_S1_S1_S1_PKiPfP15HIP_vector_typeIfLj2EEffffjfiS5_IjLj3EEiiiiiiiiiiiliiliiiiil, .Lfunc_end80-_ZL15flash_attn_tileILi64ELi64ELi4ELi4ELb1EEvPKcS1_S1_S1_S1_PKiPfP15HIP_vector_typeIfLj2EEffffjfiS5_IjLj3EEiiiiiiiiiiiliiliiiiil
                                        ; -- End function
	.section	.AMDGPU.csdata,"",@progbits
; Kernel info:
; codeLenInByte = 44
; NumSgprs: 36
; NumVgprs: 37
; ScratchSize: 16
; MemoryBound: 0
; FloatMode: 240
; IeeeMode: 1
; LDSByteSize: 0 bytes/workgroup (compile time only)
; SGPRBlocks: 4
; VGPRBlocks: 4
; NumSGPRsForWavesPerEU: 36
; NumVGPRsForWavesPerEU: 37
; Occupancy: 16
; WaveLimiterHint : 1
; COMPUTE_PGM_RSRC2:SCRATCH_EN: 1
; COMPUTE_PGM_RSRC2:USER_SGPR: 15
; COMPUTE_PGM_RSRC2:TRAP_HANDLER: 0
; COMPUTE_PGM_RSRC2:TGID_X_EN: 1
; COMPUTE_PGM_RSRC2:TGID_Y_EN: 0
; COMPUTE_PGM_RSRC2:TGID_Z_EN: 0
; COMPUTE_PGM_RSRC2:TIDIG_COMP_CNT: 0
	.section	.text._ZL15flash_attn_tileILi64ELi64ELi2ELi4ELb1EEvPKcS1_S1_S1_S1_PKiPfP15HIP_vector_typeIfLj2EEffffjfiS5_IjLj3EEiiiiiiiiiiiliiliiiiil,"axG",@progbits,_ZL15flash_attn_tileILi64ELi64ELi2ELi4ELb1EEvPKcS1_S1_S1_S1_PKiPfP15HIP_vector_typeIfLj2EEffffjfiS5_IjLj3EEiiiiiiiiiiiliiliiiiil,comdat
	.globl	_ZL15flash_attn_tileILi64ELi64ELi2ELi4ELb1EEvPKcS1_S1_S1_S1_PKiPfP15HIP_vector_typeIfLj2EEffffjfiS5_IjLj3EEiiiiiiiiiiiliiliiiiil ; -- Begin function _ZL15flash_attn_tileILi64ELi64ELi2ELi4ELb1EEvPKcS1_S1_S1_S1_PKiPfP15HIP_vector_typeIfLj2EEffffjfiS5_IjLj3EEiiiiiiiiiiiliiliiiiil
	.p2align	8
	.type	_ZL15flash_attn_tileILi64ELi64ELi2ELi4ELb1EEvPKcS1_S1_S1_S1_PKiPfP15HIP_vector_typeIfLj2EEffffjfiS5_IjLj3EEiiiiiiiiiiiliiliiiiil,@function
_ZL15flash_attn_tileILi64ELi64ELi2ELi4ELb1EEvPKcS1_S1_S1_S1_PKiPfP15HIP_vector_typeIfLj2EEffffjfiS5_IjLj3EEiiiiiiiiiiiliiliiiiil: ; @_ZL15flash_attn_tileILi64ELi64ELi2ELi4ELb1EEvPKcS1_S1_S1_S1_PKiPfP15HIP_vector_typeIfLj2EEffffjfiS5_IjLj3EEiiiiiiiiiiiliiliiiiil
; %bb.0:
	s_add_u32 s8, s0, 0xd0
	s_addc_u32 s9, s1, 0
	s_mov_b32 s32, 0
	s_getpc_b64 s[0:1]
	s_add_u32 s0, s0, _ZL14no_device_codePKciS0_iS0_@rel32@lo+4
	s_addc_u32 s1, s1, _ZL14no_device_codePKciS0_iS0_@rel32@hi+12
	s_delay_alu instid0(SALU_CYCLE_1)
	s_swappc_b64 s[30:31], s[0:1]
	.section	.rodata,"a",@progbits
	.p2align	6, 0x0
	.amdhsa_kernel _ZL15flash_attn_tileILi64ELi64ELi2ELi4ELb1EEvPKcS1_S1_S1_S1_PKiPfP15HIP_vector_typeIfLj2EEffffjfiS5_IjLj3EEiiiiiiiiiiiliiliiiiil
		.amdhsa_group_segment_fixed_size 0
		.amdhsa_private_segment_fixed_size 16
		.amdhsa_kernarg_size 464
		.amdhsa_user_sgpr_count 15
		.amdhsa_user_sgpr_dispatch_ptr 0
		.amdhsa_user_sgpr_queue_ptr 0
		.amdhsa_user_sgpr_kernarg_segment_ptr 1
		.amdhsa_user_sgpr_dispatch_id 0
		.amdhsa_user_sgpr_private_segment_size 0
		.amdhsa_wavefront_size32 1
		.amdhsa_uses_dynamic_stack 0
		.amdhsa_enable_private_segment 1
		.amdhsa_system_sgpr_workgroup_id_x 1
		.amdhsa_system_sgpr_workgroup_id_y 0
		.amdhsa_system_sgpr_workgroup_id_z 0
		.amdhsa_system_sgpr_workgroup_info 0
		.amdhsa_system_vgpr_workitem_id 0
		.amdhsa_next_free_vgpr 37
		.amdhsa_next_free_sgpr 34
		.amdhsa_reserve_vcc 1
		.amdhsa_float_round_mode_32 0
		.amdhsa_float_round_mode_16_64 0
		.amdhsa_float_denorm_mode_32 3
		.amdhsa_float_denorm_mode_16_64 3
		.amdhsa_dx10_clamp 1
		.amdhsa_ieee_mode 1
		.amdhsa_fp16_overflow 0
		.amdhsa_workgroup_processor_mode 1
		.amdhsa_memory_ordered 1
		.amdhsa_forward_progress 0
		.amdhsa_shared_vgpr_count 0
		.amdhsa_exception_fp_ieee_invalid_op 0
		.amdhsa_exception_fp_denorm_src 0
		.amdhsa_exception_fp_ieee_div_zero 0
		.amdhsa_exception_fp_ieee_overflow 0
		.amdhsa_exception_fp_ieee_underflow 0
		.amdhsa_exception_fp_ieee_inexact 0
		.amdhsa_exception_int_div_zero 0
	.end_amdhsa_kernel
	.section	.text._ZL15flash_attn_tileILi64ELi64ELi2ELi4ELb1EEvPKcS1_S1_S1_S1_PKiPfP15HIP_vector_typeIfLj2EEffffjfiS5_IjLj3EEiiiiiiiiiiiliiliiiiil,"axG",@progbits,_ZL15flash_attn_tileILi64ELi64ELi2ELi4ELb1EEvPKcS1_S1_S1_S1_PKiPfP15HIP_vector_typeIfLj2EEffffjfiS5_IjLj3EEiiiiiiiiiiiliiliiiiil,comdat
.Lfunc_end81:
	.size	_ZL15flash_attn_tileILi64ELi64ELi2ELi4ELb1EEvPKcS1_S1_S1_S1_PKiPfP15HIP_vector_typeIfLj2EEffffjfiS5_IjLj3EEiiiiiiiiiiiliiliiiiil, .Lfunc_end81-_ZL15flash_attn_tileILi64ELi64ELi2ELi4ELb1EEvPKcS1_S1_S1_S1_PKiPfP15HIP_vector_typeIfLj2EEffffjfiS5_IjLj3EEiiiiiiiiiiiliiliiiiil
                                        ; -- End function
	.section	.AMDGPU.csdata,"",@progbits
; Kernel info:
; codeLenInByte = 44
; NumSgprs: 36
; NumVgprs: 37
; ScratchSize: 16
; MemoryBound: 0
; FloatMode: 240
; IeeeMode: 1
; LDSByteSize: 0 bytes/workgroup (compile time only)
; SGPRBlocks: 4
; VGPRBlocks: 4
; NumSGPRsForWavesPerEU: 36
; NumVGPRsForWavesPerEU: 37
; Occupancy: 16
; WaveLimiterHint : 1
; COMPUTE_PGM_RSRC2:SCRATCH_EN: 1
; COMPUTE_PGM_RSRC2:USER_SGPR: 15
; COMPUTE_PGM_RSRC2:TRAP_HANDLER: 0
; COMPUTE_PGM_RSRC2:TGID_X_EN: 1
; COMPUTE_PGM_RSRC2:TGID_Y_EN: 0
; COMPUTE_PGM_RSRC2:TGID_Z_EN: 0
; COMPUTE_PGM_RSRC2:TIDIG_COMP_CNT: 0
	.section	.text._ZL15flash_attn_tileILi64ELi64ELi1ELi4ELb1EEvPKcS1_S1_S1_S1_PKiPfP15HIP_vector_typeIfLj2EEffffjfiS5_IjLj3EEiiiiiiiiiiiliiliiiiil,"axG",@progbits,_ZL15flash_attn_tileILi64ELi64ELi1ELi4ELb1EEvPKcS1_S1_S1_S1_PKiPfP15HIP_vector_typeIfLj2EEffffjfiS5_IjLj3EEiiiiiiiiiiiliiliiiiil,comdat
	.globl	_ZL15flash_attn_tileILi64ELi64ELi1ELi4ELb1EEvPKcS1_S1_S1_S1_PKiPfP15HIP_vector_typeIfLj2EEffffjfiS5_IjLj3EEiiiiiiiiiiiliiliiiiil ; -- Begin function _ZL15flash_attn_tileILi64ELi64ELi1ELi4ELb1EEvPKcS1_S1_S1_S1_PKiPfP15HIP_vector_typeIfLj2EEffffjfiS5_IjLj3EEiiiiiiiiiiiliiliiiiil
	.p2align	8
	.type	_ZL15flash_attn_tileILi64ELi64ELi1ELi4ELb1EEvPKcS1_S1_S1_S1_PKiPfP15HIP_vector_typeIfLj2EEffffjfiS5_IjLj3EEiiiiiiiiiiiliiliiiiil,@function
_ZL15flash_attn_tileILi64ELi64ELi1ELi4ELb1EEvPKcS1_S1_S1_S1_PKiPfP15HIP_vector_typeIfLj2EEffffjfiS5_IjLj3EEiiiiiiiiiiiliiliiiiil: ; @_ZL15flash_attn_tileILi64ELi64ELi1ELi4ELb1EEvPKcS1_S1_S1_S1_PKiPfP15HIP_vector_typeIfLj2EEffffjfiS5_IjLj3EEiiiiiiiiiiiliiliiiiil
; %bb.0:
	s_add_u32 s8, s0, 0xd0
	s_addc_u32 s9, s1, 0
	s_mov_b32 s32, 0
	s_getpc_b64 s[0:1]
	s_add_u32 s0, s0, _ZL14no_device_codePKciS0_iS0_@rel32@lo+4
	s_addc_u32 s1, s1, _ZL14no_device_codePKciS0_iS0_@rel32@hi+12
	s_delay_alu instid0(SALU_CYCLE_1)
	s_swappc_b64 s[30:31], s[0:1]
	.section	.rodata,"a",@progbits
	.p2align	6, 0x0
	.amdhsa_kernel _ZL15flash_attn_tileILi64ELi64ELi1ELi4ELb1EEvPKcS1_S1_S1_S1_PKiPfP15HIP_vector_typeIfLj2EEffffjfiS5_IjLj3EEiiiiiiiiiiiliiliiiiil
		.amdhsa_group_segment_fixed_size 0
		.amdhsa_private_segment_fixed_size 16
		.amdhsa_kernarg_size 464
		.amdhsa_user_sgpr_count 15
		.amdhsa_user_sgpr_dispatch_ptr 0
		.amdhsa_user_sgpr_queue_ptr 0
		.amdhsa_user_sgpr_kernarg_segment_ptr 1
		.amdhsa_user_sgpr_dispatch_id 0
		.amdhsa_user_sgpr_private_segment_size 0
		.amdhsa_wavefront_size32 1
		.amdhsa_uses_dynamic_stack 0
		.amdhsa_enable_private_segment 1
		.amdhsa_system_sgpr_workgroup_id_x 1
		.amdhsa_system_sgpr_workgroup_id_y 0
		.amdhsa_system_sgpr_workgroup_id_z 0
		.amdhsa_system_sgpr_workgroup_info 0
		.amdhsa_system_vgpr_workitem_id 0
		.amdhsa_next_free_vgpr 37
		.amdhsa_next_free_sgpr 34
		.amdhsa_reserve_vcc 1
		.amdhsa_float_round_mode_32 0
		.amdhsa_float_round_mode_16_64 0
		.amdhsa_float_denorm_mode_32 3
		.amdhsa_float_denorm_mode_16_64 3
		.amdhsa_dx10_clamp 1
		.amdhsa_ieee_mode 1
		.amdhsa_fp16_overflow 0
		.amdhsa_workgroup_processor_mode 1
		.amdhsa_memory_ordered 1
		.amdhsa_forward_progress 0
		.amdhsa_shared_vgpr_count 0
		.amdhsa_exception_fp_ieee_invalid_op 0
		.amdhsa_exception_fp_denorm_src 0
		.amdhsa_exception_fp_ieee_div_zero 0
		.amdhsa_exception_fp_ieee_overflow 0
		.amdhsa_exception_fp_ieee_underflow 0
		.amdhsa_exception_fp_ieee_inexact 0
		.amdhsa_exception_int_div_zero 0
	.end_amdhsa_kernel
	.section	.text._ZL15flash_attn_tileILi64ELi64ELi1ELi4ELb1EEvPKcS1_S1_S1_S1_PKiPfP15HIP_vector_typeIfLj2EEffffjfiS5_IjLj3EEiiiiiiiiiiiliiliiiiil,"axG",@progbits,_ZL15flash_attn_tileILi64ELi64ELi1ELi4ELb1EEvPKcS1_S1_S1_S1_PKiPfP15HIP_vector_typeIfLj2EEffffjfiS5_IjLj3EEiiiiiiiiiiiliiliiiiil,comdat
.Lfunc_end82:
	.size	_ZL15flash_attn_tileILi64ELi64ELi1ELi4ELb1EEvPKcS1_S1_S1_S1_PKiPfP15HIP_vector_typeIfLj2EEffffjfiS5_IjLj3EEiiiiiiiiiiiliiliiiiil, .Lfunc_end82-_ZL15flash_attn_tileILi64ELi64ELi1ELi4ELb1EEvPKcS1_S1_S1_S1_PKiPfP15HIP_vector_typeIfLj2EEffffjfiS5_IjLj3EEiiiiiiiiiiiliiliiiiil
                                        ; -- End function
	.section	.AMDGPU.csdata,"",@progbits
; Kernel info:
; codeLenInByte = 44
; NumSgprs: 36
; NumVgprs: 37
; ScratchSize: 16
; MemoryBound: 0
; FloatMode: 240
; IeeeMode: 1
; LDSByteSize: 0 bytes/workgroup (compile time only)
; SGPRBlocks: 4
; VGPRBlocks: 4
; NumSGPRsForWavesPerEU: 36
; NumVGPRsForWavesPerEU: 37
; Occupancy: 16
; WaveLimiterHint : 1
; COMPUTE_PGM_RSRC2:SCRATCH_EN: 1
; COMPUTE_PGM_RSRC2:USER_SGPR: 15
; COMPUTE_PGM_RSRC2:TRAP_HANDLER: 0
; COMPUTE_PGM_RSRC2:TGID_X_EN: 1
; COMPUTE_PGM_RSRC2:TGID_Y_EN: 0
; COMPUTE_PGM_RSRC2:TGID_Z_EN: 0
; COMPUTE_PGM_RSRC2:TIDIG_COMP_CNT: 0
	.section	.text._ZL15flash_attn_tileILi64ELi64ELi32ELi2ELb1EEvPKcS1_S1_S1_S1_PKiPfP15HIP_vector_typeIfLj2EEffffjfiS5_IjLj3EEiiiiiiiiiiiliiliiiiil,"axG",@progbits,_ZL15flash_attn_tileILi64ELi64ELi32ELi2ELb1EEvPKcS1_S1_S1_S1_PKiPfP15HIP_vector_typeIfLj2EEffffjfiS5_IjLj3EEiiiiiiiiiiiliiliiiiil,comdat
	.globl	_ZL15flash_attn_tileILi64ELi64ELi32ELi2ELb1EEvPKcS1_S1_S1_S1_PKiPfP15HIP_vector_typeIfLj2EEffffjfiS5_IjLj3EEiiiiiiiiiiiliiliiiiil ; -- Begin function _ZL15flash_attn_tileILi64ELi64ELi32ELi2ELb1EEvPKcS1_S1_S1_S1_PKiPfP15HIP_vector_typeIfLj2EEffffjfiS5_IjLj3EEiiiiiiiiiiiliiliiiiil
	.p2align	8
	.type	_ZL15flash_attn_tileILi64ELi64ELi32ELi2ELb1EEvPKcS1_S1_S1_S1_PKiPfP15HIP_vector_typeIfLj2EEffffjfiS5_IjLj3EEiiiiiiiiiiiliiliiiiil,@function
_ZL15flash_attn_tileILi64ELi64ELi32ELi2ELb1EEvPKcS1_S1_S1_S1_PKiPfP15HIP_vector_typeIfLj2EEffffjfiS5_IjLj3EEiiiiiiiiiiiliiliiiiil: ; @_ZL15flash_attn_tileILi64ELi64ELi32ELi2ELb1EEvPKcS1_S1_S1_S1_PKiPfP15HIP_vector_typeIfLj2EEffffjfiS5_IjLj3EEiiiiiiiiiiiliiliiiiil
; %bb.0:
	s_add_u32 s8, s0, 0xd0
	s_addc_u32 s9, s1, 0
	s_mov_b32 s32, 0
	s_getpc_b64 s[0:1]
	s_add_u32 s0, s0, _ZL14no_device_codePKciS0_iS0_@rel32@lo+4
	s_addc_u32 s1, s1, _ZL14no_device_codePKciS0_iS0_@rel32@hi+12
	s_delay_alu instid0(SALU_CYCLE_1)
	s_swappc_b64 s[30:31], s[0:1]
	.section	.rodata,"a",@progbits
	.p2align	6, 0x0
	.amdhsa_kernel _ZL15flash_attn_tileILi64ELi64ELi32ELi2ELb1EEvPKcS1_S1_S1_S1_PKiPfP15HIP_vector_typeIfLj2EEffffjfiS5_IjLj3EEiiiiiiiiiiiliiliiiiil
		.amdhsa_group_segment_fixed_size 0
		.amdhsa_private_segment_fixed_size 16
		.amdhsa_kernarg_size 464
		.amdhsa_user_sgpr_count 15
		.amdhsa_user_sgpr_dispatch_ptr 0
		.amdhsa_user_sgpr_queue_ptr 0
		.amdhsa_user_sgpr_kernarg_segment_ptr 1
		.amdhsa_user_sgpr_dispatch_id 0
		.amdhsa_user_sgpr_private_segment_size 0
		.amdhsa_wavefront_size32 1
		.amdhsa_uses_dynamic_stack 0
		.amdhsa_enable_private_segment 1
		.amdhsa_system_sgpr_workgroup_id_x 1
		.amdhsa_system_sgpr_workgroup_id_y 0
		.amdhsa_system_sgpr_workgroup_id_z 0
		.amdhsa_system_sgpr_workgroup_info 0
		.amdhsa_system_vgpr_workitem_id 0
		.amdhsa_next_free_vgpr 37
		.amdhsa_next_free_sgpr 34
		.amdhsa_reserve_vcc 1
		.amdhsa_float_round_mode_32 0
		.amdhsa_float_round_mode_16_64 0
		.amdhsa_float_denorm_mode_32 3
		.amdhsa_float_denorm_mode_16_64 3
		.amdhsa_dx10_clamp 1
		.amdhsa_ieee_mode 1
		.amdhsa_fp16_overflow 0
		.amdhsa_workgroup_processor_mode 1
		.amdhsa_memory_ordered 1
		.amdhsa_forward_progress 0
		.amdhsa_shared_vgpr_count 0
		.amdhsa_exception_fp_ieee_invalid_op 0
		.amdhsa_exception_fp_denorm_src 0
		.amdhsa_exception_fp_ieee_div_zero 0
		.amdhsa_exception_fp_ieee_overflow 0
		.amdhsa_exception_fp_ieee_underflow 0
		.amdhsa_exception_fp_ieee_inexact 0
		.amdhsa_exception_int_div_zero 0
	.end_amdhsa_kernel
	.section	.text._ZL15flash_attn_tileILi64ELi64ELi32ELi2ELb1EEvPKcS1_S1_S1_S1_PKiPfP15HIP_vector_typeIfLj2EEffffjfiS5_IjLj3EEiiiiiiiiiiiliiliiiiil,"axG",@progbits,_ZL15flash_attn_tileILi64ELi64ELi32ELi2ELb1EEvPKcS1_S1_S1_S1_PKiPfP15HIP_vector_typeIfLj2EEffffjfiS5_IjLj3EEiiiiiiiiiiiliiliiiiil,comdat
.Lfunc_end83:
	.size	_ZL15flash_attn_tileILi64ELi64ELi32ELi2ELb1EEvPKcS1_S1_S1_S1_PKiPfP15HIP_vector_typeIfLj2EEffffjfiS5_IjLj3EEiiiiiiiiiiiliiliiiiil, .Lfunc_end83-_ZL15flash_attn_tileILi64ELi64ELi32ELi2ELb1EEvPKcS1_S1_S1_S1_PKiPfP15HIP_vector_typeIfLj2EEffffjfiS5_IjLj3EEiiiiiiiiiiiliiliiiiil
                                        ; -- End function
	.section	.AMDGPU.csdata,"",@progbits
; Kernel info:
; codeLenInByte = 44
; NumSgprs: 36
; NumVgprs: 37
; ScratchSize: 16
; MemoryBound: 0
; FloatMode: 240
; IeeeMode: 1
; LDSByteSize: 0 bytes/workgroup (compile time only)
; SGPRBlocks: 4
; VGPRBlocks: 4
; NumSGPRsForWavesPerEU: 36
; NumVGPRsForWavesPerEU: 37
; Occupancy: 16
; WaveLimiterHint : 1
; COMPUTE_PGM_RSRC2:SCRATCH_EN: 1
; COMPUTE_PGM_RSRC2:USER_SGPR: 15
; COMPUTE_PGM_RSRC2:TRAP_HANDLER: 0
; COMPUTE_PGM_RSRC2:TGID_X_EN: 1
; COMPUTE_PGM_RSRC2:TGID_Y_EN: 0
; COMPUTE_PGM_RSRC2:TGID_Z_EN: 0
; COMPUTE_PGM_RSRC2:TIDIG_COMP_CNT: 0
	.section	.text._ZL15flash_attn_tileILi64ELi64ELi16ELi2ELb1EEvPKcS1_S1_S1_S1_PKiPfP15HIP_vector_typeIfLj2EEffffjfiS5_IjLj3EEiiiiiiiiiiiliiliiiiil,"axG",@progbits,_ZL15flash_attn_tileILi64ELi64ELi16ELi2ELb1EEvPKcS1_S1_S1_S1_PKiPfP15HIP_vector_typeIfLj2EEffffjfiS5_IjLj3EEiiiiiiiiiiiliiliiiiil,comdat
	.globl	_ZL15flash_attn_tileILi64ELi64ELi16ELi2ELb1EEvPKcS1_S1_S1_S1_PKiPfP15HIP_vector_typeIfLj2EEffffjfiS5_IjLj3EEiiiiiiiiiiiliiliiiiil ; -- Begin function _ZL15flash_attn_tileILi64ELi64ELi16ELi2ELb1EEvPKcS1_S1_S1_S1_PKiPfP15HIP_vector_typeIfLj2EEffffjfiS5_IjLj3EEiiiiiiiiiiiliiliiiiil
	.p2align	8
	.type	_ZL15flash_attn_tileILi64ELi64ELi16ELi2ELb1EEvPKcS1_S1_S1_S1_PKiPfP15HIP_vector_typeIfLj2EEffffjfiS5_IjLj3EEiiiiiiiiiiiliiliiiiil,@function
_ZL15flash_attn_tileILi64ELi64ELi16ELi2ELb1EEvPKcS1_S1_S1_S1_PKiPfP15HIP_vector_typeIfLj2EEffffjfiS5_IjLj3EEiiiiiiiiiiiliiliiiiil: ; @_ZL15flash_attn_tileILi64ELi64ELi16ELi2ELb1EEvPKcS1_S1_S1_S1_PKiPfP15HIP_vector_typeIfLj2EEffffjfiS5_IjLj3EEiiiiiiiiiiiliiliiiiil
; %bb.0:
	s_add_u32 s8, s0, 0xd0
	s_addc_u32 s9, s1, 0
	s_mov_b32 s32, 0
	s_getpc_b64 s[0:1]
	s_add_u32 s0, s0, _ZL14no_device_codePKciS0_iS0_@rel32@lo+4
	s_addc_u32 s1, s1, _ZL14no_device_codePKciS0_iS0_@rel32@hi+12
	s_delay_alu instid0(SALU_CYCLE_1)
	s_swappc_b64 s[30:31], s[0:1]
	.section	.rodata,"a",@progbits
	.p2align	6, 0x0
	.amdhsa_kernel _ZL15flash_attn_tileILi64ELi64ELi16ELi2ELb1EEvPKcS1_S1_S1_S1_PKiPfP15HIP_vector_typeIfLj2EEffffjfiS5_IjLj3EEiiiiiiiiiiiliiliiiiil
		.amdhsa_group_segment_fixed_size 0
		.amdhsa_private_segment_fixed_size 16
		.amdhsa_kernarg_size 464
		.amdhsa_user_sgpr_count 15
		.amdhsa_user_sgpr_dispatch_ptr 0
		.amdhsa_user_sgpr_queue_ptr 0
		.amdhsa_user_sgpr_kernarg_segment_ptr 1
		.amdhsa_user_sgpr_dispatch_id 0
		.amdhsa_user_sgpr_private_segment_size 0
		.amdhsa_wavefront_size32 1
		.amdhsa_uses_dynamic_stack 0
		.amdhsa_enable_private_segment 1
		.amdhsa_system_sgpr_workgroup_id_x 1
		.amdhsa_system_sgpr_workgroup_id_y 0
		.amdhsa_system_sgpr_workgroup_id_z 0
		.amdhsa_system_sgpr_workgroup_info 0
		.amdhsa_system_vgpr_workitem_id 0
		.amdhsa_next_free_vgpr 37
		.amdhsa_next_free_sgpr 34
		.amdhsa_reserve_vcc 1
		.amdhsa_float_round_mode_32 0
		.amdhsa_float_round_mode_16_64 0
		.amdhsa_float_denorm_mode_32 3
		.amdhsa_float_denorm_mode_16_64 3
		.amdhsa_dx10_clamp 1
		.amdhsa_ieee_mode 1
		.amdhsa_fp16_overflow 0
		.amdhsa_workgroup_processor_mode 1
		.amdhsa_memory_ordered 1
		.amdhsa_forward_progress 0
		.amdhsa_shared_vgpr_count 0
		.amdhsa_exception_fp_ieee_invalid_op 0
		.amdhsa_exception_fp_denorm_src 0
		.amdhsa_exception_fp_ieee_div_zero 0
		.amdhsa_exception_fp_ieee_overflow 0
		.amdhsa_exception_fp_ieee_underflow 0
		.amdhsa_exception_fp_ieee_inexact 0
		.amdhsa_exception_int_div_zero 0
	.end_amdhsa_kernel
	.section	.text._ZL15flash_attn_tileILi64ELi64ELi16ELi2ELb1EEvPKcS1_S1_S1_S1_PKiPfP15HIP_vector_typeIfLj2EEffffjfiS5_IjLj3EEiiiiiiiiiiiliiliiiiil,"axG",@progbits,_ZL15flash_attn_tileILi64ELi64ELi16ELi2ELb1EEvPKcS1_S1_S1_S1_PKiPfP15HIP_vector_typeIfLj2EEffffjfiS5_IjLj3EEiiiiiiiiiiiliiliiiiil,comdat
.Lfunc_end84:
	.size	_ZL15flash_attn_tileILi64ELi64ELi16ELi2ELb1EEvPKcS1_S1_S1_S1_PKiPfP15HIP_vector_typeIfLj2EEffffjfiS5_IjLj3EEiiiiiiiiiiiliiliiiiil, .Lfunc_end84-_ZL15flash_attn_tileILi64ELi64ELi16ELi2ELb1EEvPKcS1_S1_S1_S1_PKiPfP15HIP_vector_typeIfLj2EEffffjfiS5_IjLj3EEiiiiiiiiiiiliiliiiiil
                                        ; -- End function
	.section	.AMDGPU.csdata,"",@progbits
; Kernel info:
; codeLenInByte = 44
; NumSgprs: 36
; NumVgprs: 37
; ScratchSize: 16
; MemoryBound: 0
; FloatMode: 240
; IeeeMode: 1
; LDSByteSize: 0 bytes/workgroup (compile time only)
; SGPRBlocks: 4
; VGPRBlocks: 4
; NumSGPRsForWavesPerEU: 36
; NumVGPRsForWavesPerEU: 37
; Occupancy: 16
; WaveLimiterHint : 1
; COMPUTE_PGM_RSRC2:SCRATCH_EN: 1
; COMPUTE_PGM_RSRC2:USER_SGPR: 15
; COMPUTE_PGM_RSRC2:TRAP_HANDLER: 0
; COMPUTE_PGM_RSRC2:TGID_X_EN: 1
; COMPUTE_PGM_RSRC2:TGID_Y_EN: 0
; COMPUTE_PGM_RSRC2:TGID_Z_EN: 0
; COMPUTE_PGM_RSRC2:TIDIG_COMP_CNT: 0
	.section	.text._ZL15flash_attn_tileILi64ELi64ELi8ELi2ELb1EEvPKcS1_S1_S1_S1_PKiPfP15HIP_vector_typeIfLj2EEffffjfiS5_IjLj3EEiiiiiiiiiiiliiliiiiil,"axG",@progbits,_ZL15flash_attn_tileILi64ELi64ELi8ELi2ELb1EEvPKcS1_S1_S1_S1_PKiPfP15HIP_vector_typeIfLj2EEffffjfiS5_IjLj3EEiiiiiiiiiiiliiliiiiil,comdat
	.globl	_ZL15flash_attn_tileILi64ELi64ELi8ELi2ELb1EEvPKcS1_S1_S1_S1_PKiPfP15HIP_vector_typeIfLj2EEffffjfiS5_IjLj3EEiiiiiiiiiiiliiliiiiil ; -- Begin function _ZL15flash_attn_tileILi64ELi64ELi8ELi2ELb1EEvPKcS1_S1_S1_S1_PKiPfP15HIP_vector_typeIfLj2EEffffjfiS5_IjLj3EEiiiiiiiiiiiliiliiiiil
	.p2align	8
	.type	_ZL15flash_attn_tileILi64ELi64ELi8ELi2ELb1EEvPKcS1_S1_S1_S1_PKiPfP15HIP_vector_typeIfLj2EEffffjfiS5_IjLj3EEiiiiiiiiiiiliiliiiiil,@function
_ZL15flash_attn_tileILi64ELi64ELi8ELi2ELb1EEvPKcS1_S1_S1_S1_PKiPfP15HIP_vector_typeIfLj2EEffffjfiS5_IjLj3EEiiiiiiiiiiiliiliiiiil: ; @_ZL15flash_attn_tileILi64ELi64ELi8ELi2ELb1EEvPKcS1_S1_S1_S1_PKiPfP15HIP_vector_typeIfLj2EEffffjfiS5_IjLj3EEiiiiiiiiiiiliiliiiiil
; %bb.0:
	s_add_u32 s8, s0, 0xd0
	s_addc_u32 s9, s1, 0
	s_mov_b32 s32, 0
	s_getpc_b64 s[0:1]
	s_add_u32 s0, s0, _ZL14no_device_codePKciS0_iS0_@rel32@lo+4
	s_addc_u32 s1, s1, _ZL14no_device_codePKciS0_iS0_@rel32@hi+12
	s_delay_alu instid0(SALU_CYCLE_1)
	s_swappc_b64 s[30:31], s[0:1]
	.section	.rodata,"a",@progbits
	.p2align	6, 0x0
	.amdhsa_kernel _ZL15flash_attn_tileILi64ELi64ELi8ELi2ELb1EEvPKcS1_S1_S1_S1_PKiPfP15HIP_vector_typeIfLj2EEffffjfiS5_IjLj3EEiiiiiiiiiiiliiliiiiil
		.amdhsa_group_segment_fixed_size 0
		.amdhsa_private_segment_fixed_size 16
		.amdhsa_kernarg_size 464
		.amdhsa_user_sgpr_count 15
		.amdhsa_user_sgpr_dispatch_ptr 0
		.amdhsa_user_sgpr_queue_ptr 0
		.amdhsa_user_sgpr_kernarg_segment_ptr 1
		.amdhsa_user_sgpr_dispatch_id 0
		.amdhsa_user_sgpr_private_segment_size 0
		.amdhsa_wavefront_size32 1
		.amdhsa_uses_dynamic_stack 0
		.amdhsa_enable_private_segment 1
		.amdhsa_system_sgpr_workgroup_id_x 1
		.amdhsa_system_sgpr_workgroup_id_y 0
		.amdhsa_system_sgpr_workgroup_id_z 0
		.amdhsa_system_sgpr_workgroup_info 0
		.amdhsa_system_vgpr_workitem_id 0
		.amdhsa_next_free_vgpr 37
		.amdhsa_next_free_sgpr 34
		.amdhsa_reserve_vcc 1
		.amdhsa_float_round_mode_32 0
		.amdhsa_float_round_mode_16_64 0
		.amdhsa_float_denorm_mode_32 3
		.amdhsa_float_denorm_mode_16_64 3
		.amdhsa_dx10_clamp 1
		.amdhsa_ieee_mode 1
		.amdhsa_fp16_overflow 0
		.amdhsa_workgroup_processor_mode 1
		.amdhsa_memory_ordered 1
		.amdhsa_forward_progress 0
		.amdhsa_shared_vgpr_count 0
		.amdhsa_exception_fp_ieee_invalid_op 0
		.amdhsa_exception_fp_denorm_src 0
		.amdhsa_exception_fp_ieee_div_zero 0
		.amdhsa_exception_fp_ieee_overflow 0
		.amdhsa_exception_fp_ieee_underflow 0
		.amdhsa_exception_fp_ieee_inexact 0
		.amdhsa_exception_int_div_zero 0
	.end_amdhsa_kernel
	.section	.text._ZL15flash_attn_tileILi64ELi64ELi8ELi2ELb1EEvPKcS1_S1_S1_S1_PKiPfP15HIP_vector_typeIfLj2EEffffjfiS5_IjLj3EEiiiiiiiiiiiliiliiiiil,"axG",@progbits,_ZL15flash_attn_tileILi64ELi64ELi8ELi2ELb1EEvPKcS1_S1_S1_S1_PKiPfP15HIP_vector_typeIfLj2EEffffjfiS5_IjLj3EEiiiiiiiiiiiliiliiiiil,comdat
.Lfunc_end85:
	.size	_ZL15flash_attn_tileILi64ELi64ELi8ELi2ELb1EEvPKcS1_S1_S1_S1_PKiPfP15HIP_vector_typeIfLj2EEffffjfiS5_IjLj3EEiiiiiiiiiiiliiliiiiil, .Lfunc_end85-_ZL15flash_attn_tileILi64ELi64ELi8ELi2ELb1EEvPKcS1_S1_S1_S1_PKiPfP15HIP_vector_typeIfLj2EEffffjfiS5_IjLj3EEiiiiiiiiiiiliiliiiiil
                                        ; -- End function
	.section	.AMDGPU.csdata,"",@progbits
; Kernel info:
; codeLenInByte = 44
; NumSgprs: 36
; NumVgprs: 37
; ScratchSize: 16
; MemoryBound: 0
; FloatMode: 240
; IeeeMode: 1
; LDSByteSize: 0 bytes/workgroup (compile time only)
; SGPRBlocks: 4
; VGPRBlocks: 4
; NumSGPRsForWavesPerEU: 36
; NumVGPRsForWavesPerEU: 37
; Occupancy: 16
; WaveLimiterHint : 1
; COMPUTE_PGM_RSRC2:SCRATCH_EN: 1
; COMPUTE_PGM_RSRC2:USER_SGPR: 15
; COMPUTE_PGM_RSRC2:TRAP_HANDLER: 0
; COMPUTE_PGM_RSRC2:TGID_X_EN: 1
; COMPUTE_PGM_RSRC2:TGID_Y_EN: 0
; COMPUTE_PGM_RSRC2:TGID_Z_EN: 0
; COMPUTE_PGM_RSRC2:TIDIG_COMP_CNT: 0
	.section	.text._ZL15flash_attn_tileILi64ELi64ELi4ELi2ELb1EEvPKcS1_S1_S1_S1_PKiPfP15HIP_vector_typeIfLj2EEffffjfiS5_IjLj3EEiiiiiiiiiiiliiliiiiil,"axG",@progbits,_ZL15flash_attn_tileILi64ELi64ELi4ELi2ELb1EEvPKcS1_S1_S1_S1_PKiPfP15HIP_vector_typeIfLj2EEffffjfiS5_IjLj3EEiiiiiiiiiiiliiliiiiil,comdat
	.globl	_ZL15flash_attn_tileILi64ELi64ELi4ELi2ELb1EEvPKcS1_S1_S1_S1_PKiPfP15HIP_vector_typeIfLj2EEffffjfiS5_IjLj3EEiiiiiiiiiiiliiliiiiil ; -- Begin function _ZL15flash_attn_tileILi64ELi64ELi4ELi2ELb1EEvPKcS1_S1_S1_S1_PKiPfP15HIP_vector_typeIfLj2EEffffjfiS5_IjLj3EEiiiiiiiiiiiliiliiiiil
	.p2align	8
	.type	_ZL15flash_attn_tileILi64ELi64ELi4ELi2ELb1EEvPKcS1_S1_S1_S1_PKiPfP15HIP_vector_typeIfLj2EEffffjfiS5_IjLj3EEiiiiiiiiiiiliiliiiiil,@function
_ZL15flash_attn_tileILi64ELi64ELi4ELi2ELb1EEvPKcS1_S1_S1_S1_PKiPfP15HIP_vector_typeIfLj2EEffffjfiS5_IjLj3EEiiiiiiiiiiiliiliiiiil: ; @_ZL15flash_attn_tileILi64ELi64ELi4ELi2ELb1EEvPKcS1_S1_S1_S1_PKiPfP15HIP_vector_typeIfLj2EEffffjfiS5_IjLj3EEiiiiiiiiiiiliiliiiiil
; %bb.0:
	s_add_u32 s8, s0, 0xd0
	s_addc_u32 s9, s1, 0
	s_mov_b32 s32, 0
	s_getpc_b64 s[0:1]
	s_add_u32 s0, s0, _ZL14no_device_codePKciS0_iS0_@rel32@lo+4
	s_addc_u32 s1, s1, _ZL14no_device_codePKciS0_iS0_@rel32@hi+12
	s_delay_alu instid0(SALU_CYCLE_1)
	s_swappc_b64 s[30:31], s[0:1]
	.section	.rodata,"a",@progbits
	.p2align	6, 0x0
	.amdhsa_kernel _ZL15flash_attn_tileILi64ELi64ELi4ELi2ELb1EEvPKcS1_S1_S1_S1_PKiPfP15HIP_vector_typeIfLj2EEffffjfiS5_IjLj3EEiiiiiiiiiiiliiliiiiil
		.amdhsa_group_segment_fixed_size 0
		.amdhsa_private_segment_fixed_size 16
		.amdhsa_kernarg_size 464
		.amdhsa_user_sgpr_count 15
		.amdhsa_user_sgpr_dispatch_ptr 0
		.amdhsa_user_sgpr_queue_ptr 0
		.amdhsa_user_sgpr_kernarg_segment_ptr 1
		.amdhsa_user_sgpr_dispatch_id 0
		.amdhsa_user_sgpr_private_segment_size 0
		.amdhsa_wavefront_size32 1
		.amdhsa_uses_dynamic_stack 0
		.amdhsa_enable_private_segment 1
		.amdhsa_system_sgpr_workgroup_id_x 1
		.amdhsa_system_sgpr_workgroup_id_y 0
		.amdhsa_system_sgpr_workgroup_id_z 0
		.amdhsa_system_sgpr_workgroup_info 0
		.amdhsa_system_vgpr_workitem_id 0
		.amdhsa_next_free_vgpr 37
		.amdhsa_next_free_sgpr 34
		.amdhsa_reserve_vcc 1
		.amdhsa_float_round_mode_32 0
		.amdhsa_float_round_mode_16_64 0
		.amdhsa_float_denorm_mode_32 3
		.amdhsa_float_denorm_mode_16_64 3
		.amdhsa_dx10_clamp 1
		.amdhsa_ieee_mode 1
		.amdhsa_fp16_overflow 0
		.amdhsa_workgroup_processor_mode 1
		.amdhsa_memory_ordered 1
		.amdhsa_forward_progress 0
		.amdhsa_shared_vgpr_count 0
		.amdhsa_exception_fp_ieee_invalid_op 0
		.amdhsa_exception_fp_denorm_src 0
		.amdhsa_exception_fp_ieee_div_zero 0
		.amdhsa_exception_fp_ieee_overflow 0
		.amdhsa_exception_fp_ieee_underflow 0
		.amdhsa_exception_fp_ieee_inexact 0
		.amdhsa_exception_int_div_zero 0
	.end_amdhsa_kernel
	.section	.text._ZL15flash_attn_tileILi64ELi64ELi4ELi2ELb1EEvPKcS1_S1_S1_S1_PKiPfP15HIP_vector_typeIfLj2EEffffjfiS5_IjLj3EEiiiiiiiiiiiliiliiiiil,"axG",@progbits,_ZL15flash_attn_tileILi64ELi64ELi4ELi2ELb1EEvPKcS1_S1_S1_S1_PKiPfP15HIP_vector_typeIfLj2EEffffjfiS5_IjLj3EEiiiiiiiiiiiliiliiiiil,comdat
.Lfunc_end86:
	.size	_ZL15flash_attn_tileILi64ELi64ELi4ELi2ELb1EEvPKcS1_S1_S1_S1_PKiPfP15HIP_vector_typeIfLj2EEffffjfiS5_IjLj3EEiiiiiiiiiiiliiliiiiil, .Lfunc_end86-_ZL15flash_attn_tileILi64ELi64ELi4ELi2ELb1EEvPKcS1_S1_S1_S1_PKiPfP15HIP_vector_typeIfLj2EEffffjfiS5_IjLj3EEiiiiiiiiiiiliiliiiiil
                                        ; -- End function
	.section	.AMDGPU.csdata,"",@progbits
; Kernel info:
; codeLenInByte = 44
; NumSgprs: 36
; NumVgprs: 37
; ScratchSize: 16
; MemoryBound: 0
; FloatMode: 240
; IeeeMode: 1
; LDSByteSize: 0 bytes/workgroup (compile time only)
; SGPRBlocks: 4
; VGPRBlocks: 4
; NumSGPRsForWavesPerEU: 36
; NumVGPRsForWavesPerEU: 37
; Occupancy: 16
; WaveLimiterHint : 1
; COMPUTE_PGM_RSRC2:SCRATCH_EN: 1
; COMPUTE_PGM_RSRC2:USER_SGPR: 15
; COMPUTE_PGM_RSRC2:TRAP_HANDLER: 0
; COMPUTE_PGM_RSRC2:TGID_X_EN: 1
; COMPUTE_PGM_RSRC2:TGID_Y_EN: 0
; COMPUTE_PGM_RSRC2:TGID_Z_EN: 0
; COMPUTE_PGM_RSRC2:TIDIG_COMP_CNT: 0
	.section	.text._ZL15flash_attn_tileILi64ELi64ELi2ELi2ELb1EEvPKcS1_S1_S1_S1_PKiPfP15HIP_vector_typeIfLj2EEffffjfiS5_IjLj3EEiiiiiiiiiiiliiliiiiil,"axG",@progbits,_ZL15flash_attn_tileILi64ELi64ELi2ELi2ELb1EEvPKcS1_S1_S1_S1_PKiPfP15HIP_vector_typeIfLj2EEffffjfiS5_IjLj3EEiiiiiiiiiiiliiliiiiil,comdat
	.globl	_ZL15flash_attn_tileILi64ELi64ELi2ELi2ELb1EEvPKcS1_S1_S1_S1_PKiPfP15HIP_vector_typeIfLj2EEffffjfiS5_IjLj3EEiiiiiiiiiiiliiliiiiil ; -- Begin function _ZL15flash_attn_tileILi64ELi64ELi2ELi2ELb1EEvPKcS1_S1_S1_S1_PKiPfP15HIP_vector_typeIfLj2EEffffjfiS5_IjLj3EEiiiiiiiiiiiliiliiiiil
	.p2align	8
	.type	_ZL15flash_attn_tileILi64ELi64ELi2ELi2ELb1EEvPKcS1_S1_S1_S1_PKiPfP15HIP_vector_typeIfLj2EEffffjfiS5_IjLj3EEiiiiiiiiiiiliiliiiiil,@function
_ZL15flash_attn_tileILi64ELi64ELi2ELi2ELb1EEvPKcS1_S1_S1_S1_PKiPfP15HIP_vector_typeIfLj2EEffffjfiS5_IjLj3EEiiiiiiiiiiiliiliiiiil: ; @_ZL15flash_attn_tileILi64ELi64ELi2ELi2ELb1EEvPKcS1_S1_S1_S1_PKiPfP15HIP_vector_typeIfLj2EEffffjfiS5_IjLj3EEiiiiiiiiiiiliiliiiiil
; %bb.0:
	s_add_u32 s8, s0, 0xd0
	s_addc_u32 s9, s1, 0
	s_mov_b32 s32, 0
	s_getpc_b64 s[0:1]
	s_add_u32 s0, s0, _ZL14no_device_codePKciS0_iS0_@rel32@lo+4
	s_addc_u32 s1, s1, _ZL14no_device_codePKciS0_iS0_@rel32@hi+12
	s_delay_alu instid0(SALU_CYCLE_1)
	s_swappc_b64 s[30:31], s[0:1]
	.section	.rodata,"a",@progbits
	.p2align	6, 0x0
	.amdhsa_kernel _ZL15flash_attn_tileILi64ELi64ELi2ELi2ELb1EEvPKcS1_S1_S1_S1_PKiPfP15HIP_vector_typeIfLj2EEffffjfiS5_IjLj3EEiiiiiiiiiiiliiliiiiil
		.amdhsa_group_segment_fixed_size 0
		.amdhsa_private_segment_fixed_size 16
		.amdhsa_kernarg_size 464
		.amdhsa_user_sgpr_count 15
		.amdhsa_user_sgpr_dispatch_ptr 0
		.amdhsa_user_sgpr_queue_ptr 0
		.amdhsa_user_sgpr_kernarg_segment_ptr 1
		.amdhsa_user_sgpr_dispatch_id 0
		.amdhsa_user_sgpr_private_segment_size 0
		.amdhsa_wavefront_size32 1
		.amdhsa_uses_dynamic_stack 0
		.amdhsa_enable_private_segment 1
		.amdhsa_system_sgpr_workgroup_id_x 1
		.amdhsa_system_sgpr_workgroup_id_y 0
		.amdhsa_system_sgpr_workgroup_id_z 0
		.amdhsa_system_sgpr_workgroup_info 0
		.amdhsa_system_vgpr_workitem_id 0
		.amdhsa_next_free_vgpr 37
		.amdhsa_next_free_sgpr 34
		.amdhsa_reserve_vcc 1
		.amdhsa_float_round_mode_32 0
		.amdhsa_float_round_mode_16_64 0
		.amdhsa_float_denorm_mode_32 3
		.amdhsa_float_denorm_mode_16_64 3
		.amdhsa_dx10_clamp 1
		.amdhsa_ieee_mode 1
		.amdhsa_fp16_overflow 0
		.amdhsa_workgroup_processor_mode 1
		.amdhsa_memory_ordered 1
		.amdhsa_forward_progress 0
		.amdhsa_shared_vgpr_count 0
		.amdhsa_exception_fp_ieee_invalid_op 0
		.amdhsa_exception_fp_denorm_src 0
		.amdhsa_exception_fp_ieee_div_zero 0
		.amdhsa_exception_fp_ieee_overflow 0
		.amdhsa_exception_fp_ieee_underflow 0
		.amdhsa_exception_fp_ieee_inexact 0
		.amdhsa_exception_int_div_zero 0
	.end_amdhsa_kernel
	.section	.text._ZL15flash_attn_tileILi64ELi64ELi2ELi2ELb1EEvPKcS1_S1_S1_S1_PKiPfP15HIP_vector_typeIfLj2EEffffjfiS5_IjLj3EEiiiiiiiiiiiliiliiiiil,"axG",@progbits,_ZL15flash_attn_tileILi64ELi64ELi2ELi2ELb1EEvPKcS1_S1_S1_S1_PKiPfP15HIP_vector_typeIfLj2EEffffjfiS5_IjLj3EEiiiiiiiiiiiliiliiiiil,comdat
.Lfunc_end87:
	.size	_ZL15flash_attn_tileILi64ELi64ELi2ELi2ELb1EEvPKcS1_S1_S1_S1_PKiPfP15HIP_vector_typeIfLj2EEffffjfiS5_IjLj3EEiiiiiiiiiiiliiliiiiil, .Lfunc_end87-_ZL15flash_attn_tileILi64ELi64ELi2ELi2ELb1EEvPKcS1_S1_S1_S1_PKiPfP15HIP_vector_typeIfLj2EEffffjfiS5_IjLj3EEiiiiiiiiiiiliiliiiiil
                                        ; -- End function
	.section	.AMDGPU.csdata,"",@progbits
; Kernel info:
; codeLenInByte = 44
; NumSgprs: 36
; NumVgprs: 37
; ScratchSize: 16
; MemoryBound: 0
; FloatMode: 240
; IeeeMode: 1
; LDSByteSize: 0 bytes/workgroup (compile time only)
; SGPRBlocks: 4
; VGPRBlocks: 4
; NumSGPRsForWavesPerEU: 36
; NumVGPRsForWavesPerEU: 37
; Occupancy: 16
; WaveLimiterHint : 1
; COMPUTE_PGM_RSRC2:SCRATCH_EN: 1
; COMPUTE_PGM_RSRC2:USER_SGPR: 15
; COMPUTE_PGM_RSRC2:TRAP_HANDLER: 0
; COMPUTE_PGM_RSRC2:TGID_X_EN: 1
; COMPUTE_PGM_RSRC2:TGID_Y_EN: 0
; COMPUTE_PGM_RSRC2:TGID_Z_EN: 0
; COMPUTE_PGM_RSRC2:TIDIG_COMP_CNT: 0
	.section	.text._ZL15flash_attn_tileILi64ELi64ELi1ELi2ELb1EEvPKcS1_S1_S1_S1_PKiPfP15HIP_vector_typeIfLj2EEffffjfiS5_IjLj3EEiiiiiiiiiiiliiliiiiil,"axG",@progbits,_ZL15flash_attn_tileILi64ELi64ELi1ELi2ELb1EEvPKcS1_S1_S1_S1_PKiPfP15HIP_vector_typeIfLj2EEffffjfiS5_IjLj3EEiiiiiiiiiiiliiliiiiil,comdat
	.globl	_ZL15flash_attn_tileILi64ELi64ELi1ELi2ELb1EEvPKcS1_S1_S1_S1_PKiPfP15HIP_vector_typeIfLj2EEffffjfiS5_IjLj3EEiiiiiiiiiiiliiliiiiil ; -- Begin function _ZL15flash_attn_tileILi64ELi64ELi1ELi2ELb1EEvPKcS1_S1_S1_S1_PKiPfP15HIP_vector_typeIfLj2EEffffjfiS5_IjLj3EEiiiiiiiiiiiliiliiiiil
	.p2align	8
	.type	_ZL15flash_attn_tileILi64ELi64ELi1ELi2ELb1EEvPKcS1_S1_S1_S1_PKiPfP15HIP_vector_typeIfLj2EEffffjfiS5_IjLj3EEiiiiiiiiiiiliiliiiiil,@function
_ZL15flash_attn_tileILi64ELi64ELi1ELi2ELb1EEvPKcS1_S1_S1_S1_PKiPfP15HIP_vector_typeIfLj2EEffffjfiS5_IjLj3EEiiiiiiiiiiiliiliiiiil: ; @_ZL15flash_attn_tileILi64ELi64ELi1ELi2ELb1EEvPKcS1_S1_S1_S1_PKiPfP15HIP_vector_typeIfLj2EEffffjfiS5_IjLj3EEiiiiiiiiiiiliiliiiiil
; %bb.0:
	s_add_u32 s8, s0, 0xd0
	s_addc_u32 s9, s1, 0
	s_mov_b32 s32, 0
	s_getpc_b64 s[0:1]
	s_add_u32 s0, s0, _ZL14no_device_codePKciS0_iS0_@rel32@lo+4
	s_addc_u32 s1, s1, _ZL14no_device_codePKciS0_iS0_@rel32@hi+12
	s_delay_alu instid0(SALU_CYCLE_1)
	s_swappc_b64 s[30:31], s[0:1]
	.section	.rodata,"a",@progbits
	.p2align	6, 0x0
	.amdhsa_kernel _ZL15flash_attn_tileILi64ELi64ELi1ELi2ELb1EEvPKcS1_S1_S1_S1_PKiPfP15HIP_vector_typeIfLj2EEffffjfiS5_IjLj3EEiiiiiiiiiiiliiliiiiil
		.amdhsa_group_segment_fixed_size 0
		.amdhsa_private_segment_fixed_size 16
		.amdhsa_kernarg_size 464
		.amdhsa_user_sgpr_count 15
		.amdhsa_user_sgpr_dispatch_ptr 0
		.amdhsa_user_sgpr_queue_ptr 0
		.amdhsa_user_sgpr_kernarg_segment_ptr 1
		.amdhsa_user_sgpr_dispatch_id 0
		.amdhsa_user_sgpr_private_segment_size 0
		.amdhsa_wavefront_size32 1
		.amdhsa_uses_dynamic_stack 0
		.amdhsa_enable_private_segment 1
		.amdhsa_system_sgpr_workgroup_id_x 1
		.amdhsa_system_sgpr_workgroup_id_y 0
		.amdhsa_system_sgpr_workgroup_id_z 0
		.amdhsa_system_sgpr_workgroup_info 0
		.amdhsa_system_vgpr_workitem_id 0
		.amdhsa_next_free_vgpr 37
		.amdhsa_next_free_sgpr 34
		.amdhsa_reserve_vcc 1
		.amdhsa_float_round_mode_32 0
		.amdhsa_float_round_mode_16_64 0
		.amdhsa_float_denorm_mode_32 3
		.amdhsa_float_denorm_mode_16_64 3
		.amdhsa_dx10_clamp 1
		.amdhsa_ieee_mode 1
		.amdhsa_fp16_overflow 0
		.amdhsa_workgroup_processor_mode 1
		.amdhsa_memory_ordered 1
		.amdhsa_forward_progress 0
		.amdhsa_shared_vgpr_count 0
		.amdhsa_exception_fp_ieee_invalid_op 0
		.amdhsa_exception_fp_denorm_src 0
		.amdhsa_exception_fp_ieee_div_zero 0
		.amdhsa_exception_fp_ieee_overflow 0
		.amdhsa_exception_fp_ieee_underflow 0
		.amdhsa_exception_fp_ieee_inexact 0
		.amdhsa_exception_int_div_zero 0
	.end_amdhsa_kernel
	.section	.text._ZL15flash_attn_tileILi64ELi64ELi1ELi2ELb1EEvPKcS1_S1_S1_S1_PKiPfP15HIP_vector_typeIfLj2EEffffjfiS5_IjLj3EEiiiiiiiiiiiliiliiiiil,"axG",@progbits,_ZL15flash_attn_tileILi64ELi64ELi1ELi2ELb1EEvPKcS1_S1_S1_S1_PKiPfP15HIP_vector_typeIfLj2EEffffjfiS5_IjLj3EEiiiiiiiiiiiliiliiiiil,comdat
.Lfunc_end88:
	.size	_ZL15flash_attn_tileILi64ELi64ELi1ELi2ELb1EEvPKcS1_S1_S1_S1_PKiPfP15HIP_vector_typeIfLj2EEffffjfiS5_IjLj3EEiiiiiiiiiiiliiliiiiil, .Lfunc_end88-_ZL15flash_attn_tileILi64ELi64ELi1ELi2ELb1EEvPKcS1_S1_S1_S1_PKiPfP15HIP_vector_typeIfLj2EEffffjfiS5_IjLj3EEiiiiiiiiiiiliiliiiiil
                                        ; -- End function
	.section	.AMDGPU.csdata,"",@progbits
; Kernel info:
; codeLenInByte = 44
; NumSgprs: 36
; NumVgprs: 37
; ScratchSize: 16
; MemoryBound: 0
; FloatMode: 240
; IeeeMode: 1
; LDSByteSize: 0 bytes/workgroup (compile time only)
; SGPRBlocks: 4
; VGPRBlocks: 4
; NumSGPRsForWavesPerEU: 36
; NumVGPRsForWavesPerEU: 37
; Occupancy: 16
; WaveLimiterHint : 1
; COMPUTE_PGM_RSRC2:SCRATCH_EN: 1
; COMPUTE_PGM_RSRC2:USER_SGPR: 15
; COMPUTE_PGM_RSRC2:TRAP_HANDLER: 0
; COMPUTE_PGM_RSRC2:TGID_X_EN: 1
; COMPUTE_PGM_RSRC2:TGID_Y_EN: 0
; COMPUTE_PGM_RSRC2:TGID_Z_EN: 0
; COMPUTE_PGM_RSRC2:TIDIG_COMP_CNT: 0
	.section	.text._ZL15flash_attn_tileILi64ELi64ELi64ELi1ELb1EEvPKcS1_S1_S1_S1_PKiPfP15HIP_vector_typeIfLj2EEffffjfiS5_IjLj3EEiiiiiiiiiiiliiliiiiil,"axG",@progbits,_ZL15flash_attn_tileILi64ELi64ELi64ELi1ELb1EEvPKcS1_S1_S1_S1_PKiPfP15HIP_vector_typeIfLj2EEffffjfiS5_IjLj3EEiiiiiiiiiiiliiliiiiil,comdat
	.globl	_ZL15flash_attn_tileILi64ELi64ELi64ELi1ELb1EEvPKcS1_S1_S1_S1_PKiPfP15HIP_vector_typeIfLj2EEffffjfiS5_IjLj3EEiiiiiiiiiiiliiliiiiil ; -- Begin function _ZL15flash_attn_tileILi64ELi64ELi64ELi1ELb1EEvPKcS1_S1_S1_S1_PKiPfP15HIP_vector_typeIfLj2EEffffjfiS5_IjLj3EEiiiiiiiiiiiliiliiiiil
	.p2align	8
	.type	_ZL15flash_attn_tileILi64ELi64ELi64ELi1ELb1EEvPKcS1_S1_S1_S1_PKiPfP15HIP_vector_typeIfLj2EEffffjfiS5_IjLj3EEiiiiiiiiiiiliiliiiiil,@function
_ZL15flash_attn_tileILi64ELi64ELi64ELi1ELb1EEvPKcS1_S1_S1_S1_PKiPfP15HIP_vector_typeIfLj2EEffffjfiS5_IjLj3EEiiiiiiiiiiiliiliiiiil: ; @_ZL15flash_attn_tileILi64ELi64ELi64ELi1ELb1EEvPKcS1_S1_S1_S1_PKiPfP15HIP_vector_typeIfLj2EEffffjfiS5_IjLj3EEiiiiiiiiiiiliiliiiiil
; %bb.0:
	s_add_u32 s8, s0, 0xd0
	s_addc_u32 s9, s1, 0
	s_mov_b32 s32, 0
	s_getpc_b64 s[0:1]
	s_add_u32 s0, s0, _ZL14no_device_codePKciS0_iS0_@rel32@lo+4
	s_addc_u32 s1, s1, _ZL14no_device_codePKciS0_iS0_@rel32@hi+12
	s_delay_alu instid0(SALU_CYCLE_1)
	s_swappc_b64 s[30:31], s[0:1]
	.section	.rodata,"a",@progbits
	.p2align	6, 0x0
	.amdhsa_kernel _ZL15flash_attn_tileILi64ELi64ELi64ELi1ELb1EEvPKcS1_S1_S1_S1_PKiPfP15HIP_vector_typeIfLj2EEffffjfiS5_IjLj3EEiiiiiiiiiiiliiliiiiil
		.amdhsa_group_segment_fixed_size 0
		.amdhsa_private_segment_fixed_size 16
		.amdhsa_kernarg_size 464
		.amdhsa_user_sgpr_count 15
		.amdhsa_user_sgpr_dispatch_ptr 0
		.amdhsa_user_sgpr_queue_ptr 0
		.amdhsa_user_sgpr_kernarg_segment_ptr 1
		.amdhsa_user_sgpr_dispatch_id 0
		.amdhsa_user_sgpr_private_segment_size 0
		.amdhsa_wavefront_size32 1
		.amdhsa_uses_dynamic_stack 0
		.amdhsa_enable_private_segment 1
		.amdhsa_system_sgpr_workgroup_id_x 1
		.amdhsa_system_sgpr_workgroup_id_y 0
		.amdhsa_system_sgpr_workgroup_id_z 0
		.amdhsa_system_sgpr_workgroup_info 0
		.amdhsa_system_vgpr_workitem_id 0
		.amdhsa_next_free_vgpr 37
		.amdhsa_next_free_sgpr 34
		.amdhsa_reserve_vcc 1
		.amdhsa_float_round_mode_32 0
		.amdhsa_float_round_mode_16_64 0
		.amdhsa_float_denorm_mode_32 3
		.amdhsa_float_denorm_mode_16_64 3
		.amdhsa_dx10_clamp 1
		.amdhsa_ieee_mode 1
		.amdhsa_fp16_overflow 0
		.amdhsa_workgroup_processor_mode 1
		.amdhsa_memory_ordered 1
		.amdhsa_forward_progress 0
		.amdhsa_shared_vgpr_count 0
		.amdhsa_exception_fp_ieee_invalid_op 0
		.amdhsa_exception_fp_denorm_src 0
		.amdhsa_exception_fp_ieee_div_zero 0
		.amdhsa_exception_fp_ieee_overflow 0
		.amdhsa_exception_fp_ieee_underflow 0
		.amdhsa_exception_fp_ieee_inexact 0
		.amdhsa_exception_int_div_zero 0
	.end_amdhsa_kernel
	.section	.text._ZL15flash_attn_tileILi64ELi64ELi64ELi1ELb1EEvPKcS1_S1_S1_S1_PKiPfP15HIP_vector_typeIfLj2EEffffjfiS5_IjLj3EEiiiiiiiiiiiliiliiiiil,"axG",@progbits,_ZL15flash_attn_tileILi64ELi64ELi64ELi1ELb1EEvPKcS1_S1_S1_S1_PKiPfP15HIP_vector_typeIfLj2EEffffjfiS5_IjLj3EEiiiiiiiiiiiliiliiiiil,comdat
.Lfunc_end89:
	.size	_ZL15flash_attn_tileILi64ELi64ELi64ELi1ELb1EEvPKcS1_S1_S1_S1_PKiPfP15HIP_vector_typeIfLj2EEffffjfiS5_IjLj3EEiiiiiiiiiiiliiliiiiil, .Lfunc_end89-_ZL15flash_attn_tileILi64ELi64ELi64ELi1ELb1EEvPKcS1_S1_S1_S1_PKiPfP15HIP_vector_typeIfLj2EEffffjfiS5_IjLj3EEiiiiiiiiiiiliiliiiiil
                                        ; -- End function
	.section	.AMDGPU.csdata,"",@progbits
; Kernel info:
; codeLenInByte = 44
; NumSgprs: 36
; NumVgprs: 37
; ScratchSize: 16
; MemoryBound: 0
; FloatMode: 240
; IeeeMode: 1
; LDSByteSize: 0 bytes/workgroup (compile time only)
; SGPRBlocks: 4
; VGPRBlocks: 4
; NumSGPRsForWavesPerEU: 36
; NumVGPRsForWavesPerEU: 37
; Occupancy: 16
; WaveLimiterHint : 1
; COMPUTE_PGM_RSRC2:SCRATCH_EN: 1
; COMPUTE_PGM_RSRC2:USER_SGPR: 15
; COMPUTE_PGM_RSRC2:TRAP_HANDLER: 0
; COMPUTE_PGM_RSRC2:TGID_X_EN: 1
; COMPUTE_PGM_RSRC2:TGID_Y_EN: 0
; COMPUTE_PGM_RSRC2:TGID_Z_EN: 0
; COMPUTE_PGM_RSRC2:TIDIG_COMP_CNT: 0
	.section	.text._ZL15flash_attn_tileILi64ELi64ELi32ELi1ELb1EEvPKcS1_S1_S1_S1_PKiPfP15HIP_vector_typeIfLj2EEffffjfiS5_IjLj3EEiiiiiiiiiiiliiliiiiil,"axG",@progbits,_ZL15flash_attn_tileILi64ELi64ELi32ELi1ELb1EEvPKcS1_S1_S1_S1_PKiPfP15HIP_vector_typeIfLj2EEffffjfiS5_IjLj3EEiiiiiiiiiiiliiliiiiil,comdat
	.globl	_ZL15flash_attn_tileILi64ELi64ELi32ELi1ELb1EEvPKcS1_S1_S1_S1_PKiPfP15HIP_vector_typeIfLj2EEffffjfiS5_IjLj3EEiiiiiiiiiiiliiliiiiil ; -- Begin function _ZL15flash_attn_tileILi64ELi64ELi32ELi1ELb1EEvPKcS1_S1_S1_S1_PKiPfP15HIP_vector_typeIfLj2EEffffjfiS5_IjLj3EEiiiiiiiiiiiliiliiiiil
	.p2align	8
	.type	_ZL15flash_attn_tileILi64ELi64ELi32ELi1ELb1EEvPKcS1_S1_S1_S1_PKiPfP15HIP_vector_typeIfLj2EEffffjfiS5_IjLj3EEiiiiiiiiiiiliiliiiiil,@function
_ZL15flash_attn_tileILi64ELi64ELi32ELi1ELb1EEvPKcS1_S1_S1_S1_PKiPfP15HIP_vector_typeIfLj2EEffffjfiS5_IjLj3EEiiiiiiiiiiiliiliiiiil: ; @_ZL15flash_attn_tileILi64ELi64ELi32ELi1ELb1EEvPKcS1_S1_S1_S1_PKiPfP15HIP_vector_typeIfLj2EEffffjfiS5_IjLj3EEiiiiiiiiiiiliiliiiiil
; %bb.0:
	s_add_u32 s8, s0, 0xd0
	s_addc_u32 s9, s1, 0
	s_mov_b32 s32, 0
	s_getpc_b64 s[0:1]
	s_add_u32 s0, s0, _ZL14no_device_codePKciS0_iS0_@rel32@lo+4
	s_addc_u32 s1, s1, _ZL14no_device_codePKciS0_iS0_@rel32@hi+12
	s_delay_alu instid0(SALU_CYCLE_1)
	s_swappc_b64 s[30:31], s[0:1]
	.section	.rodata,"a",@progbits
	.p2align	6, 0x0
	.amdhsa_kernel _ZL15flash_attn_tileILi64ELi64ELi32ELi1ELb1EEvPKcS1_S1_S1_S1_PKiPfP15HIP_vector_typeIfLj2EEffffjfiS5_IjLj3EEiiiiiiiiiiiliiliiiiil
		.amdhsa_group_segment_fixed_size 0
		.amdhsa_private_segment_fixed_size 16
		.amdhsa_kernarg_size 464
		.amdhsa_user_sgpr_count 15
		.amdhsa_user_sgpr_dispatch_ptr 0
		.amdhsa_user_sgpr_queue_ptr 0
		.amdhsa_user_sgpr_kernarg_segment_ptr 1
		.amdhsa_user_sgpr_dispatch_id 0
		.amdhsa_user_sgpr_private_segment_size 0
		.amdhsa_wavefront_size32 1
		.amdhsa_uses_dynamic_stack 0
		.amdhsa_enable_private_segment 1
		.amdhsa_system_sgpr_workgroup_id_x 1
		.amdhsa_system_sgpr_workgroup_id_y 0
		.amdhsa_system_sgpr_workgroup_id_z 0
		.amdhsa_system_sgpr_workgroup_info 0
		.amdhsa_system_vgpr_workitem_id 0
		.amdhsa_next_free_vgpr 37
		.amdhsa_next_free_sgpr 34
		.amdhsa_reserve_vcc 1
		.amdhsa_float_round_mode_32 0
		.amdhsa_float_round_mode_16_64 0
		.amdhsa_float_denorm_mode_32 3
		.amdhsa_float_denorm_mode_16_64 3
		.amdhsa_dx10_clamp 1
		.amdhsa_ieee_mode 1
		.amdhsa_fp16_overflow 0
		.amdhsa_workgroup_processor_mode 1
		.amdhsa_memory_ordered 1
		.amdhsa_forward_progress 0
		.amdhsa_shared_vgpr_count 0
		.amdhsa_exception_fp_ieee_invalid_op 0
		.amdhsa_exception_fp_denorm_src 0
		.amdhsa_exception_fp_ieee_div_zero 0
		.amdhsa_exception_fp_ieee_overflow 0
		.amdhsa_exception_fp_ieee_underflow 0
		.amdhsa_exception_fp_ieee_inexact 0
		.amdhsa_exception_int_div_zero 0
	.end_amdhsa_kernel
	.section	.text._ZL15flash_attn_tileILi64ELi64ELi32ELi1ELb1EEvPKcS1_S1_S1_S1_PKiPfP15HIP_vector_typeIfLj2EEffffjfiS5_IjLj3EEiiiiiiiiiiiliiliiiiil,"axG",@progbits,_ZL15flash_attn_tileILi64ELi64ELi32ELi1ELb1EEvPKcS1_S1_S1_S1_PKiPfP15HIP_vector_typeIfLj2EEffffjfiS5_IjLj3EEiiiiiiiiiiiliiliiiiil,comdat
.Lfunc_end90:
	.size	_ZL15flash_attn_tileILi64ELi64ELi32ELi1ELb1EEvPKcS1_S1_S1_S1_PKiPfP15HIP_vector_typeIfLj2EEffffjfiS5_IjLj3EEiiiiiiiiiiiliiliiiiil, .Lfunc_end90-_ZL15flash_attn_tileILi64ELi64ELi32ELi1ELb1EEvPKcS1_S1_S1_S1_PKiPfP15HIP_vector_typeIfLj2EEffffjfiS5_IjLj3EEiiiiiiiiiiiliiliiiiil
                                        ; -- End function
	.section	.AMDGPU.csdata,"",@progbits
; Kernel info:
; codeLenInByte = 44
; NumSgprs: 36
; NumVgprs: 37
; ScratchSize: 16
; MemoryBound: 0
; FloatMode: 240
; IeeeMode: 1
; LDSByteSize: 0 bytes/workgroup (compile time only)
; SGPRBlocks: 4
; VGPRBlocks: 4
; NumSGPRsForWavesPerEU: 36
; NumVGPRsForWavesPerEU: 37
; Occupancy: 16
; WaveLimiterHint : 1
; COMPUTE_PGM_RSRC2:SCRATCH_EN: 1
; COMPUTE_PGM_RSRC2:USER_SGPR: 15
; COMPUTE_PGM_RSRC2:TRAP_HANDLER: 0
; COMPUTE_PGM_RSRC2:TGID_X_EN: 1
; COMPUTE_PGM_RSRC2:TGID_Y_EN: 0
; COMPUTE_PGM_RSRC2:TGID_Z_EN: 0
; COMPUTE_PGM_RSRC2:TIDIG_COMP_CNT: 0
	.section	.text._ZL15flash_attn_tileILi64ELi64ELi16ELi1ELb1EEvPKcS1_S1_S1_S1_PKiPfP15HIP_vector_typeIfLj2EEffffjfiS5_IjLj3EEiiiiiiiiiiiliiliiiiil,"axG",@progbits,_ZL15flash_attn_tileILi64ELi64ELi16ELi1ELb1EEvPKcS1_S1_S1_S1_PKiPfP15HIP_vector_typeIfLj2EEffffjfiS5_IjLj3EEiiiiiiiiiiiliiliiiiil,comdat
	.globl	_ZL15flash_attn_tileILi64ELi64ELi16ELi1ELb1EEvPKcS1_S1_S1_S1_PKiPfP15HIP_vector_typeIfLj2EEffffjfiS5_IjLj3EEiiiiiiiiiiiliiliiiiil ; -- Begin function _ZL15flash_attn_tileILi64ELi64ELi16ELi1ELb1EEvPKcS1_S1_S1_S1_PKiPfP15HIP_vector_typeIfLj2EEffffjfiS5_IjLj3EEiiiiiiiiiiiliiliiiiil
	.p2align	8
	.type	_ZL15flash_attn_tileILi64ELi64ELi16ELi1ELb1EEvPKcS1_S1_S1_S1_PKiPfP15HIP_vector_typeIfLj2EEffffjfiS5_IjLj3EEiiiiiiiiiiiliiliiiiil,@function
_ZL15flash_attn_tileILi64ELi64ELi16ELi1ELb1EEvPKcS1_S1_S1_S1_PKiPfP15HIP_vector_typeIfLj2EEffffjfiS5_IjLj3EEiiiiiiiiiiiliiliiiiil: ; @_ZL15flash_attn_tileILi64ELi64ELi16ELi1ELb1EEvPKcS1_S1_S1_S1_PKiPfP15HIP_vector_typeIfLj2EEffffjfiS5_IjLj3EEiiiiiiiiiiiliiliiiiil
; %bb.0:
	s_add_u32 s8, s0, 0xd0
	s_addc_u32 s9, s1, 0
	s_mov_b32 s32, 0
	s_getpc_b64 s[0:1]
	s_add_u32 s0, s0, _ZL14no_device_codePKciS0_iS0_@rel32@lo+4
	s_addc_u32 s1, s1, _ZL14no_device_codePKciS0_iS0_@rel32@hi+12
	s_delay_alu instid0(SALU_CYCLE_1)
	s_swappc_b64 s[30:31], s[0:1]
	.section	.rodata,"a",@progbits
	.p2align	6, 0x0
	.amdhsa_kernel _ZL15flash_attn_tileILi64ELi64ELi16ELi1ELb1EEvPKcS1_S1_S1_S1_PKiPfP15HIP_vector_typeIfLj2EEffffjfiS5_IjLj3EEiiiiiiiiiiiliiliiiiil
		.amdhsa_group_segment_fixed_size 0
		.amdhsa_private_segment_fixed_size 16
		.amdhsa_kernarg_size 464
		.amdhsa_user_sgpr_count 15
		.amdhsa_user_sgpr_dispatch_ptr 0
		.amdhsa_user_sgpr_queue_ptr 0
		.amdhsa_user_sgpr_kernarg_segment_ptr 1
		.amdhsa_user_sgpr_dispatch_id 0
		.amdhsa_user_sgpr_private_segment_size 0
		.amdhsa_wavefront_size32 1
		.amdhsa_uses_dynamic_stack 0
		.amdhsa_enable_private_segment 1
		.amdhsa_system_sgpr_workgroup_id_x 1
		.amdhsa_system_sgpr_workgroup_id_y 0
		.amdhsa_system_sgpr_workgroup_id_z 0
		.amdhsa_system_sgpr_workgroup_info 0
		.amdhsa_system_vgpr_workitem_id 0
		.amdhsa_next_free_vgpr 37
		.amdhsa_next_free_sgpr 34
		.amdhsa_reserve_vcc 1
		.amdhsa_float_round_mode_32 0
		.amdhsa_float_round_mode_16_64 0
		.amdhsa_float_denorm_mode_32 3
		.amdhsa_float_denorm_mode_16_64 3
		.amdhsa_dx10_clamp 1
		.amdhsa_ieee_mode 1
		.amdhsa_fp16_overflow 0
		.amdhsa_workgroup_processor_mode 1
		.amdhsa_memory_ordered 1
		.amdhsa_forward_progress 0
		.amdhsa_shared_vgpr_count 0
		.amdhsa_exception_fp_ieee_invalid_op 0
		.amdhsa_exception_fp_denorm_src 0
		.amdhsa_exception_fp_ieee_div_zero 0
		.amdhsa_exception_fp_ieee_overflow 0
		.amdhsa_exception_fp_ieee_underflow 0
		.amdhsa_exception_fp_ieee_inexact 0
		.amdhsa_exception_int_div_zero 0
	.end_amdhsa_kernel
	.section	.text._ZL15flash_attn_tileILi64ELi64ELi16ELi1ELb1EEvPKcS1_S1_S1_S1_PKiPfP15HIP_vector_typeIfLj2EEffffjfiS5_IjLj3EEiiiiiiiiiiiliiliiiiil,"axG",@progbits,_ZL15flash_attn_tileILi64ELi64ELi16ELi1ELb1EEvPKcS1_S1_S1_S1_PKiPfP15HIP_vector_typeIfLj2EEffffjfiS5_IjLj3EEiiiiiiiiiiiliiliiiiil,comdat
.Lfunc_end91:
	.size	_ZL15flash_attn_tileILi64ELi64ELi16ELi1ELb1EEvPKcS1_S1_S1_S1_PKiPfP15HIP_vector_typeIfLj2EEffffjfiS5_IjLj3EEiiiiiiiiiiiliiliiiiil, .Lfunc_end91-_ZL15flash_attn_tileILi64ELi64ELi16ELi1ELb1EEvPKcS1_S1_S1_S1_PKiPfP15HIP_vector_typeIfLj2EEffffjfiS5_IjLj3EEiiiiiiiiiiiliiliiiiil
                                        ; -- End function
	.section	.AMDGPU.csdata,"",@progbits
; Kernel info:
; codeLenInByte = 44
; NumSgprs: 36
; NumVgprs: 37
; ScratchSize: 16
; MemoryBound: 0
; FloatMode: 240
; IeeeMode: 1
; LDSByteSize: 0 bytes/workgroup (compile time only)
; SGPRBlocks: 4
; VGPRBlocks: 4
; NumSGPRsForWavesPerEU: 36
; NumVGPRsForWavesPerEU: 37
; Occupancy: 16
; WaveLimiterHint : 1
; COMPUTE_PGM_RSRC2:SCRATCH_EN: 1
; COMPUTE_PGM_RSRC2:USER_SGPR: 15
; COMPUTE_PGM_RSRC2:TRAP_HANDLER: 0
; COMPUTE_PGM_RSRC2:TGID_X_EN: 1
; COMPUTE_PGM_RSRC2:TGID_Y_EN: 0
; COMPUTE_PGM_RSRC2:TGID_Z_EN: 0
; COMPUTE_PGM_RSRC2:TIDIG_COMP_CNT: 0
	.section	.text._ZL15flash_attn_tileILi64ELi64ELi8ELi1ELb1EEvPKcS1_S1_S1_S1_PKiPfP15HIP_vector_typeIfLj2EEffffjfiS5_IjLj3EEiiiiiiiiiiiliiliiiiil,"axG",@progbits,_ZL15flash_attn_tileILi64ELi64ELi8ELi1ELb1EEvPKcS1_S1_S1_S1_PKiPfP15HIP_vector_typeIfLj2EEffffjfiS5_IjLj3EEiiiiiiiiiiiliiliiiiil,comdat
	.globl	_ZL15flash_attn_tileILi64ELi64ELi8ELi1ELb1EEvPKcS1_S1_S1_S1_PKiPfP15HIP_vector_typeIfLj2EEffffjfiS5_IjLj3EEiiiiiiiiiiiliiliiiiil ; -- Begin function _ZL15flash_attn_tileILi64ELi64ELi8ELi1ELb1EEvPKcS1_S1_S1_S1_PKiPfP15HIP_vector_typeIfLj2EEffffjfiS5_IjLj3EEiiiiiiiiiiiliiliiiiil
	.p2align	8
	.type	_ZL15flash_attn_tileILi64ELi64ELi8ELi1ELb1EEvPKcS1_S1_S1_S1_PKiPfP15HIP_vector_typeIfLj2EEffffjfiS5_IjLj3EEiiiiiiiiiiiliiliiiiil,@function
_ZL15flash_attn_tileILi64ELi64ELi8ELi1ELb1EEvPKcS1_S1_S1_S1_PKiPfP15HIP_vector_typeIfLj2EEffffjfiS5_IjLj3EEiiiiiiiiiiiliiliiiiil: ; @_ZL15flash_attn_tileILi64ELi64ELi8ELi1ELb1EEvPKcS1_S1_S1_S1_PKiPfP15HIP_vector_typeIfLj2EEffffjfiS5_IjLj3EEiiiiiiiiiiiliiliiiiil
; %bb.0:
	s_add_u32 s8, s0, 0xd0
	s_addc_u32 s9, s1, 0
	s_mov_b32 s32, 0
	s_getpc_b64 s[0:1]
	s_add_u32 s0, s0, _ZL14no_device_codePKciS0_iS0_@rel32@lo+4
	s_addc_u32 s1, s1, _ZL14no_device_codePKciS0_iS0_@rel32@hi+12
	s_delay_alu instid0(SALU_CYCLE_1)
	s_swappc_b64 s[30:31], s[0:1]
	.section	.rodata,"a",@progbits
	.p2align	6, 0x0
	.amdhsa_kernel _ZL15flash_attn_tileILi64ELi64ELi8ELi1ELb1EEvPKcS1_S1_S1_S1_PKiPfP15HIP_vector_typeIfLj2EEffffjfiS5_IjLj3EEiiiiiiiiiiiliiliiiiil
		.amdhsa_group_segment_fixed_size 0
		.amdhsa_private_segment_fixed_size 16
		.amdhsa_kernarg_size 464
		.amdhsa_user_sgpr_count 15
		.amdhsa_user_sgpr_dispatch_ptr 0
		.amdhsa_user_sgpr_queue_ptr 0
		.amdhsa_user_sgpr_kernarg_segment_ptr 1
		.amdhsa_user_sgpr_dispatch_id 0
		.amdhsa_user_sgpr_private_segment_size 0
		.amdhsa_wavefront_size32 1
		.amdhsa_uses_dynamic_stack 0
		.amdhsa_enable_private_segment 1
		.amdhsa_system_sgpr_workgroup_id_x 1
		.amdhsa_system_sgpr_workgroup_id_y 0
		.amdhsa_system_sgpr_workgroup_id_z 0
		.amdhsa_system_sgpr_workgroup_info 0
		.amdhsa_system_vgpr_workitem_id 0
		.amdhsa_next_free_vgpr 37
		.amdhsa_next_free_sgpr 34
		.amdhsa_reserve_vcc 1
		.amdhsa_float_round_mode_32 0
		.amdhsa_float_round_mode_16_64 0
		.amdhsa_float_denorm_mode_32 3
		.amdhsa_float_denorm_mode_16_64 3
		.amdhsa_dx10_clamp 1
		.amdhsa_ieee_mode 1
		.amdhsa_fp16_overflow 0
		.amdhsa_workgroup_processor_mode 1
		.amdhsa_memory_ordered 1
		.amdhsa_forward_progress 0
		.amdhsa_shared_vgpr_count 0
		.amdhsa_exception_fp_ieee_invalid_op 0
		.amdhsa_exception_fp_denorm_src 0
		.amdhsa_exception_fp_ieee_div_zero 0
		.amdhsa_exception_fp_ieee_overflow 0
		.amdhsa_exception_fp_ieee_underflow 0
		.amdhsa_exception_fp_ieee_inexact 0
		.amdhsa_exception_int_div_zero 0
	.end_amdhsa_kernel
	.section	.text._ZL15flash_attn_tileILi64ELi64ELi8ELi1ELb1EEvPKcS1_S1_S1_S1_PKiPfP15HIP_vector_typeIfLj2EEffffjfiS5_IjLj3EEiiiiiiiiiiiliiliiiiil,"axG",@progbits,_ZL15flash_attn_tileILi64ELi64ELi8ELi1ELb1EEvPKcS1_S1_S1_S1_PKiPfP15HIP_vector_typeIfLj2EEffffjfiS5_IjLj3EEiiiiiiiiiiiliiliiiiil,comdat
.Lfunc_end92:
	.size	_ZL15flash_attn_tileILi64ELi64ELi8ELi1ELb1EEvPKcS1_S1_S1_S1_PKiPfP15HIP_vector_typeIfLj2EEffffjfiS5_IjLj3EEiiiiiiiiiiiliiliiiiil, .Lfunc_end92-_ZL15flash_attn_tileILi64ELi64ELi8ELi1ELb1EEvPKcS1_S1_S1_S1_PKiPfP15HIP_vector_typeIfLj2EEffffjfiS5_IjLj3EEiiiiiiiiiiiliiliiiiil
                                        ; -- End function
	.section	.AMDGPU.csdata,"",@progbits
; Kernel info:
; codeLenInByte = 44
; NumSgprs: 36
; NumVgprs: 37
; ScratchSize: 16
; MemoryBound: 0
; FloatMode: 240
; IeeeMode: 1
; LDSByteSize: 0 bytes/workgroup (compile time only)
; SGPRBlocks: 4
; VGPRBlocks: 4
; NumSGPRsForWavesPerEU: 36
; NumVGPRsForWavesPerEU: 37
; Occupancy: 16
; WaveLimiterHint : 1
; COMPUTE_PGM_RSRC2:SCRATCH_EN: 1
; COMPUTE_PGM_RSRC2:USER_SGPR: 15
; COMPUTE_PGM_RSRC2:TRAP_HANDLER: 0
; COMPUTE_PGM_RSRC2:TGID_X_EN: 1
; COMPUTE_PGM_RSRC2:TGID_Y_EN: 0
; COMPUTE_PGM_RSRC2:TGID_Z_EN: 0
; COMPUTE_PGM_RSRC2:TIDIG_COMP_CNT: 0
	.section	.text._ZL15flash_attn_tileILi64ELi64ELi4ELi1ELb1EEvPKcS1_S1_S1_S1_PKiPfP15HIP_vector_typeIfLj2EEffffjfiS5_IjLj3EEiiiiiiiiiiiliiliiiiil,"axG",@progbits,_ZL15flash_attn_tileILi64ELi64ELi4ELi1ELb1EEvPKcS1_S1_S1_S1_PKiPfP15HIP_vector_typeIfLj2EEffffjfiS5_IjLj3EEiiiiiiiiiiiliiliiiiil,comdat
	.globl	_ZL15flash_attn_tileILi64ELi64ELi4ELi1ELb1EEvPKcS1_S1_S1_S1_PKiPfP15HIP_vector_typeIfLj2EEffffjfiS5_IjLj3EEiiiiiiiiiiiliiliiiiil ; -- Begin function _ZL15flash_attn_tileILi64ELi64ELi4ELi1ELb1EEvPKcS1_S1_S1_S1_PKiPfP15HIP_vector_typeIfLj2EEffffjfiS5_IjLj3EEiiiiiiiiiiiliiliiiiil
	.p2align	8
	.type	_ZL15flash_attn_tileILi64ELi64ELi4ELi1ELb1EEvPKcS1_S1_S1_S1_PKiPfP15HIP_vector_typeIfLj2EEffffjfiS5_IjLj3EEiiiiiiiiiiiliiliiiiil,@function
_ZL15flash_attn_tileILi64ELi64ELi4ELi1ELb1EEvPKcS1_S1_S1_S1_PKiPfP15HIP_vector_typeIfLj2EEffffjfiS5_IjLj3EEiiiiiiiiiiiliiliiiiil: ; @_ZL15flash_attn_tileILi64ELi64ELi4ELi1ELb1EEvPKcS1_S1_S1_S1_PKiPfP15HIP_vector_typeIfLj2EEffffjfiS5_IjLj3EEiiiiiiiiiiiliiliiiiil
; %bb.0:
	s_add_u32 s8, s0, 0xd0
	s_addc_u32 s9, s1, 0
	s_mov_b32 s32, 0
	s_getpc_b64 s[0:1]
	s_add_u32 s0, s0, _ZL14no_device_codePKciS0_iS0_@rel32@lo+4
	s_addc_u32 s1, s1, _ZL14no_device_codePKciS0_iS0_@rel32@hi+12
	s_delay_alu instid0(SALU_CYCLE_1)
	s_swappc_b64 s[30:31], s[0:1]
	.section	.rodata,"a",@progbits
	.p2align	6, 0x0
	.amdhsa_kernel _ZL15flash_attn_tileILi64ELi64ELi4ELi1ELb1EEvPKcS1_S1_S1_S1_PKiPfP15HIP_vector_typeIfLj2EEffffjfiS5_IjLj3EEiiiiiiiiiiiliiliiiiil
		.amdhsa_group_segment_fixed_size 0
		.amdhsa_private_segment_fixed_size 16
		.amdhsa_kernarg_size 464
		.amdhsa_user_sgpr_count 15
		.amdhsa_user_sgpr_dispatch_ptr 0
		.amdhsa_user_sgpr_queue_ptr 0
		.amdhsa_user_sgpr_kernarg_segment_ptr 1
		.amdhsa_user_sgpr_dispatch_id 0
		.amdhsa_user_sgpr_private_segment_size 0
		.amdhsa_wavefront_size32 1
		.amdhsa_uses_dynamic_stack 0
		.amdhsa_enable_private_segment 1
		.amdhsa_system_sgpr_workgroup_id_x 1
		.amdhsa_system_sgpr_workgroup_id_y 0
		.amdhsa_system_sgpr_workgroup_id_z 0
		.amdhsa_system_sgpr_workgroup_info 0
		.amdhsa_system_vgpr_workitem_id 0
		.amdhsa_next_free_vgpr 37
		.amdhsa_next_free_sgpr 34
		.amdhsa_reserve_vcc 1
		.amdhsa_float_round_mode_32 0
		.amdhsa_float_round_mode_16_64 0
		.amdhsa_float_denorm_mode_32 3
		.amdhsa_float_denorm_mode_16_64 3
		.amdhsa_dx10_clamp 1
		.amdhsa_ieee_mode 1
		.amdhsa_fp16_overflow 0
		.amdhsa_workgroup_processor_mode 1
		.amdhsa_memory_ordered 1
		.amdhsa_forward_progress 0
		.amdhsa_shared_vgpr_count 0
		.amdhsa_exception_fp_ieee_invalid_op 0
		.amdhsa_exception_fp_denorm_src 0
		.amdhsa_exception_fp_ieee_div_zero 0
		.amdhsa_exception_fp_ieee_overflow 0
		.amdhsa_exception_fp_ieee_underflow 0
		.amdhsa_exception_fp_ieee_inexact 0
		.amdhsa_exception_int_div_zero 0
	.end_amdhsa_kernel
	.section	.text._ZL15flash_attn_tileILi64ELi64ELi4ELi1ELb1EEvPKcS1_S1_S1_S1_PKiPfP15HIP_vector_typeIfLj2EEffffjfiS5_IjLj3EEiiiiiiiiiiiliiliiiiil,"axG",@progbits,_ZL15flash_attn_tileILi64ELi64ELi4ELi1ELb1EEvPKcS1_S1_S1_S1_PKiPfP15HIP_vector_typeIfLj2EEffffjfiS5_IjLj3EEiiiiiiiiiiiliiliiiiil,comdat
.Lfunc_end93:
	.size	_ZL15flash_attn_tileILi64ELi64ELi4ELi1ELb1EEvPKcS1_S1_S1_S1_PKiPfP15HIP_vector_typeIfLj2EEffffjfiS5_IjLj3EEiiiiiiiiiiiliiliiiiil, .Lfunc_end93-_ZL15flash_attn_tileILi64ELi64ELi4ELi1ELb1EEvPKcS1_S1_S1_S1_PKiPfP15HIP_vector_typeIfLj2EEffffjfiS5_IjLj3EEiiiiiiiiiiiliiliiiiil
                                        ; -- End function
	.section	.AMDGPU.csdata,"",@progbits
; Kernel info:
; codeLenInByte = 44
; NumSgprs: 36
; NumVgprs: 37
; ScratchSize: 16
; MemoryBound: 0
; FloatMode: 240
; IeeeMode: 1
; LDSByteSize: 0 bytes/workgroup (compile time only)
; SGPRBlocks: 4
; VGPRBlocks: 4
; NumSGPRsForWavesPerEU: 36
; NumVGPRsForWavesPerEU: 37
; Occupancy: 16
; WaveLimiterHint : 1
; COMPUTE_PGM_RSRC2:SCRATCH_EN: 1
; COMPUTE_PGM_RSRC2:USER_SGPR: 15
; COMPUTE_PGM_RSRC2:TRAP_HANDLER: 0
; COMPUTE_PGM_RSRC2:TGID_X_EN: 1
; COMPUTE_PGM_RSRC2:TGID_Y_EN: 0
; COMPUTE_PGM_RSRC2:TGID_Z_EN: 0
; COMPUTE_PGM_RSRC2:TIDIG_COMP_CNT: 0
	.section	.text._ZL15flash_attn_tileILi64ELi64ELi2ELi1ELb1EEvPKcS1_S1_S1_S1_PKiPfP15HIP_vector_typeIfLj2EEffffjfiS5_IjLj3EEiiiiiiiiiiiliiliiiiil,"axG",@progbits,_ZL15flash_attn_tileILi64ELi64ELi2ELi1ELb1EEvPKcS1_S1_S1_S1_PKiPfP15HIP_vector_typeIfLj2EEffffjfiS5_IjLj3EEiiiiiiiiiiiliiliiiiil,comdat
	.globl	_ZL15flash_attn_tileILi64ELi64ELi2ELi1ELb1EEvPKcS1_S1_S1_S1_PKiPfP15HIP_vector_typeIfLj2EEffffjfiS5_IjLj3EEiiiiiiiiiiiliiliiiiil ; -- Begin function _ZL15flash_attn_tileILi64ELi64ELi2ELi1ELb1EEvPKcS1_S1_S1_S1_PKiPfP15HIP_vector_typeIfLj2EEffffjfiS5_IjLj3EEiiiiiiiiiiiliiliiiiil
	.p2align	8
	.type	_ZL15flash_attn_tileILi64ELi64ELi2ELi1ELb1EEvPKcS1_S1_S1_S1_PKiPfP15HIP_vector_typeIfLj2EEffffjfiS5_IjLj3EEiiiiiiiiiiiliiliiiiil,@function
_ZL15flash_attn_tileILi64ELi64ELi2ELi1ELb1EEvPKcS1_S1_S1_S1_PKiPfP15HIP_vector_typeIfLj2EEffffjfiS5_IjLj3EEiiiiiiiiiiiliiliiiiil: ; @_ZL15flash_attn_tileILi64ELi64ELi2ELi1ELb1EEvPKcS1_S1_S1_S1_PKiPfP15HIP_vector_typeIfLj2EEffffjfiS5_IjLj3EEiiiiiiiiiiiliiliiiiil
; %bb.0:
	s_add_u32 s8, s0, 0xd0
	s_addc_u32 s9, s1, 0
	s_mov_b32 s32, 0
	s_getpc_b64 s[0:1]
	s_add_u32 s0, s0, _ZL14no_device_codePKciS0_iS0_@rel32@lo+4
	s_addc_u32 s1, s1, _ZL14no_device_codePKciS0_iS0_@rel32@hi+12
	s_delay_alu instid0(SALU_CYCLE_1)
	s_swappc_b64 s[30:31], s[0:1]
	.section	.rodata,"a",@progbits
	.p2align	6, 0x0
	.amdhsa_kernel _ZL15flash_attn_tileILi64ELi64ELi2ELi1ELb1EEvPKcS1_S1_S1_S1_PKiPfP15HIP_vector_typeIfLj2EEffffjfiS5_IjLj3EEiiiiiiiiiiiliiliiiiil
		.amdhsa_group_segment_fixed_size 0
		.amdhsa_private_segment_fixed_size 16
		.amdhsa_kernarg_size 464
		.amdhsa_user_sgpr_count 15
		.amdhsa_user_sgpr_dispatch_ptr 0
		.amdhsa_user_sgpr_queue_ptr 0
		.amdhsa_user_sgpr_kernarg_segment_ptr 1
		.amdhsa_user_sgpr_dispatch_id 0
		.amdhsa_user_sgpr_private_segment_size 0
		.amdhsa_wavefront_size32 1
		.amdhsa_uses_dynamic_stack 0
		.amdhsa_enable_private_segment 1
		.amdhsa_system_sgpr_workgroup_id_x 1
		.amdhsa_system_sgpr_workgroup_id_y 0
		.amdhsa_system_sgpr_workgroup_id_z 0
		.amdhsa_system_sgpr_workgroup_info 0
		.amdhsa_system_vgpr_workitem_id 0
		.amdhsa_next_free_vgpr 37
		.amdhsa_next_free_sgpr 34
		.amdhsa_reserve_vcc 1
		.amdhsa_float_round_mode_32 0
		.amdhsa_float_round_mode_16_64 0
		.amdhsa_float_denorm_mode_32 3
		.amdhsa_float_denorm_mode_16_64 3
		.amdhsa_dx10_clamp 1
		.amdhsa_ieee_mode 1
		.amdhsa_fp16_overflow 0
		.amdhsa_workgroup_processor_mode 1
		.amdhsa_memory_ordered 1
		.amdhsa_forward_progress 0
		.amdhsa_shared_vgpr_count 0
		.amdhsa_exception_fp_ieee_invalid_op 0
		.amdhsa_exception_fp_denorm_src 0
		.amdhsa_exception_fp_ieee_div_zero 0
		.amdhsa_exception_fp_ieee_overflow 0
		.amdhsa_exception_fp_ieee_underflow 0
		.amdhsa_exception_fp_ieee_inexact 0
		.amdhsa_exception_int_div_zero 0
	.end_amdhsa_kernel
	.section	.text._ZL15flash_attn_tileILi64ELi64ELi2ELi1ELb1EEvPKcS1_S1_S1_S1_PKiPfP15HIP_vector_typeIfLj2EEffffjfiS5_IjLj3EEiiiiiiiiiiiliiliiiiil,"axG",@progbits,_ZL15flash_attn_tileILi64ELi64ELi2ELi1ELb1EEvPKcS1_S1_S1_S1_PKiPfP15HIP_vector_typeIfLj2EEffffjfiS5_IjLj3EEiiiiiiiiiiiliiliiiiil,comdat
.Lfunc_end94:
	.size	_ZL15flash_attn_tileILi64ELi64ELi2ELi1ELb1EEvPKcS1_S1_S1_S1_PKiPfP15HIP_vector_typeIfLj2EEffffjfiS5_IjLj3EEiiiiiiiiiiiliiliiiiil, .Lfunc_end94-_ZL15flash_attn_tileILi64ELi64ELi2ELi1ELb1EEvPKcS1_S1_S1_S1_PKiPfP15HIP_vector_typeIfLj2EEffffjfiS5_IjLj3EEiiiiiiiiiiiliiliiiiil
                                        ; -- End function
	.section	.AMDGPU.csdata,"",@progbits
; Kernel info:
; codeLenInByte = 44
; NumSgprs: 36
; NumVgprs: 37
; ScratchSize: 16
; MemoryBound: 0
; FloatMode: 240
; IeeeMode: 1
; LDSByteSize: 0 bytes/workgroup (compile time only)
; SGPRBlocks: 4
; VGPRBlocks: 4
; NumSGPRsForWavesPerEU: 36
; NumVGPRsForWavesPerEU: 37
; Occupancy: 16
; WaveLimiterHint : 1
; COMPUTE_PGM_RSRC2:SCRATCH_EN: 1
; COMPUTE_PGM_RSRC2:USER_SGPR: 15
; COMPUTE_PGM_RSRC2:TRAP_HANDLER: 0
; COMPUTE_PGM_RSRC2:TGID_X_EN: 1
; COMPUTE_PGM_RSRC2:TGID_Y_EN: 0
; COMPUTE_PGM_RSRC2:TGID_Z_EN: 0
; COMPUTE_PGM_RSRC2:TIDIG_COMP_CNT: 0
	.text
	.p2alignl 7, 3214868480
	.fill 96, 4, 3214868480
	.type	.str.1,@object                  ; @.str.1
	.section	.rodata.str1.1,"aMS",@progbits,1
.str.1:
	.asciz	"/root/src/amdgpu-assembly/repos/ggml-org__llama.cpp/ggml/src/ggml-cuda/template-instances/../fattn-tile.cuh"
	.size	.str.1, 108

	.type	__FUNCTION__._ZL15flash_attn_tileILi64ELi64ELi8ELi8ELb1EEvPKcS1_S1_S1_S1_PKiPfP15HIP_vector_typeIfLj2EEffffjfiS5_IjLj3EEiiiiiiiiiiiliiliiiiil,@object ; @__FUNCTION__._ZL15flash_attn_tileILi64ELi64ELi8ELi8ELb1EEvPKcS1_S1_S1_S1_PKiPfP15HIP_vector_typeIfLj2EEffffjfiS5_IjLj3EEiiiiiiiiiiiliiliiiiil
__FUNCTION__._ZL15flash_attn_tileILi64ELi64ELi8ELi8ELb1EEvPKcS1_S1_S1_S1_PKiPfP15HIP_vector_typeIfLj2EEffffjfiS5_IjLj3EEiiiiiiiiiiiliiliiiiil:
	.asciz	"flash_attn_tile"
	.size	__FUNCTION__._ZL15flash_attn_tileILi64ELi64ELi8ELi8ELb1EEvPKcS1_S1_S1_S1_PKiPfP15HIP_vector_typeIfLj2EEffffjfiS5_IjLj3EEiiiiiiiiiiiliiliiiiil, 16

	.type	.str.3,@object                  ; @.str.3
.str.3:
	.asciz	"%s:%d: ERROR: HIP kernel %s has no device code compatible with HIP arch %d.\n"
	.size	.str.3, 77

	.type	__hip_cuid_69509a7cdacbb80e,@object ; @__hip_cuid_69509a7cdacbb80e
	.section	.bss,"aw",@nobits
	.globl	__hip_cuid_69509a7cdacbb80e
__hip_cuid_69509a7cdacbb80e:
	.byte	0                               ; 0x0
	.size	__hip_cuid_69509a7cdacbb80e, 1

	.ident	"AMD clang version 19.0.0git (https://github.com/RadeonOpenCompute/llvm-project roc-6.4.0 25133 c7fe45cf4b819c5991fe208aaa96edf142730f1d)"
	.section	".note.GNU-stack","",@progbits
	.addrsig
	.addrsig_sym __hip_cuid_69509a7cdacbb80e
	.amdgpu_metadata
---
amdhsa.kernels:
  - .args:
      - .address_space:  global
        .offset:         0
        .size:           8
        .value_kind:     global_buffer
      - .address_space:  global
        .offset:         8
        .size:           8
        .value_kind:     global_buffer
      - .address_space:  global
        .offset:         16
        .size:           8
        .value_kind:     global_buffer
      - .address_space:  global
        .offset:         24
        .size:           8
        .value_kind:     global_buffer
      - .address_space:  global
        .offset:         32
        .size:           8
        .value_kind:     global_buffer
      - .address_space:  global
        .offset:         40
        .size:           8
        .value_kind:     global_buffer
      - .address_space:  global
        .offset:         48
        .size:           8
        .value_kind:     global_buffer
      - .address_space:  global
        .offset:         56
        .size:           8
        .value_kind:     global_buffer
      - .offset:         64
        .size:           4
        .value_kind:     by_value
      - .offset:         68
        .size:           4
        .value_kind:     by_value
      - .offset:         72
        .size:           4
        .value_kind:     by_value
      - .offset:         76
        .size:           4
        .value_kind:     by_value
      - .offset:         80
        .size:           4
        .value_kind:     by_value
      - .offset:         84
        .size:           4
        .value_kind:     by_value
      - .offset:         88
        .size:           4
        .value_kind:     by_value
      - .offset:         92
        .size:           12
        .value_kind:     by_value
      - .offset:         104
        .size:           4
        .value_kind:     by_value
      - .offset:         108
        .size:           4
        .value_kind:     by_value
      - .offset:         112
        .size:           4
        .value_kind:     by_value
      - .offset:         116
        .size:           4
        .value_kind:     by_value
      - .offset:         120
        .size:           4
        .value_kind:     by_value
      - .offset:         124
        .size:           4
        .value_kind:     by_value
      - .offset:         128
        .size:           4
        .value_kind:     by_value
      - .offset:         132
        .size:           4
        .value_kind:     by_value
      - .offset:         136
        .size:           4
        .value_kind:     by_value
      - .offset:         140
        .size:           4
        .value_kind:     by_value
      - .offset:         144
        .size:           4
        .value_kind:     by_value
      - .offset:         152
        .size:           8
        .value_kind:     by_value
      - .offset:         160
        .size:           4
        .value_kind:     by_value
      - .offset:         164
        .size:           4
        .value_kind:     by_value
      - .offset:         168
        .size:           8
        .value_kind:     by_value
      - .offset:         176
        .size:           4
        .value_kind:     by_value
      - .offset:         180
        .size:           4
        .value_kind:     by_value
      - .offset:         184
        .size:           4
        .value_kind:     by_value
      - .offset:         188
        .size:           4
        .value_kind:     by_value
      - .offset:         192
        .size:           4
        .value_kind:     by_value
      - .offset:         200
        .size:           8
        .value_kind:     by_value
      - .offset:         208
        .size:           4
        .value_kind:     hidden_block_count_x
      - .offset:         212
        .size:           4
        .value_kind:     hidden_block_count_y
      - .offset:         216
        .size:           4
        .value_kind:     hidden_block_count_z
      - .offset:         220
        .size:           2
        .value_kind:     hidden_group_size_x
      - .offset:         222
        .size:           2
        .value_kind:     hidden_group_size_y
      - .offset:         224
        .size:           2
        .value_kind:     hidden_group_size_z
      - .offset:         226
        .size:           2
        .value_kind:     hidden_remainder_x
      - .offset:         228
        .size:           2
        .value_kind:     hidden_remainder_y
      - .offset:         230
        .size:           2
        .value_kind:     hidden_remainder_z
      - .offset:         248
        .size:           8
        .value_kind:     hidden_global_offset_x
      - .offset:         256
        .size:           8
        .value_kind:     hidden_global_offset_y
      - .offset:         264
        .size:           8
        .value_kind:     hidden_global_offset_z
      - .offset:         272
        .size:           2
        .value_kind:     hidden_grid_dims
    .group_segment_fixed_size: 25600
    .kernarg_segment_align: 8
    .kernarg_segment_size: 464
    .language:       OpenCL C
    .language_version:
      - 2
      - 0
    .max_flat_workgroup_size: 128
    .name:           _ZL15flash_attn_tileILi64ELi64ELi8ELi8ELb0EEvPKcS1_S1_S1_S1_PKiPfP15HIP_vector_typeIfLj2EEffffjfiS5_IjLj3EEiiiiiiiiiiiliiliiiiil
    .private_segment_fixed_size: 0
    .sgpr_count:     60
    .sgpr_spill_count: 0
    .symbol:         _ZL15flash_attn_tileILi64ELi64ELi8ELi8ELb0EEvPKcS1_S1_S1_S1_PKiPfP15HIP_vector_typeIfLj2EEffffjfiS5_IjLj3EEiiiiiiiiiiiliiliiiiil.kd
    .uniform_work_group_size: 1
    .uses_dynamic_stack: false
    .vgpr_count:     228
    .vgpr_spill_count: 0
    .wavefront_size: 32
    .workgroup_processor_mode: 1
  - .args:
      - .actual_access:  read_only
        .address_space:  global
        .offset:         0
        .size:           8
        .value_kind:     global_buffer
      - .actual_access:  write_only
        .address_space:  global
        .offset:         8
        .size:           8
        .value_kind:     global_buffer
      - .offset:         16
        .size:           4
        .value_kind:     by_value
      - .offset:         20
        .size:           4
        .value_kind:     by_value
      - .offset:         24
        .size:           4
        .value_kind:     by_value
      - .offset:         32
        .size:           4
        .value_kind:     hidden_block_count_x
      - .offset:         36
        .size:           4
        .value_kind:     hidden_block_count_y
      - .offset:         40
        .size:           4
        .value_kind:     hidden_block_count_z
      - .offset:         44
        .size:           2
        .value_kind:     hidden_group_size_x
      - .offset:         46
        .size:           2
        .value_kind:     hidden_group_size_y
      - .offset:         48
        .size:           2
        .value_kind:     hidden_group_size_z
      - .offset:         50
        .size:           2
        .value_kind:     hidden_remainder_x
      - .offset:         52
        .size:           2
        .value_kind:     hidden_remainder_y
      - .offset:         54
        .size:           2
        .value_kind:     hidden_remainder_z
      - .offset:         72
        .size:           8
        .value_kind:     hidden_global_offset_x
      - .offset:         80
        .size:           8
        .value_kind:     hidden_global_offset_y
      - .offset:         88
        .size:           8
        .value_kind:     hidden_global_offset_z
      - .offset:         96
        .size:           2
        .value_kind:     hidden_grid_dims
    .group_segment_fixed_size: 128
    .kernarg_segment_align: 8
    .kernarg_segment_size: 288
    .language:       OpenCL C
    .language_version:
      - 2
      - 0
    .max_flat_workgroup_size: 128
    .name:           _ZL25flash_attn_mask_to_KV_maxILi8EEvPK7__half2Piiii
    .private_segment_fixed_size: 0
    .sgpr_count:     29
    .sgpr_spill_count: 0
    .symbol:         _ZL25flash_attn_mask_to_KV_maxILi8EEvPK7__half2Piiii.kd
    .uniform_work_group_size: 1
    .uses_dynamic_stack: false
    .vgpr_count:     9
    .vgpr_spill_count: 0
    .wavefront_size: 32
    .workgroup_processor_mode: 1
  - .args:
      - .address_space:  global
        .offset:         0
        .size:           8
        .value_kind:     global_buffer
      - .address_space:  global
        .offset:         8
        .size:           8
        .value_kind:     global_buffer
      - .offset:         16
        .size:           4
        .value_kind:     by_value
      - .offset:         20
        .size:           4
        .value_kind:     by_value
      - .offset:         24
        .size:           4
        .value_kind:     by_value
      - .offset:         28
        .size:           4
        .value_kind:     by_value
      - .offset:         32
        .size:           4
        .value_kind:     by_value
      - .offset:         36
        .size:           4
        .value_kind:     by_value
      - .offset:         40
        .size:           12
        .value_kind:     by_value
      - .offset:         52
        .size:           12
        .value_kind:     by_value
      - .offset:         64
        .size:           12
        .value_kind:     by_value
    .group_segment_fixed_size: 0
    .kernarg_segment_align: 8
    .kernarg_segment_size: 76
    .language:       OpenCL C
    .language_version:
      - 2
      - 0
    .max_flat_workgroup_size: 64
    .name:           _ZL33flash_attn_stream_k_fixup_uniformILi64ELi8ELi8EEvPfPK15HIP_vector_typeIfLj2EEiiiiiiS1_IjLj3EES5_S5_
    .private_segment_fixed_size: 0
    .sgpr_count:     22
    .sgpr_spill_count: 0
    .symbol:         _ZL33flash_attn_stream_k_fixup_uniformILi64ELi8ELi8EEvPfPK15HIP_vector_typeIfLj2EEiiiiiiS1_IjLj3EES5_S5_.kd
    .uniform_work_group_size: 1
    .uses_dynamic_stack: false
    .vgpr_count:     15
    .vgpr_spill_count: 0
    .wavefront_size: 32
    .workgroup_processor_mode: 1
  - .args:
      - .address_space:  global
        .offset:         0
        .size:           8
        .value_kind:     global_buffer
      - .address_space:  global
        .offset:         8
        .size:           8
        .value_kind:     global_buffer
      - .offset:         16
        .size:           4
        .value_kind:     by_value
      - .offset:         20
        .size:           4
        .value_kind:     by_value
      - .offset:         24
        .size:           4
        .value_kind:     by_value
      - .offset:         28
        .size:           4
        .value_kind:     by_value
      - .offset:         32
        .size:           12
        .value_kind:     by_value
      - .offset:         44
        .size:           12
        .value_kind:     by_value
      - .offset:         56
        .size:           12
        .value_kind:     by_value
      - .offset:         68
        .size:           12
        .value_kind:     by_value
      - .offset:         80
        .size:           4
        .value_kind:     hidden_block_count_x
      - .offset:         84
        .size:           4
        .value_kind:     hidden_block_count_y
      - .offset:         88
        .size:           4
        .value_kind:     hidden_block_count_z
      - .offset:         92
        .size:           2
        .value_kind:     hidden_group_size_x
      - .offset:         94
        .size:           2
        .value_kind:     hidden_group_size_y
      - .offset:         96
        .size:           2
        .value_kind:     hidden_group_size_z
      - .offset:         98
        .size:           2
        .value_kind:     hidden_remainder_x
      - .offset:         100
        .size:           2
        .value_kind:     hidden_remainder_y
      - .offset:         102
        .size:           2
        .value_kind:     hidden_remainder_z
      - .offset:         120
        .size:           8
        .value_kind:     hidden_global_offset_x
      - .offset:         128
        .size:           8
        .value_kind:     hidden_global_offset_y
      - .offset:         136
        .size:           8
        .value_kind:     hidden_global_offset_z
      - .offset:         144
        .size:           2
        .value_kind:     hidden_grid_dims
    .group_segment_fixed_size: 0
    .kernarg_segment_align: 8
    .kernarg_segment_size: 336
    .language:       OpenCL C
    .language_version:
      - 2
      - 0
    .max_flat_workgroup_size: 64
    .name:           _ZL33flash_attn_stream_k_fixup_generalILi64ELi8ELi8EEvPfPK15HIP_vector_typeIfLj2EEiiiiS1_IjLj3EES5_S5_S5_
    .private_segment_fixed_size: 0
    .sgpr_count:     34
    .sgpr_spill_count: 0
    .symbol:         _ZL33flash_attn_stream_k_fixup_generalILi64ELi8ELi8EEvPfPK15HIP_vector_typeIfLj2EEiiiiS1_IjLj3EES5_S5_S5_.kd
    .uniform_work_group_size: 1
    .uses_dynamic_stack: false
    .vgpr_count:     19
    .vgpr_spill_count: 0
    .wavefront_size: 32
    .workgroup_processor_mode: 1
  - .args:
      - .address_space:  global
        .offset:         0
        .size:           8
        .value_kind:     global_buffer
      - .address_space:  global
        .offset:         8
        .size:           8
        .value_kind:     global_buffer
      - .address_space:  global
        .offset:         16
        .size:           8
        .value_kind:     global_buffer
      - .offset:         24
        .size:           4
        .value_kind:     by_value
      - .offset:         32
        .size:           4
        .value_kind:     hidden_block_count_x
      - .offset:         36
        .size:           4
        .value_kind:     hidden_block_count_y
      - .offset:         40
        .size:           4
        .value_kind:     hidden_block_count_z
      - .offset:         44
        .size:           2
        .value_kind:     hidden_group_size_x
      - .offset:         46
        .size:           2
        .value_kind:     hidden_group_size_y
      - .offset:         48
        .size:           2
        .value_kind:     hidden_group_size_z
      - .offset:         50
        .size:           2
        .value_kind:     hidden_remainder_x
      - .offset:         52
        .size:           2
        .value_kind:     hidden_remainder_y
      - .offset:         54
        .size:           2
        .value_kind:     hidden_remainder_z
      - .offset:         72
        .size:           8
        .value_kind:     hidden_global_offset_x
      - .offset:         80
        .size:           8
        .value_kind:     hidden_global_offset_y
      - .offset:         88
        .size:           8
        .value_kind:     hidden_global_offset_z
      - .offset:         96
        .size:           2
        .value_kind:     hidden_grid_dims
      - .offset:         152
        .size:           4
        .value_kind:     hidden_dynamic_lds_size
    .group_segment_fixed_size: 0
    .kernarg_segment_align: 8
    .kernarg_segment_size: 288
    .language:       OpenCL C
    .language_version:
      - 2
      - 0
    .max_flat_workgroup_size: 64
    .name:           _ZL26flash_attn_combine_resultsILi64EEvPKfPK15HIP_vector_typeIfLj2EEPfi
    .private_segment_fixed_size: 0
    .sgpr_count:     18
    .sgpr_spill_count: 0
    .symbol:         _ZL26flash_attn_combine_resultsILi64EEvPKfPK15HIP_vector_typeIfLj2EEPfi.kd
    .uniform_work_group_size: 1
    .uses_dynamic_stack: false
    .vgpr_count:     55
    .vgpr_spill_count: 0
    .wavefront_size: 32
    .workgroup_processor_mode: 1
  - .args:
      - .address_space:  global
        .offset:         0
        .size:           8
        .value_kind:     global_buffer
      - .address_space:  global
        .offset:         8
        .size:           8
        .value_kind:     global_buffer
      - .address_space:  global
        .offset:         16
        .size:           8
        .value_kind:     global_buffer
      - .address_space:  global
        .offset:         24
        .size:           8
        .value_kind:     global_buffer
      - .address_space:  global
        .offset:         32
        .size:           8
        .value_kind:     global_buffer
      - .address_space:  global
        .offset:         40
        .size:           8
        .value_kind:     global_buffer
      - .address_space:  global
        .offset:         48
        .size:           8
        .value_kind:     global_buffer
      - .address_space:  global
        .offset:         56
        .size:           8
        .value_kind:     global_buffer
      - .offset:         64
        .size:           4
        .value_kind:     by_value
      - .offset:         68
        .size:           4
        .value_kind:     by_value
      - .offset:         72
        .size:           4
        .value_kind:     by_value
      - .offset:         76
        .size:           4
        .value_kind:     by_value
      - .offset:         80
        .size:           4
        .value_kind:     by_value
      - .offset:         84
        .size:           4
        .value_kind:     by_value
      - .offset:         88
        .size:           4
        .value_kind:     by_value
      - .offset:         92
        .size:           12
        .value_kind:     by_value
      - .offset:         104
        .size:           4
        .value_kind:     by_value
      - .offset:         108
        .size:           4
        .value_kind:     by_value
      - .offset:         112
        .size:           4
        .value_kind:     by_value
      - .offset:         116
        .size:           4
        .value_kind:     by_value
      - .offset:         120
        .size:           4
        .value_kind:     by_value
      - .offset:         124
        .size:           4
        .value_kind:     by_value
      - .offset:         128
        .size:           4
        .value_kind:     by_value
      - .offset:         132
        .size:           4
        .value_kind:     by_value
      - .offset:         136
        .size:           4
        .value_kind:     by_value
      - .offset:         140
        .size:           4
        .value_kind:     by_value
      - .offset:         144
        .size:           4
        .value_kind:     by_value
      - .offset:         152
        .size:           8
        .value_kind:     by_value
      - .offset:         160
        .size:           4
        .value_kind:     by_value
      - .offset:         164
        .size:           4
        .value_kind:     by_value
      - .offset:         168
        .size:           8
        .value_kind:     by_value
      - .offset:         176
        .size:           4
        .value_kind:     by_value
      - .offset:         180
        .size:           4
        .value_kind:     by_value
      - .offset:         184
        .size:           4
        .value_kind:     by_value
      - .offset:         188
        .size:           4
        .value_kind:     by_value
      - .offset:         192
        .size:           4
        .value_kind:     by_value
      - .offset:         200
        .size:           8
        .value_kind:     by_value
      - .offset:         208
        .size:           4
        .value_kind:     hidden_block_count_x
      - .offset:         212
        .size:           4
        .value_kind:     hidden_block_count_y
      - .offset:         216
        .size:           4
        .value_kind:     hidden_block_count_z
      - .offset:         220
        .size:           2
        .value_kind:     hidden_group_size_x
      - .offset:         222
        .size:           2
        .value_kind:     hidden_group_size_y
      - .offset:         224
        .size:           2
        .value_kind:     hidden_group_size_z
      - .offset:         226
        .size:           2
        .value_kind:     hidden_remainder_x
      - .offset:         228
        .size:           2
        .value_kind:     hidden_remainder_y
      - .offset:         230
        .size:           2
        .value_kind:     hidden_remainder_z
      - .offset:         248
        .size:           8
        .value_kind:     hidden_global_offset_x
      - .offset:         256
        .size:           8
        .value_kind:     hidden_global_offset_y
      - .offset:         264
        .size:           8
        .value_kind:     hidden_global_offset_z
      - .offset:         272
        .size:           2
        .value_kind:     hidden_grid_dims
    .group_segment_fixed_size: 17408
    .kernarg_segment_align: 8
    .kernarg_segment_size: 464
    .language:       OpenCL C
    .language_version:
      - 2
      - 0
    .max_flat_workgroup_size: 128
    .name:           _ZL15flash_attn_tileILi64ELi64ELi4ELi8ELb0EEvPKcS1_S1_S1_S1_PKiPfP15HIP_vector_typeIfLj2EEffffjfiS5_IjLj3EEiiiiiiiiiiiliiliiiiil
    .private_segment_fixed_size: 0
    .sgpr_count:     75
    .sgpr_spill_count: 0
    .symbol:         _ZL15flash_attn_tileILi64ELi64ELi4ELi8ELb0EEvPKcS1_S1_S1_S1_PKiPfP15HIP_vector_typeIfLj2EEffffjfiS5_IjLj3EEiiiiiiiiiiiliiliiiiil.kd
    .uniform_work_group_size: 1
    .uses_dynamic_stack: false
    .vgpr_count:     210
    .vgpr_spill_count: 0
    .wavefront_size: 32
    .workgroup_processor_mode: 1
  - .args:
      - .actual_access:  read_only
        .address_space:  global
        .offset:         0
        .size:           8
        .value_kind:     global_buffer
      - .actual_access:  write_only
        .address_space:  global
        .offset:         8
        .size:           8
        .value_kind:     global_buffer
      - .offset:         16
        .size:           4
        .value_kind:     by_value
      - .offset:         20
        .size:           4
        .value_kind:     by_value
      - .offset:         24
        .size:           4
        .value_kind:     by_value
      - .offset:         32
        .size:           4
        .value_kind:     hidden_block_count_x
      - .offset:         36
        .size:           4
        .value_kind:     hidden_block_count_y
      - .offset:         40
        .size:           4
        .value_kind:     hidden_block_count_z
      - .offset:         44
        .size:           2
        .value_kind:     hidden_group_size_x
      - .offset:         46
        .size:           2
        .value_kind:     hidden_group_size_y
      - .offset:         48
        .size:           2
        .value_kind:     hidden_group_size_z
      - .offset:         50
        .size:           2
        .value_kind:     hidden_remainder_x
      - .offset:         52
        .size:           2
        .value_kind:     hidden_remainder_y
      - .offset:         54
        .size:           2
        .value_kind:     hidden_remainder_z
      - .offset:         72
        .size:           8
        .value_kind:     hidden_global_offset_x
      - .offset:         80
        .size:           8
        .value_kind:     hidden_global_offset_y
      - .offset:         88
        .size:           8
        .value_kind:     hidden_global_offset_z
      - .offset:         96
        .size:           2
        .value_kind:     hidden_grid_dims
    .group_segment_fixed_size: 128
    .kernarg_segment_align: 8
    .kernarg_segment_size: 288
    .language:       OpenCL C
    .language_version:
      - 2
      - 0
    .max_flat_workgroup_size: 128
    .name:           _ZL25flash_attn_mask_to_KV_maxILi4EEvPK7__half2Piiii
    .private_segment_fixed_size: 0
    .sgpr_count:     21
    .sgpr_spill_count: 0
    .symbol:         _ZL25flash_attn_mask_to_KV_maxILi4EEvPK7__half2Piiii.kd
    .uniform_work_group_size: 1
    .uses_dynamic_stack: false
    .vgpr_count:     9
    .vgpr_spill_count: 0
    .wavefront_size: 32
    .workgroup_processor_mode: 1
  - .args:
      - .address_space:  global
        .offset:         0
        .size:           8
        .value_kind:     global_buffer
      - .address_space:  global
        .offset:         8
        .size:           8
        .value_kind:     global_buffer
      - .offset:         16
        .size:           4
        .value_kind:     by_value
      - .offset:         20
        .size:           4
        .value_kind:     by_value
      - .offset:         24
        .size:           4
        .value_kind:     by_value
      - .offset:         28
        .size:           4
        .value_kind:     by_value
      - .offset:         32
        .size:           4
        .value_kind:     by_value
      - .offset:         36
        .size:           4
        .value_kind:     by_value
      - .offset:         40
        .size:           12
        .value_kind:     by_value
      - .offset:         52
        .size:           12
        .value_kind:     by_value
      - .offset:         64
        .size:           12
        .value_kind:     by_value
    .group_segment_fixed_size: 0
    .kernarg_segment_align: 8
    .kernarg_segment_size: 76
    .language:       OpenCL C
    .language_version:
      - 2
      - 0
    .max_flat_workgroup_size: 64
    .name:           _ZL33flash_attn_stream_k_fixup_uniformILi64ELi4ELi8EEvPfPK15HIP_vector_typeIfLj2EEiiiiiiS1_IjLj3EES5_S5_
    .private_segment_fixed_size: 0
    .sgpr_count:     22
    .sgpr_spill_count: 0
    .symbol:         _ZL33flash_attn_stream_k_fixup_uniformILi64ELi4ELi8EEvPfPK15HIP_vector_typeIfLj2EEiiiiiiS1_IjLj3EES5_S5_.kd
    .uniform_work_group_size: 1
    .uses_dynamic_stack: false
    .vgpr_count:     15
    .vgpr_spill_count: 0
    .wavefront_size: 32
    .workgroup_processor_mode: 1
  - .args:
      - .address_space:  global
        .offset:         0
        .size:           8
        .value_kind:     global_buffer
      - .address_space:  global
        .offset:         8
        .size:           8
        .value_kind:     global_buffer
      - .offset:         16
        .size:           4
        .value_kind:     by_value
      - .offset:         20
        .size:           4
        .value_kind:     by_value
      - .offset:         24
        .size:           4
        .value_kind:     by_value
      - .offset:         28
        .size:           4
        .value_kind:     by_value
      - .offset:         32
        .size:           12
        .value_kind:     by_value
      - .offset:         44
        .size:           12
        .value_kind:     by_value
      - .offset:         56
        .size:           12
        .value_kind:     by_value
      - .offset:         68
        .size:           12
        .value_kind:     by_value
      - .offset:         80
        .size:           4
        .value_kind:     hidden_block_count_x
      - .offset:         84
        .size:           4
        .value_kind:     hidden_block_count_y
      - .offset:         88
        .size:           4
        .value_kind:     hidden_block_count_z
      - .offset:         92
        .size:           2
        .value_kind:     hidden_group_size_x
      - .offset:         94
        .size:           2
        .value_kind:     hidden_group_size_y
      - .offset:         96
        .size:           2
        .value_kind:     hidden_group_size_z
      - .offset:         98
        .size:           2
        .value_kind:     hidden_remainder_x
      - .offset:         100
        .size:           2
        .value_kind:     hidden_remainder_y
      - .offset:         102
        .size:           2
        .value_kind:     hidden_remainder_z
      - .offset:         120
        .size:           8
        .value_kind:     hidden_global_offset_x
      - .offset:         128
        .size:           8
        .value_kind:     hidden_global_offset_y
      - .offset:         136
        .size:           8
        .value_kind:     hidden_global_offset_z
      - .offset:         144
        .size:           2
        .value_kind:     hidden_grid_dims
    .group_segment_fixed_size: 0
    .kernarg_segment_align: 8
    .kernarg_segment_size: 336
    .language:       OpenCL C
    .language_version:
      - 2
      - 0
    .max_flat_workgroup_size: 64
    .name:           _ZL33flash_attn_stream_k_fixup_generalILi64ELi4ELi8EEvPfPK15HIP_vector_typeIfLj2EEiiiiS1_IjLj3EES5_S5_S5_
    .private_segment_fixed_size: 0
    .sgpr_count:     34
    .sgpr_spill_count: 0
    .symbol:         _ZL33flash_attn_stream_k_fixup_generalILi64ELi4ELi8EEvPfPK15HIP_vector_typeIfLj2EEiiiiS1_IjLj3EES5_S5_S5_.kd
    .uniform_work_group_size: 1
    .uses_dynamic_stack: false
    .vgpr_count:     19
    .vgpr_spill_count: 0
    .wavefront_size: 32
    .workgroup_processor_mode: 1
  - .args:
      - .address_space:  global
        .offset:         0
        .size:           8
        .value_kind:     global_buffer
      - .address_space:  global
        .offset:         8
        .size:           8
        .value_kind:     global_buffer
      - .address_space:  global
        .offset:         16
        .size:           8
        .value_kind:     global_buffer
      - .address_space:  global
        .offset:         24
        .size:           8
        .value_kind:     global_buffer
      - .address_space:  global
        .offset:         32
        .size:           8
        .value_kind:     global_buffer
      - .address_space:  global
        .offset:         40
        .size:           8
        .value_kind:     global_buffer
      - .address_space:  global
        .offset:         48
        .size:           8
        .value_kind:     global_buffer
      - .address_space:  global
        .offset:         56
        .size:           8
        .value_kind:     global_buffer
      - .offset:         64
        .size:           4
        .value_kind:     by_value
      - .offset:         68
        .size:           4
        .value_kind:     by_value
      - .offset:         72
        .size:           4
        .value_kind:     by_value
      - .offset:         76
        .size:           4
        .value_kind:     by_value
      - .offset:         80
        .size:           4
        .value_kind:     by_value
      - .offset:         84
        .size:           4
        .value_kind:     by_value
      - .offset:         88
        .size:           4
        .value_kind:     by_value
      - .offset:         92
        .size:           12
        .value_kind:     by_value
      - .offset:         104
        .size:           4
        .value_kind:     by_value
      - .offset:         108
        .size:           4
        .value_kind:     by_value
      - .offset:         112
        .size:           4
        .value_kind:     by_value
      - .offset:         116
        .size:           4
        .value_kind:     by_value
      - .offset:         120
        .size:           4
        .value_kind:     by_value
      - .offset:         124
        .size:           4
        .value_kind:     by_value
      - .offset:         128
        .size:           4
        .value_kind:     by_value
      - .offset:         132
        .size:           4
        .value_kind:     by_value
      - .offset:         136
        .size:           4
        .value_kind:     by_value
      - .offset:         140
        .size:           4
        .value_kind:     by_value
      - .offset:         144
        .size:           4
        .value_kind:     by_value
      - .offset:         152
        .size:           8
        .value_kind:     by_value
      - .offset:         160
        .size:           4
        .value_kind:     by_value
      - .offset:         164
        .size:           4
        .value_kind:     by_value
      - .offset:         168
        .size:           8
        .value_kind:     by_value
      - .offset:         176
        .size:           4
        .value_kind:     by_value
      - .offset:         180
        .size:           4
        .value_kind:     by_value
      - .offset:         184
        .size:           4
        .value_kind:     by_value
      - .offset:         188
        .size:           4
        .value_kind:     by_value
      - .offset:         192
        .size:           4
        .value_kind:     by_value
      - .offset:         200
        .size:           8
        .value_kind:     by_value
      - .offset:         208
        .size:           4
        .value_kind:     hidden_block_count_x
      - .offset:         212
        .size:           4
        .value_kind:     hidden_block_count_y
      - .offset:         216
        .size:           4
        .value_kind:     hidden_block_count_z
      - .offset:         220
        .size:           2
        .value_kind:     hidden_group_size_x
      - .offset:         222
        .size:           2
        .value_kind:     hidden_group_size_y
      - .offset:         224
        .size:           2
        .value_kind:     hidden_group_size_z
      - .offset:         226
        .size:           2
        .value_kind:     hidden_remainder_x
      - .offset:         228
        .size:           2
        .value_kind:     hidden_remainder_y
      - .offset:         230
        .size:           2
        .value_kind:     hidden_remainder_z
      - .offset:         248
        .size:           8
        .value_kind:     hidden_global_offset_x
      - .offset:         256
        .size:           8
        .value_kind:     hidden_global_offset_y
      - .offset:         264
        .size:           8
        .value_kind:     hidden_global_offset_z
      - .offset:         272
        .size:           2
        .value_kind:     hidden_grid_dims
    .group_segment_fixed_size: 24576
    .kernarg_segment_align: 8
    .kernarg_segment_size: 464
    .language:       OpenCL C
    .language_version:
      - 2
      - 0
    .max_flat_workgroup_size: 128
    .name:           _ZL15flash_attn_tileILi64ELi64ELi2ELi8ELb0EEvPKcS1_S1_S1_S1_PKiPfP15HIP_vector_typeIfLj2EEffffjfiS5_IjLj3EEiiiiiiiiiiiliiliiiiil
    .private_segment_fixed_size: 0
    .sgpr_count:     47
    .sgpr_spill_count: 0
    .symbol:         _ZL15flash_attn_tileILi64ELi64ELi2ELi8ELb0EEvPKcS1_S1_S1_S1_PKiPfP15HIP_vector_typeIfLj2EEffffjfiS5_IjLj3EEiiiiiiiiiiiliiliiiiil.kd
    .uniform_work_group_size: 1
    .uses_dynamic_stack: false
    .vgpr_count:     204
    .vgpr_spill_count: 0
    .wavefront_size: 32
    .workgroup_processor_mode: 1
  - .args:
      - .actual_access:  read_only
        .address_space:  global
        .offset:         0
        .size:           8
        .value_kind:     global_buffer
      - .actual_access:  write_only
        .address_space:  global
        .offset:         8
        .size:           8
        .value_kind:     global_buffer
      - .offset:         16
        .size:           4
        .value_kind:     by_value
      - .offset:         20
        .size:           4
        .value_kind:     by_value
      - .offset:         24
        .size:           4
        .value_kind:     by_value
      - .offset:         32
        .size:           4
        .value_kind:     hidden_block_count_x
      - .offset:         36
        .size:           4
        .value_kind:     hidden_block_count_y
      - .offset:         40
        .size:           4
        .value_kind:     hidden_block_count_z
      - .offset:         44
        .size:           2
        .value_kind:     hidden_group_size_x
      - .offset:         46
        .size:           2
        .value_kind:     hidden_group_size_y
      - .offset:         48
        .size:           2
        .value_kind:     hidden_group_size_z
      - .offset:         50
        .size:           2
        .value_kind:     hidden_remainder_x
      - .offset:         52
        .size:           2
        .value_kind:     hidden_remainder_y
      - .offset:         54
        .size:           2
        .value_kind:     hidden_remainder_z
      - .offset:         72
        .size:           8
        .value_kind:     hidden_global_offset_x
      - .offset:         80
        .size:           8
        .value_kind:     hidden_global_offset_y
      - .offset:         88
        .size:           8
        .value_kind:     hidden_global_offset_z
      - .offset:         96
        .size:           2
        .value_kind:     hidden_grid_dims
    .group_segment_fixed_size: 128
    .kernarg_segment_align: 8
    .kernarg_segment_size: 288
    .language:       OpenCL C
    .language_version:
      - 2
      - 0
    .max_flat_workgroup_size: 128
    .name:           _ZL25flash_attn_mask_to_KV_maxILi2EEvPK7__half2Piiii
    .private_segment_fixed_size: 0
    .sgpr_count:     18
    .sgpr_spill_count: 0
    .symbol:         _ZL25flash_attn_mask_to_KV_maxILi2EEvPK7__half2Piiii.kd
    .uniform_work_group_size: 1
    .uses_dynamic_stack: false
    .vgpr_count:     7
    .vgpr_spill_count: 0
    .wavefront_size: 32
    .workgroup_processor_mode: 1
  - .args:
      - .address_space:  global
        .offset:         0
        .size:           8
        .value_kind:     global_buffer
      - .address_space:  global
        .offset:         8
        .size:           8
        .value_kind:     global_buffer
      - .offset:         16
        .size:           4
        .value_kind:     by_value
      - .offset:         20
        .size:           4
        .value_kind:     by_value
      - .offset:         24
        .size:           4
        .value_kind:     by_value
      - .offset:         28
        .size:           4
        .value_kind:     by_value
      - .offset:         32
        .size:           4
        .value_kind:     by_value
      - .offset:         36
        .size:           4
        .value_kind:     by_value
      - .offset:         40
        .size:           12
        .value_kind:     by_value
      - .offset:         52
        .size:           12
        .value_kind:     by_value
      - .offset:         64
        .size:           12
        .value_kind:     by_value
    .group_segment_fixed_size: 0
    .kernarg_segment_align: 8
    .kernarg_segment_size: 76
    .language:       OpenCL C
    .language_version:
      - 2
      - 0
    .max_flat_workgroup_size: 64
    .name:           _ZL33flash_attn_stream_k_fixup_uniformILi64ELi2ELi8EEvPfPK15HIP_vector_typeIfLj2EEiiiiiiS1_IjLj3EES5_S5_
    .private_segment_fixed_size: 0
    .sgpr_count:     22
    .sgpr_spill_count: 0
    .symbol:         _ZL33flash_attn_stream_k_fixup_uniformILi64ELi2ELi8EEvPfPK15HIP_vector_typeIfLj2EEiiiiiiS1_IjLj3EES5_S5_.kd
    .uniform_work_group_size: 1
    .uses_dynamic_stack: false
    .vgpr_count:     15
    .vgpr_spill_count: 0
    .wavefront_size: 32
    .workgroup_processor_mode: 1
  - .args:
      - .address_space:  global
        .offset:         0
        .size:           8
        .value_kind:     global_buffer
      - .address_space:  global
        .offset:         8
        .size:           8
        .value_kind:     global_buffer
      - .offset:         16
        .size:           4
        .value_kind:     by_value
      - .offset:         20
        .size:           4
        .value_kind:     by_value
      - .offset:         24
        .size:           4
        .value_kind:     by_value
      - .offset:         28
        .size:           4
        .value_kind:     by_value
      - .offset:         32
        .size:           12
        .value_kind:     by_value
      - .offset:         44
        .size:           12
        .value_kind:     by_value
      - .offset:         56
        .size:           12
        .value_kind:     by_value
      - .offset:         68
        .size:           12
        .value_kind:     by_value
      - .offset:         80
        .size:           4
        .value_kind:     hidden_block_count_x
      - .offset:         84
        .size:           4
        .value_kind:     hidden_block_count_y
      - .offset:         88
        .size:           4
        .value_kind:     hidden_block_count_z
      - .offset:         92
        .size:           2
        .value_kind:     hidden_group_size_x
      - .offset:         94
        .size:           2
        .value_kind:     hidden_group_size_y
      - .offset:         96
        .size:           2
        .value_kind:     hidden_group_size_z
      - .offset:         98
        .size:           2
        .value_kind:     hidden_remainder_x
      - .offset:         100
        .size:           2
        .value_kind:     hidden_remainder_y
      - .offset:         102
        .size:           2
        .value_kind:     hidden_remainder_z
      - .offset:         120
        .size:           8
        .value_kind:     hidden_global_offset_x
      - .offset:         128
        .size:           8
        .value_kind:     hidden_global_offset_y
      - .offset:         136
        .size:           8
        .value_kind:     hidden_global_offset_z
      - .offset:         144
        .size:           2
        .value_kind:     hidden_grid_dims
    .group_segment_fixed_size: 0
    .kernarg_segment_align: 8
    .kernarg_segment_size: 336
    .language:       OpenCL C
    .language_version:
      - 2
      - 0
    .max_flat_workgroup_size: 64
    .name:           _ZL33flash_attn_stream_k_fixup_generalILi64ELi2ELi8EEvPfPK15HIP_vector_typeIfLj2EEiiiiS1_IjLj3EES5_S5_S5_
    .private_segment_fixed_size: 0
    .sgpr_count:     34
    .sgpr_spill_count: 0
    .symbol:         _ZL33flash_attn_stream_k_fixup_generalILi64ELi2ELi8EEvPfPK15HIP_vector_typeIfLj2EEiiiiS1_IjLj3EES5_S5_S5_.kd
    .uniform_work_group_size: 1
    .uses_dynamic_stack: false
    .vgpr_count:     19
    .vgpr_spill_count: 0
    .wavefront_size: 32
    .workgroup_processor_mode: 1
  - .args:
      - .address_space:  global
        .offset:         0
        .size:           8
        .value_kind:     global_buffer
      - .address_space:  global
        .offset:         8
        .size:           8
        .value_kind:     global_buffer
      - .address_space:  global
        .offset:         16
        .size:           8
        .value_kind:     global_buffer
      - .address_space:  global
        .offset:         24
        .size:           8
        .value_kind:     global_buffer
      - .address_space:  global
        .offset:         32
        .size:           8
        .value_kind:     global_buffer
      - .address_space:  global
        .offset:         40
        .size:           8
        .value_kind:     global_buffer
      - .address_space:  global
        .offset:         48
        .size:           8
        .value_kind:     global_buffer
      - .address_space:  global
        .offset:         56
        .size:           8
        .value_kind:     global_buffer
      - .offset:         64
        .size:           4
        .value_kind:     by_value
      - .offset:         68
        .size:           4
        .value_kind:     by_value
      - .offset:         72
        .size:           4
        .value_kind:     by_value
      - .offset:         76
        .size:           4
        .value_kind:     by_value
      - .offset:         80
        .size:           4
        .value_kind:     by_value
      - .offset:         84
        .size:           4
        .value_kind:     by_value
      - .offset:         88
        .size:           4
        .value_kind:     by_value
      - .offset:         92
        .size:           12
        .value_kind:     by_value
      - .offset:         104
        .size:           4
        .value_kind:     by_value
      - .offset:         108
        .size:           4
        .value_kind:     by_value
      - .offset:         112
        .size:           4
        .value_kind:     by_value
      - .offset:         116
        .size:           4
        .value_kind:     by_value
      - .offset:         120
        .size:           4
        .value_kind:     by_value
      - .offset:         124
        .size:           4
        .value_kind:     by_value
      - .offset:         128
        .size:           4
        .value_kind:     by_value
      - .offset:         132
        .size:           4
        .value_kind:     by_value
      - .offset:         136
        .size:           4
        .value_kind:     by_value
      - .offset:         140
        .size:           4
        .value_kind:     by_value
      - .offset:         144
        .size:           4
        .value_kind:     by_value
      - .offset:         152
        .size:           8
        .value_kind:     by_value
      - .offset:         160
        .size:           4
        .value_kind:     by_value
      - .offset:         164
        .size:           4
        .value_kind:     by_value
      - .offset:         168
        .size:           8
        .value_kind:     by_value
      - .offset:         176
        .size:           4
        .value_kind:     by_value
      - .offset:         180
        .size:           4
        .value_kind:     by_value
      - .offset:         184
        .size:           4
        .value_kind:     by_value
      - .offset:         188
        .size:           4
        .value_kind:     by_value
      - .offset:         192
        .size:           4
        .value_kind:     by_value
      - .offset:         200
        .size:           8
        .value_kind:     by_value
      - .offset:         208
        .size:           4
        .value_kind:     hidden_block_count_x
      - .offset:         212
        .size:           4
        .value_kind:     hidden_block_count_y
      - .offset:         216
        .size:           4
        .value_kind:     hidden_block_count_z
      - .offset:         220
        .size:           2
        .value_kind:     hidden_group_size_x
      - .offset:         222
        .size:           2
        .value_kind:     hidden_group_size_y
      - .offset:         224
        .size:           2
        .value_kind:     hidden_group_size_z
      - .offset:         226
        .size:           2
        .value_kind:     hidden_remainder_x
      - .offset:         228
        .size:           2
        .value_kind:     hidden_remainder_y
      - .offset:         230
        .size:           2
        .value_kind:     hidden_remainder_z
      - .offset:         248
        .size:           8
        .value_kind:     hidden_global_offset_x
      - .offset:         256
        .size:           8
        .value_kind:     hidden_global_offset_y
      - .offset:         264
        .size:           8
        .value_kind:     hidden_global_offset_z
      - .offset:         272
        .size:           2
        .value_kind:     hidden_grid_dims
    .group_segment_fixed_size: 21504
    .kernarg_segment_align: 8
    .kernarg_segment_size: 464
    .language:       OpenCL C
    .language_version:
      - 2
      - 0
    .max_flat_workgroup_size: 128
    .name:           _ZL15flash_attn_tileILi64ELi64ELi1ELi8ELb0EEvPKcS1_S1_S1_S1_PKiPfP15HIP_vector_typeIfLj2EEffffjfiS5_IjLj3EEiiiiiiiiiiiliiliiiiil
    .private_segment_fixed_size: 0
    .sgpr_count:     47
    .sgpr_spill_count: 0
    .symbol:         _ZL15flash_attn_tileILi64ELi64ELi1ELi8ELb0EEvPKcS1_S1_S1_S1_PKiPfP15HIP_vector_typeIfLj2EEffffjfiS5_IjLj3EEiiiiiiiiiiiliiliiiiil.kd
    .uniform_work_group_size: 1
    .uses_dynamic_stack: false
    .vgpr_count:     237
    .vgpr_spill_count: 0
    .wavefront_size: 32
    .workgroup_processor_mode: 1
  - .args:
      - .actual_access:  read_only
        .address_space:  global
        .offset:         0
        .size:           8
        .value_kind:     global_buffer
      - .actual_access:  write_only
        .address_space:  global
        .offset:         8
        .size:           8
        .value_kind:     global_buffer
      - .offset:         16
        .size:           4
        .value_kind:     by_value
      - .offset:         20
        .size:           4
        .value_kind:     by_value
      - .offset:         24
        .size:           4
        .value_kind:     by_value
      - .offset:         32
        .size:           4
        .value_kind:     hidden_block_count_x
      - .offset:         36
        .size:           4
        .value_kind:     hidden_block_count_y
      - .offset:         40
        .size:           4
        .value_kind:     hidden_block_count_z
      - .offset:         44
        .size:           2
        .value_kind:     hidden_group_size_x
      - .offset:         46
        .size:           2
        .value_kind:     hidden_group_size_y
      - .offset:         48
        .size:           2
        .value_kind:     hidden_group_size_z
      - .offset:         50
        .size:           2
        .value_kind:     hidden_remainder_x
      - .offset:         52
        .size:           2
        .value_kind:     hidden_remainder_y
      - .offset:         54
        .size:           2
        .value_kind:     hidden_remainder_z
      - .offset:         72
        .size:           8
        .value_kind:     hidden_global_offset_x
      - .offset:         80
        .size:           8
        .value_kind:     hidden_global_offset_y
      - .offset:         88
        .size:           8
        .value_kind:     hidden_global_offset_z
      - .offset:         96
        .size:           2
        .value_kind:     hidden_grid_dims
    .group_segment_fixed_size: 128
    .kernarg_segment_align: 8
    .kernarg_segment_size: 288
    .language:       OpenCL C
    .language_version:
      - 2
      - 0
    .max_flat_workgroup_size: 128
    .name:           _ZL25flash_attn_mask_to_KV_maxILi1EEvPK7__half2Piiii
    .private_segment_fixed_size: 0
    .sgpr_count:     18
    .sgpr_spill_count: 0
    .symbol:         _ZL25flash_attn_mask_to_KV_maxILi1EEvPK7__half2Piiii.kd
    .uniform_work_group_size: 1
    .uses_dynamic_stack: false
    .vgpr_count:     7
    .vgpr_spill_count: 0
    .wavefront_size: 32
    .workgroup_processor_mode: 1
  - .args:
      - .address_space:  global
        .offset:         0
        .size:           8
        .value_kind:     global_buffer
      - .address_space:  global
        .offset:         8
        .size:           8
        .value_kind:     global_buffer
      - .offset:         16
        .size:           4
        .value_kind:     by_value
      - .offset:         20
        .size:           4
        .value_kind:     by_value
      - .offset:         24
        .size:           4
        .value_kind:     by_value
      - .offset:         28
        .size:           4
        .value_kind:     by_value
      - .offset:         32
        .size:           4
        .value_kind:     by_value
      - .offset:         36
        .size:           4
        .value_kind:     by_value
      - .offset:         40
        .size:           12
        .value_kind:     by_value
      - .offset:         52
        .size:           12
        .value_kind:     by_value
      - .offset:         64
        .size:           12
        .value_kind:     by_value
    .group_segment_fixed_size: 0
    .kernarg_segment_align: 8
    .kernarg_segment_size: 76
    .language:       OpenCL C
    .language_version:
      - 2
      - 0
    .max_flat_workgroup_size: 64
    .name:           _ZL33flash_attn_stream_k_fixup_uniformILi64ELi1ELi8EEvPfPK15HIP_vector_typeIfLj2EEiiiiiiS1_IjLj3EES5_S5_
    .private_segment_fixed_size: 0
    .sgpr_count:     22
    .sgpr_spill_count: 0
    .symbol:         _ZL33flash_attn_stream_k_fixup_uniformILi64ELi1ELi8EEvPfPK15HIP_vector_typeIfLj2EEiiiiiiS1_IjLj3EES5_S5_.kd
    .uniform_work_group_size: 1
    .uses_dynamic_stack: false
    .vgpr_count:     15
    .vgpr_spill_count: 0
    .wavefront_size: 32
    .workgroup_processor_mode: 1
  - .args:
      - .address_space:  global
        .offset:         0
        .size:           8
        .value_kind:     global_buffer
      - .address_space:  global
        .offset:         8
        .size:           8
        .value_kind:     global_buffer
      - .offset:         16
        .size:           4
        .value_kind:     by_value
      - .offset:         20
        .size:           4
        .value_kind:     by_value
      - .offset:         24
        .size:           4
        .value_kind:     by_value
      - .offset:         28
        .size:           4
        .value_kind:     by_value
      - .offset:         32
        .size:           12
        .value_kind:     by_value
      - .offset:         44
        .size:           12
        .value_kind:     by_value
      - .offset:         56
        .size:           12
        .value_kind:     by_value
      - .offset:         68
        .size:           12
        .value_kind:     by_value
      - .offset:         80
        .size:           4
        .value_kind:     hidden_block_count_x
      - .offset:         84
        .size:           4
        .value_kind:     hidden_block_count_y
      - .offset:         88
        .size:           4
        .value_kind:     hidden_block_count_z
      - .offset:         92
        .size:           2
        .value_kind:     hidden_group_size_x
      - .offset:         94
        .size:           2
        .value_kind:     hidden_group_size_y
      - .offset:         96
        .size:           2
        .value_kind:     hidden_group_size_z
      - .offset:         98
        .size:           2
        .value_kind:     hidden_remainder_x
      - .offset:         100
        .size:           2
        .value_kind:     hidden_remainder_y
      - .offset:         102
        .size:           2
        .value_kind:     hidden_remainder_z
      - .offset:         120
        .size:           8
        .value_kind:     hidden_global_offset_x
      - .offset:         128
        .size:           8
        .value_kind:     hidden_global_offset_y
      - .offset:         136
        .size:           8
        .value_kind:     hidden_global_offset_z
      - .offset:         144
        .size:           2
        .value_kind:     hidden_grid_dims
    .group_segment_fixed_size: 0
    .kernarg_segment_align: 8
    .kernarg_segment_size: 336
    .language:       OpenCL C
    .language_version:
      - 2
      - 0
    .max_flat_workgroup_size: 64
    .name:           _ZL33flash_attn_stream_k_fixup_generalILi64ELi1ELi8EEvPfPK15HIP_vector_typeIfLj2EEiiiiS1_IjLj3EES5_S5_S5_
    .private_segment_fixed_size: 0
    .sgpr_count:     34
    .sgpr_spill_count: 0
    .symbol:         _ZL33flash_attn_stream_k_fixup_generalILi64ELi1ELi8EEvPfPK15HIP_vector_typeIfLj2EEiiiiS1_IjLj3EES5_S5_S5_.kd
    .uniform_work_group_size: 1
    .uses_dynamic_stack: false
    .vgpr_count:     19
    .vgpr_spill_count: 0
    .wavefront_size: 32
    .workgroup_processor_mode: 1
  - .args:
      - .address_space:  global
        .offset:         0
        .size:           8
        .value_kind:     global_buffer
      - .address_space:  global
        .offset:         8
        .size:           8
        .value_kind:     global_buffer
      - .address_space:  global
        .offset:         16
        .size:           8
        .value_kind:     global_buffer
      - .address_space:  global
        .offset:         24
        .size:           8
        .value_kind:     global_buffer
      - .address_space:  global
        .offset:         32
        .size:           8
        .value_kind:     global_buffer
      - .address_space:  global
        .offset:         40
        .size:           8
        .value_kind:     global_buffer
      - .address_space:  global
        .offset:         48
        .size:           8
        .value_kind:     global_buffer
      - .address_space:  global
        .offset:         56
        .size:           8
        .value_kind:     global_buffer
      - .offset:         64
        .size:           4
        .value_kind:     by_value
      - .offset:         68
        .size:           4
        .value_kind:     by_value
      - .offset:         72
        .size:           4
        .value_kind:     by_value
      - .offset:         76
        .size:           4
        .value_kind:     by_value
      - .offset:         80
        .size:           4
        .value_kind:     by_value
      - .offset:         84
        .size:           4
        .value_kind:     by_value
      - .offset:         88
        .size:           4
        .value_kind:     by_value
      - .offset:         92
        .size:           12
        .value_kind:     by_value
      - .offset:         104
        .size:           4
        .value_kind:     by_value
      - .offset:         108
        .size:           4
        .value_kind:     by_value
      - .offset:         112
        .size:           4
        .value_kind:     by_value
      - .offset:         116
        .size:           4
        .value_kind:     by_value
      - .offset:         120
        .size:           4
        .value_kind:     by_value
      - .offset:         124
        .size:           4
        .value_kind:     by_value
      - .offset:         128
        .size:           4
        .value_kind:     by_value
      - .offset:         132
        .size:           4
        .value_kind:     by_value
      - .offset:         136
        .size:           4
        .value_kind:     by_value
      - .offset:         140
        .size:           4
        .value_kind:     by_value
      - .offset:         144
        .size:           4
        .value_kind:     by_value
      - .offset:         152
        .size:           8
        .value_kind:     by_value
      - .offset:         160
        .size:           4
        .value_kind:     by_value
      - .offset:         164
        .size:           4
        .value_kind:     by_value
      - .offset:         168
        .size:           8
        .value_kind:     by_value
      - .offset:         176
        .size:           4
        .value_kind:     by_value
      - .offset:         180
        .size:           4
        .value_kind:     by_value
      - .offset:         184
        .size:           4
        .value_kind:     by_value
      - .offset:         188
        .size:           4
        .value_kind:     by_value
      - .offset:         192
        .size:           4
        .value_kind:     by_value
      - .offset:         200
        .size:           8
        .value_kind:     by_value
      - .offset:         208
        .size:           4
        .value_kind:     hidden_block_count_x
      - .offset:         212
        .size:           4
        .value_kind:     hidden_block_count_y
      - .offset:         216
        .size:           4
        .value_kind:     hidden_block_count_z
      - .offset:         220
        .size:           2
        .value_kind:     hidden_group_size_x
      - .offset:         222
        .size:           2
        .value_kind:     hidden_group_size_y
      - .offset:         224
        .size:           2
        .value_kind:     hidden_group_size_z
      - .offset:         226
        .size:           2
        .value_kind:     hidden_remainder_x
      - .offset:         228
        .size:           2
        .value_kind:     hidden_remainder_y
      - .offset:         230
        .size:           2
        .value_kind:     hidden_remainder_z
      - .offset:         248
        .size:           8
        .value_kind:     hidden_global_offset_x
      - .offset:         256
        .size:           8
        .value_kind:     hidden_global_offset_y
      - .offset:         264
        .size:           8
        .value_kind:     hidden_global_offset_z
      - .offset:         272
        .size:           2
        .value_kind:     hidden_grid_dims
    .group_segment_fixed_size: 25600
    .kernarg_segment_align: 8
    .kernarg_segment_size: 464
    .language:       OpenCL C
    .language_version:
      - 2
      - 0
    .max_flat_workgroup_size: 128
    .name:           _ZL15flash_attn_tileILi64ELi64ELi16ELi4ELb0EEvPKcS1_S1_S1_S1_PKiPfP15HIP_vector_typeIfLj2EEffffjfiS5_IjLj3EEiiiiiiiiiiiliiliiiiil
    .private_segment_fixed_size: 0
    .sgpr_count:     59
    .sgpr_spill_count: 0
    .symbol:         _ZL15flash_attn_tileILi64ELi64ELi16ELi4ELb0EEvPKcS1_S1_S1_S1_PKiPfP15HIP_vector_typeIfLj2EEffffjfiS5_IjLj3EEiiiiiiiiiiiliiliiiiil.kd
    .uniform_work_group_size: 1
    .uses_dynamic_stack: false
    .vgpr_count:     238
    .vgpr_spill_count: 0
    .wavefront_size: 32
    .workgroup_processor_mode: 1
  - .args:
      - .actual_access:  read_only
        .address_space:  global
        .offset:         0
        .size:           8
        .value_kind:     global_buffer
      - .actual_access:  write_only
        .address_space:  global
        .offset:         8
        .size:           8
        .value_kind:     global_buffer
      - .offset:         16
        .size:           4
        .value_kind:     by_value
      - .offset:         20
        .size:           4
        .value_kind:     by_value
      - .offset:         24
        .size:           4
        .value_kind:     by_value
      - .offset:         32
        .size:           4
        .value_kind:     hidden_block_count_x
      - .offset:         36
        .size:           4
        .value_kind:     hidden_block_count_y
      - .offset:         40
        .size:           4
        .value_kind:     hidden_block_count_z
      - .offset:         44
        .size:           2
        .value_kind:     hidden_group_size_x
      - .offset:         46
        .size:           2
        .value_kind:     hidden_group_size_y
      - .offset:         48
        .size:           2
        .value_kind:     hidden_group_size_z
      - .offset:         50
        .size:           2
        .value_kind:     hidden_remainder_x
      - .offset:         52
        .size:           2
        .value_kind:     hidden_remainder_y
      - .offset:         54
        .size:           2
        .value_kind:     hidden_remainder_z
      - .offset:         72
        .size:           8
        .value_kind:     hidden_global_offset_x
      - .offset:         80
        .size:           8
        .value_kind:     hidden_global_offset_y
      - .offset:         88
        .size:           8
        .value_kind:     hidden_global_offset_z
      - .offset:         96
        .size:           2
        .value_kind:     hidden_grid_dims
    .group_segment_fixed_size: 128
    .kernarg_segment_align: 8
    .kernarg_segment_size: 288
    .language:       OpenCL C
    .language_version:
      - 2
      - 0
    .max_flat_workgroup_size: 128
    .name:           _ZL25flash_attn_mask_to_KV_maxILi16EEvPK7__half2Piiii
    .private_segment_fixed_size: 0
    .sgpr_count:     46
    .sgpr_spill_count: 0
    .symbol:         _ZL25flash_attn_mask_to_KV_maxILi16EEvPK7__half2Piiii.kd
    .uniform_work_group_size: 1
    .uses_dynamic_stack: false
    .vgpr_count:     9
    .vgpr_spill_count: 0
    .wavefront_size: 32
    .workgroup_processor_mode: 1
  - .args:
      - .address_space:  global
        .offset:         0
        .size:           8
        .value_kind:     global_buffer
      - .address_space:  global
        .offset:         8
        .size:           8
        .value_kind:     global_buffer
      - .offset:         16
        .size:           4
        .value_kind:     by_value
      - .offset:         20
        .size:           4
        .value_kind:     by_value
      - .offset:         24
        .size:           4
        .value_kind:     by_value
      - .offset:         28
        .size:           4
        .value_kind:     by_value
      - .offset:         32
        .size:           4
        .value_kind:     by_value
      - .offset:         36
        .size:           4
        .value_kind:     by_value
      - .offset:         40
        .size:           12
        .value_kind:     by_value
      - .offset:         52
        .size:           12
        .value_kind:     by_value
      - .offset:         64
        .size:           12
        .value_kind:     by_value
    .group_segment_fixed_size: 0
    .kernarg_segment_align: 8
    .kernarg_segment_size: 76
    .language:       OpenCL C
    .language_version:
      - 2
      - 0
    .max_flat_workgroup_size: 64
    .name:           _ZL33flash_attn_stream_k_fixup_uniformILi64ELi16ELi4EEvPfPK15HIP_vector_typeIfLj2EEiiiiiiS1_IjLj3EES5_S5_
    .private_segment_fixed_size: 0
    .sgpr_count:     22
    .sgpr_spill_count: 0
    .symbol:         _ZL33flash_attn_stream_k_fixup_uniformILi64ELi16ELi4EEvPfPK15HIP_vector_typeIfLj2EEiiiiiiS1_IjLj3EES5_S5_.kd
    .uniform_work_group_size: 1
    .uses_dynamic_stack: false
    .vgpr_count:     15
    .vgpr_spill_count: 0
    .wavefront_size: 32
    .workgroup_processor_mode: 1
  - .args:
      - .address_space:  global
        .offset:         0
        .size:           8
        .value_kind:     global_buffer
      - .address_space:  global
        .offset:         8
        .size:           8
        .value_kind:     global_buffer
      - .offset:         16
        .size:           4
        .value_kind:     by_value
      - .offset:         20
        .size:           4
        .value_kind:     by_value
      - .offset:         24
        .size:           4
        .value_kind:     by_value
      - .offset:         28
        .size:           4
        .value_kind:     by_value
      - .offset:         32
        .size:           12
        .value_kind:     by_value
      - .offset:         44
        .size:           12
        .value_kind:     by_value
      - .offset:         56
        .size:           12
        .value_kind:     by_value
      - .offset:         68
        .size:           12
        .value_kind:     by_value
      - .offset:         80
        .size:           4
        .value_kind:     hidden_block_count_x
      - .offset:         84
        .size:           4
        .value_kind:     hidden_block_count_y
      - .offset:         88
        .size:           4
        .value_kind:     hidden_block_count_z
      - .offset:         92
        .size:           2
        .value_kind:     hidden_group_size_x
      - .offset:         94
        .size:           2
        .value_kind:     hidden_group_size_y
      - .offset:         96
        .size:           2
        .value_kind:     hidden_group_size_z
      - .offset:         98
        .size:           2
        .value_kind:     hidden_remainder_x
      - .offset:         100
        .size:           2
        .value_kind:     hidden_remainder_y
      - .offset:         102
        .size:           2
        .value_kind:     hidden_remainder_z
      - .offset:         120
        .size:           8
        .value_kind:     hidden_global_offset_x
      - .offset:         128
        .size:           8
        .value_kind:     hidden_global_offset_y
      - .offset:         136
        .size:           8
        .value_kind:     hidden_global_offset_z
      - .offset:         144
        .size:           2
        .value_kind:     hidden_grid_dims
    .group_segment_fixed_size: 0
    .kernarg_segment_align: 8
    .kernarg_segment_size: 336
    .language:       OpenCL C
    .language_version:
      - 2
      - 0
    .max_flat_workgroup_size: 64
    .name:           _ZL33flash_attn_stream_k_fixup_generalILi64ELi16ELi4EEvPfPK15HIP_vector_typeIfLj2EEiiiiS1_IjLj3EES5_S5_S5_
    .private_segment_fixed_size: 0
    .sgpr_count:     34
    .sgpr_spill_count: 0
    .symbol:         _ZL33flash_attn_stream_k_fixup_generalILi64ELi16ELi4EEvPfPK15HIP_vector_typeIfLj2EEiiiiS1_IjLj3EES5_S5_S5_.kd
    .uniform_work_group_size: 1
    .uses_dynamic_stack: false
    .vgpr_count:     19
    .vgpr_spill_count: 0
    .wavefront_size: 32
    .workgroup_processor_mode: 1
  - .args:
      - .address_space:  global
        .offset:         0
        .size:           8
        .value_kind:     global_buffer
      - .address_space:  global
        .offset:         8
        .size:           8
        .value_kind:     global_buffer
      - .address_space:  global
        .offset:         16
        .size:           8
        .value_kind:     global_buffer
      - .address_space:  global
        .offset:         24
        .size:           8
        .value_kind:     global_buffer
      - .address_space:  global
        .offset:         32
        .size:           8
        .value_kind:     global_buffer
      - .address_space:  global
        .offset:         40
        .size:           8
        .value_kind:     global_buffer
      - .address_space:  global
        .offset:         48
        .size:           8
        .value_kind:     global_buffer
      - .address_space:  global
        .offset:         56
        .size:           8
        .value_kind:     global_buffer
      - .offset:         64
        .size:           4
        .value_kind:     by_value
      - .offset:         68
        .size:           4
        .value_kind:     by_value
      - .offset:         72
        .size:           4
        .value_kind:     by_value
      - .offset:         76
        .size:           4
        .value_kind:     by_value
      - .offset:         80
        .size:           4
        .value_kind:     by_value
      - .offset:         84
        .size:           4
        .value_kind:     by_value
      - .offset:         88
        .size:           4
        .value_kind:     by_value
      - .offset:         92
        .size:           12
        .value_kind:     by_value
      - .offset:         104
        .size:           4
        .value_kind:     by_value
      - .offset:         108
        .size:           4
        .value_kind:     by_value
      - .offset:         112
        .size:           4
        .value_kind:     by_value
      - .offset:         116
        .size:           4
        .value_kind:     by_value
      - .offset:         120
        .size:           4
        .value_kind:     by_value
      - .offset:         124
        .size:           4
        .value_kind:     by_value
      - .offset:         128
        .size:           4
        .value_kind:     by_value
      - .offset:         132
        .size:           4
        .value_kind:     by_value
      - .offset:         136
        .size:           4
        .value_kind:     by_value
      - .offset:         140
        .size:           4
        .value_kind:     by_value
      - .offset:         144
        .size:           4
        .value_kind:     by_value
      - .offset:         152
        .size:           8
        .value_kind:     by_value
      - .offset:         160
        .size:           4
        .value_kind:     by_value
      - .offset:         164
        .size:           4
        .value_kind:     by_value
      - .offset:         168
        .size:           8
        .value_kind:     by_value
      - .offset:         176
        .size:           4
        .value_kind:     by_value
      - .offset:         180
        .size:           4
        .value_kind:     by_value
      - .offset:         184
        .size:           4
        .value_kind:     by_value
      - .offset:         188
        .size:           4
        .value_kind:     by_value
      - .offset:         192
        .size:           4
        .value_kind:     by_value
      - .offset:         200
        .size:           8
        .value_kind:     by_value
      - .offset:         208
        .size:           4
        .value_kind:     hidden_block_count_x
      - .offset:         212
        .size:           4
        .value_kind:     hidden_block_count_y
      - .offset:         216
        .size:           4
        .value_kind:     hidden_block_count_z
      - .offset:         220
        .size:           2
        .value_kind:     hidden_group_size_x
      - .offset:         222
        .size:           2
        .value_kind:     hidden_group_size_y
      - .offset:         224
        .size:           2
        .value_kind:     hidden_group_size_z
      - .offset:         226
        .size:           2
        .value_kind:     hidden_remainder_x
      - .offset:         228
        .size:           2
        .value_kind:     hidden_remainder_y
      - .offset:         230
        .size:           2
        .value_kind:     hidden_remainder_z
      - .offset:         248
        .size:           8
        .value_kind:     hidden_global_offset_x
      - .offset:         256
        .size:           8
        .value_kind:     hidden_global_offset_y
      - .offset:         264
        .size:           8
        .value_kind:     hidden_global_offset_z
      - .offset:         272
        .size:           2
        .value_kind:     hidden_grid_dims
    .group_segment_fixed_size: 17408
    .kernarg_segment_align: 8
    .kernarg_segment_size: 464
    .language:       OpenCL C
    .language_version:
      - 2
      - 0
    .max_flat_workgroup_size: 128
    .name:           _ZL15flash_attn_tileILi64ELi64ELi8ELi4ELb0EEvPKcS1_S1_S1_S1_PKiPfP15HIP_vector_typeIfLj2EEffffjfiS5_IjLj3EEiiiiiiiiiiiliiliiiiil
    .private_segment_fixed_size: 0
    .sgpr_count:     77
    .sgpr_spill_count: 0
    .symbol:         _ZL15flash_attn_tileILi64ELi64ELi8ELi4ELb0EEvPKcS1_S1_S1_S1_PKiPfP15HIP_vector_typeIfLj2EEffffjfiS5_IjLj3EEiiiiiiiiiiiliiliiiiil.kd
    .uniform_work_group_size: 1
    .uses_dynamic_stack: false
    .vgpr_count:     220
    .vgpr_spill_count: 0
    .wavefront_size: 32
    .workgroup_processor_mode: 1
  - .args:
      - .address_space:  global
        .offset:         0
        .size:           8
        .value_kind:     global_buffer
      - .address_space:  global
        .offset:         8
        .size:           8
        .value_kind:     global_buffer
      - .offset:         16
        .size:           4
        .value_kind:     by_value
      - .offset:         20
        .size:           4
        .value_kind:     by_value
      - .offset:         24
        .size:           4
        .value_kind:     by_value
      - .offset:         28
        .size:           4
        .value_kind:     by_value
      - .offset:         32
        .size:           4
        .value_kind:     by_value
      - .offset:         36
        .size:           4
        .value_kind:     by_value
      - .offset:         40
        .size:           12
        .value_kind:     by_value
      - .offset:         52
        .size:           12
        .value_kind:     by_value
      - .offset:         64
        .size:           12
        .value_kind:     by_value
    .group_segment_fixed_size: 0
    .kernarg_segment_align: 8
    .kernarg_segment_size: 76
    .language:       OpenCL C
    .language_version:
      - 2
      - 0
    .max_flat_workgroup_size: 64
    .name:           _ZL33flash_attn_stream_k_fixup_uniformILi64ELi8ELi4EEvPfPK15HIP_vector_typeIfLj2EEiiiiiiS1_IjLj3EES5_S5_
    .private_segment_fixed_size: 0
    .sgpr_count:     22
    .sgpr_spill_count: 0
    .symbol:         _ZL33flash_attn_stream_k_fixup_uniformILi64ELi8ELi4EEvPfPK15HIP_vector_typeIfLj2EEiiiiiiS1_IjLj3EES5_S5_.kd
    .uniform_work_group_size: 1
    .uses_dynamic_stack: false
    .vgpr_count:     15
    .vgpr_spill_count: 0
    .wavefront_size: 32
    .workgroup_processor_mode: 1
  - .args:
      - .address_space:  global
        .offset:         0
        .size:           8
        .value_kind:     global_buffer
      - .address_space:  global
        .offset:         8
        .size:           8
        .value_kind:     global_buffer
      - .offset:         16
        .size:           4
        .value_kind:     by_value
      - .offset:         20
        .size:           4
        .value_kind:     by_value
      - .offset:         24
        .size:           4
        .value_kind:     by_value
      - .offset:         28
        .size:           4
        .value_kind:     by_value
      - .offset:         32
        .size:           12
        .value_kind:     by_value
      - .offset:         44
        .size:           12
        .value_kind:     by_value
      - .offset:         56
        .size:           12
        .value_kind:     by_value
      - .offset:         68
        .size:           12
        .value_kind:     by_value
      - .offset:         80
        .size:           4
        .value_kind:     hidden_block_count_x
      - .offset:         84
        .size:           4
        .value_kind:     hidden_block_count_y
      - .offset:         88
        .size:           4
        .value_kind:     hidden_block_count_z
      - .offset:         92
        .size:           2
        .value_kind:     hidden_group_size_x
      - .offset:         94
        .size:           2
        .value_kind:     hidden_group_size_y
      - .offset:         96
        .size:           2
        .value_kind:     hidden_group_size_z
      - .offset:         98
        .size:           2
        .value_kind:     hidden_remainder_x
      - .offset:         100
        .size:           2
        .value_kind:     hidden_remainder_y
      - .offset:         102
        .size:           2
        .value_kind:     hidden_remainder_z
      - .offset:         120
        .size:           8
        .value_kind:     hidden_global_offset_x
      - .offset:         128
        .size:           8
        .value_kind:     hidden_global_offset_y
      - .offset:         136
        .size:           8
        .value_kind:     hidden_global_offset_z
      - .offset:         144
        .size:           2
        .value_kind:     hidden_grid_dims
    .group_segment_fixed_size: 0
    .kernarg_segment_align: 8
    .kernarg_segment_size: 336
    .language:       OpenCL C
    .language_version:
      - 2
      - 0
    .max_flat_workgroup_size: 64
    .name:           _ZL33flash_attn_stream_k_fixup_generalILi64ELi8ELi4EEvPfPK15HIP_vector_typeIfLj2EEiiiiS1_IjLj3EES5_S5_S5_
    .private_segment_fixed_size: 0
    .sgpr_count:     34
    .sgpr_spill_count: 0
    .symbol:         _ZL33flash_attn_stream_k_fixup_generalILi64ELi8ELi4EEvPfPK15HIP_vector_typeIfLj2EEiiiiS1_IjLj3EES5_S5_S5_.kd
    .uniform_work_group_size: 1
    .uses_dynamic_stack: false
    .vgpr_count:     19
    .vgpr_spill_count: 0
    .wavefront_size: 32
    .workgroup_processor_mode: 1
  - .args:
      - .address_space:  global
        .offset:         0
        .size:           8
        .value_kind:     global_buffer
      - .address_space:  global
        .offset:         8
        .size:           8
        .value_kind:     global_buffer
      - .address_space:  global
        .offset:         16
        .size:           8
        .value_kind:     global_buffer
      - .address_space:  global
        .offset:         24
        .size:           8
        .value_kind:     global_buffer
      - .address_space:  global
        .offset:         32
        .size:           8
        .value_kind:     global_buffer
      - .address_space:  global
        .offset:         40
        .size:           8
        .value_kind:     global_buffer
      - .address_space:  global
        .offset:         48
        .size:           8
        .value_kind:     global_buffer
      - .address_space:  global
        .offset:         56
        .size:           8
        .value_kind:     global_buffer
      - .offset:         64
        .size:           4
        .value_kind:     by_value
      - .offset:         68
        .size:           4
        .value_kind:     by_value
      - .offset:         72
        .size:           4
        .value_kind:     by_value
      - .offset:         76
        .size:           4
        .value_kind:     by_value
      - .offset:         80
        .size:           4
        .value_kind:     by_value
      - .offset:         84
        .size:           4
        .value_kind:     by_value
      - .offset:         88
        .size:           4
        .value_kind:     by_value
      - .offset:         92
        .size:           12
        .value_kind:     by_value
      - .offset:         104
        .size:           4
        .value_kind:     by_value
      - .offset:         108
        .size:           4
        .value_kind:     by_value
      - .offset:         112
        .size:           4
        .value_kind:     by_value
      - .offset:         116
        .size:           4
        .value_kind:     by_value
      - .offset:         120
        .size:           4
        .value_kind:     by_value
      - .offset:         124
        .size:           4
        .value_kind:     by_value
      - .offset:         128
        .size:           4
        .value_kind:     by_value
      - .offset:         132
        .size:           4
        .value_kind:     by_value
      - .offset:         136
        .size:           4
        .value_kind:     by_value
      - .offset:         140
        .size:           4
        .value_kind:     by_value
      - .offset:         144
        .size:           4
        .value_kind:     by_value
      - .offset:         152
        .size:           8
        .value_kind:     by_value
      - .offset:         160
        .size:           4
        .value_kind:     by_value
      - .offset:         164
        .size:           4
        .value_kind:     by_value
      - .offset:         168
        .size:           8
        .value_kind:     by_value
      - .offset:         176
        .size:           4
        .value_kind:     by_value
      - .offset:         180
        .size:           4
        .value_kind:     by_value
      - .offset:         184
        .size:           4
        .value_kind:     by_value
      - .offset:         188
        .size:           4
        .value_kind:     by_value
      - .offset:         192
        .size:           4
        .value_kind:     by_value
      - .offset:         200
        .size:           8
        .value_kind:     by_value
      - .offset:         208
        .size:           4
        .value_kind:     hidden_block_count_x
      - .offset:         212
        .size:           4
        .value_kind:     hidden_block_count_y
      - .offset:         216
        .size:           4
        .value_kind:     hidden_block_count_z
      - .offset:         220
        .size:           2
        .value_kind:     hidden_group_size_x
      - .offset:         222
        .size:           2
        .value_kind:     hidden_group_size_y
      - .offset:         224
        .size:           2
        .value_kind:     hidden_group_size_z
      - .offset:         226
        .size:           2
        .value_kind:     hidden_remainder_x
      - .offset:         228
        .size:           2
        .value_kind:     hidden_remainder_y
      - .offset:         230
        .size:           2
        .value_kind:     hidden_remainder_z
      - .offset:         248
        .size:           8
        .value_kind:     hidden_global_offset_x
      - .offset:         256
        .size:           8
        .value_kind:     hidden_global_offset_y
      - .offset:         264
        .size:           8
        .value_kind:     hidden_global_offset_z
      - .offset:         272
        .size:           2
        .value_kind:     hidden_grid_dims
    .group_segment_fixed_size: 24576
    .kernarg_segment_align: 8
    .kernarg_segment_size: 464
    .language:       OpenCL C
    .language_version:
      - 2
      - 0
    .max_flat_workgroup_size: 128
    .name:           _ZL15flash_attn_tileILi64ELi64ELi4ELi4ELb0EEvPKcS1_S1_S1_S1_PKiPfP15HIP_vector_typeIfLj2EEffffjfiS5_IjLj3EEiiiiiiiiiiiliiliiiiil
    .private_segment_fixed_size: 0
    .sgpr_count:     47
    .sgpr_spill_count: 0
    .symbol:         _ZL15flash_attn_tileILi64ELi64ELi4ELi4ELb0EEvPKcS1_S1_S1_S1_PKiPfP15HIP_vector_typeIfLj2EEffffjfiS5_IjLj3EEiiiiiiiiiiiliiliiiiil.kd
    .uniform_work_group_size: 1
    .uses_dynamic_stack: false
    .vgpr_count:     203
    .vgpr_spill_count: 0
    .wavefront_size: 32
    .workgroup_processor_mode: 1
  - .args:
      - .address_space:  global
        .offset:         0
        .size:           8
        .value_kind:     global_buffer
      - .address_space:  global
        .offset:         8
        .size:           8
        .value_kind:     global_buffer
      - .offset:         16
        .size:           4
        .value_kind:     by_value
      - .offset:         20
        .size:           4
        .value_kind:     by_value
      - .offset:         24
        .size:           4
        .value_kind:     by_value
      - .offset:         28
        .size:           4
        .value_kind:     by_value
      - .offset:         32
        .size:           4
        .value_kind:     by_value
      - .offset:         36
        .size:           4
        .value_kind:     by_value
      - .offset:         40
        .size:           12
        .value_kind:     by_value
      - .offset:         52
        .size:           12
        .value_kind:     by_value
      - .offset:         64
        .size:           12
        .value_kind:     by_value
    .group_segment_fixed_size: 0
    .kernarg_segment_align: 8
    .kernarg_segment_size: 76
    .language:       OpenCL C
    .language_version:
      - 2
      - 0
    .max_flat_workgroup_size: 64
    .name:           _ZL33flash_attn_stream_k_fixup_uniformILi64ELi4ELi4EEvPfPK15HIP_vector_typeIfLj2EEiiiiiiS1_IjLj3EES5_S5_
    .private_segment_fixed_size: 0
    .sgpr_count:     22
    .sgpr_spill_count: 0
    .symbol:         _ZL33flash_attn_stream_k_fixup_uniformILi64ELi4ELi4EEvPfPK15HIP_vector_typeIfLj2EEiiiiiiS1_IjLj3EES5_S5_.kd
    .uniform_work_group_size: 1
    .uses_dynamic_stack: false
    .vgpr_count:     15
    .vgpr_spill_count: 0
    .wavefront_size: 32
    .workgroup_processor_mode: 1
  - .args:
      - .address_space:  global
        .offset:         0
        .size:           8
        .value_kind:     global_buffer
      - .address_space:  global
        .offset:         8
        .size:           8
        .value_kind:     global_buffer
      - .offset:         16
        .size:           4
        .value_kind:     by_value
      - .offset:         20
        .size:           4
        .value_kind:     by_value
      - .offset:         24
        .size:           4
        .value_kind:     by_value
      - .offset:         28
        .size:           4
        .value_kind:     by_value
      - .offset:         32
        .size:           12
        .value_kind:     by_value
      - .offset:         44
        .size:           12
        .value_kind:     by_value
      - .offset:         56
        .size:           12
        .value_kind:     by_value
      - .offset:         68
        .size:           12
        .value_kind:     by_value
      - .offset:         80
        .size:           4
        .value_kind:     hidden_block_count_x
      - .offset:         84
        .size:           4
        .value_kind:     hidden_block_count_y
      - .offset:         88
        .size:           4
        .value_kind:     hidden_block_count_z
      - .offset:         92
        .size:           2
        .value_kind:     hidden_group_size_x
      - .offset:         94
        .size:           2
        .value_kind:     hidden_group_size_y
      - .offset:         96
        .size:           2
        .value_kind:     hidden_group_size_z
      - .offset:         98
        .size:           2
        .value_kind:     hidden_remainder_x
      - .offset:         100
        .size:           2
        .value_kind:     hidden_remainder_y
      - .offset:         102
        .size:           2
        .value_kind:     hidden_remainder_z
      - .offset:         120
        .size:           8
        .value_kind:     hidden_global_offset_x
      - .offset:         128
        .size:           8
        .value_kind:     hidden_global_offset_y
      - .offset:         136
        .size:           8
        .value_kind:     hidden_global_offset_z
      - .offset:         144
        .size:           2
        .value_kind:     hidden_grid_dims
    .group_segment_fixed_size: 0
    .kernarg_segment_align: 8
    .kernarg_segment_size: 336
    .language:       OpenCL C
    .language_version:
      - 2
      - 0
    .max_flat_workgroup_size: 64
    .name:           _ZL33flash_attn_stream_k_fixup_generalILi64ELi4ELi4EEvPfPK15HIP_vector_typeIfLj2EEiiiiS1_IjLj3EES5_S5_S5_
    .private_segment_fixed_size: 0
    .sgpr_count:     34
    .sgpr_spill_count: 0
    .symbol:         _ZL33flash_attn_stream_k_fixup_generalILi64ELi4ELi4EEvPfPK15HIP_vector_typeIfLj2EEiiiiS1_IjLj3EES5_S5_S5_.kd
    .uniform_work_group_size: 1
    .uses_dynamic_stack: false
    .vgpr_count:     19
    .vgpr_spill_count: 0
    .wavefront_size: 32
    .workgroup_processor_mode: 1
  - .args:
      - .address_space:  global
        .offset:         0
        .size:           8
        .value_kind:     global_buffer
      - .address_space:  global
        .offset:         8
        .size:           8
        .value_kind:     global_buffer
      - .address_space:  global
        .offset:         16
        .size:           8
        .value_kind:     global_buffer
      - .address_space:  global
        .offset:         24
        .size:           8
        .value_kind:     global_buffer
      - .address_space:  global
        .offset:         32
        .size:           8
        .value_kind:     global_buffer
      - .address_space:  global
        .offset:         40
        .size:           8
        .value_kind:     global_buffer
      - .address_space:  global
        .offset:         48
        .size:           8
        .value_kind:     global_buffer
      - .address_space:  global
        .offset:         56
        .size:           8
        .value_kind:     global_buffer
      - .offset:         64
        .size:           4
        .value_kind:     by_value
      - .offset:         68
        .size:           4
        .value_kind:     by_value
      - .offset:         72
        .size:           4
        .value_kind:     by_value
      - .offset:         76
        .size:           4
        .value_kind:     by_value
      - .offset:         80
        .size:           4
        .value_kind:     by_value
      - .offset:         84
        .size:           4
        .value_kind:     by_value
      - .offset:         88
        .size:           4
        .value_kind:     by_value
      - .offset:         92
        .size:           12
        .value_kind:     by_value
      - .offset:         104
        .size:           4
        .value_kind:     by_value
      - .offset:         108
        .size:           4
        .value_kind:     by_value
      - .offset:         112
        .size:           4
        .value_kind:     by_value
      - .offset:         116
        .size:           4
        .value_kind:     by_value
      - .offset:         120
        .size:           4
        .value_kind:     by_value
      - .offset:         124
        .size:           4
        .value_kind:     by_value
      - .offset:         128
        .size:           4
        .value_kind:     by_value
      - .offset:         132
        .size:           4
        .value_kind:     by_value
      - .offset:         136
        .size:           4
        .value_kind:     by_value
      - .offset:         140
        .size:           4
        .value_kind:     by_value
      - .offset:         144
        .size:           4
        .value_kind:     by_value
      - .offset:         152
        .size:           8
        .value_kind:     by_value
      - .offset:         160
        .size:           4
        .value_kind:     by_value
      - .offset:         164
        .size:           4
        .value_kind:     by_value
      - .offset:         168
        .size:           8
        .value_kind:     by_value
      - .offset:         176
        .size:           4
        .value_kind:     by_value
      - .offset:         180
        .size:           4
        .value_kind:     by_value
      - .offset:         184
        .size:           4
        .value_kind:     by_value
      - .offset:         188
        .size:           4
        .value_kind:     by_value
      - .offset:         192
        .size:           4
        .value_kind:     by_value
      - .offset:         200
        .size:           8
        .value_kind:     by_value
      - .offset:         208
        .size:           4
        .value_kind:     hidden_block_count_x
      - .offset:         212
        .size:           4
        .value_kind:     hidden_block_count_y
      - .offset:         216
        .size:           4
        .value_kind:     hidden_block_count_z
      - .offset:         220
        .size:           2
        .value_kind:     hidden_group_size_x
      - .offset:         222
        .size:           2
        .value_kind:     hidden_group_size_y
      - .offset:         224
        .size:           2
        .value_kind:     hidden_group_size_z
      - .offset:         226
        .size:           2
        .value_kind:     hidden_remainder_x
      - .offset:         228
        .size:           2
        .value_kind:     hidden_remainder_y
      - .offset:         230
        .size:           2
        .value_kind:     hidden_remainder_z
      - .offset:         248
        .size:           8
        .value_kind:     hidden_global_offset_x
      - .offset:         256
        .size:           8
        .value_kind:     hidden_global_offset_y
      - .offset:         264
        .size:           8
        .value_kind:     hidden_global_offset_z
      - .offset:         272
        .size:           2
        .value_kind:     hidden_grid_dims
    .group_segment_fixed_size: 21504
    .kernarg_segment_align: 8
    .kernarg_segment_size: 464
    .language:       OpenCL C
    .language_version:
      - 2
      - 0
    .max_flat_workgroup_size: 128
    .name:           _ZL15flash_attn_tileILi64ELi64ELi2ELi4ELb0EEvPKcS1_S1_S1_S1_PKiPfP15HIP_vector_typeIfLj2EEffffjfiS5_IjLj3EEiiiiiiiiiiiliiliiiiil
    .private_segment_fixed_size: 0
    .sgpr_count:     47
    .sgpr_spill_count: 0
    .symbol:         _ZL15flash_attn_tileILi64ELi64ELi2ELi4ELb0EEvPKcS1_S1_S1_S1_PKiPfP15HIP_vector_typeIfLj2EEffffjfiS5_IjLj3EEiiiiiiiiiiiliiliiiiil.kd
    .uniform_work_group_size: 1
    .uses_dynamic_stack: false
    .vgpr_count:     237
    .vgpr_spill_count: 0
    .wavefront_size: 32
    .workgroup_processor_mode: 1
  - .args:
      - .address_space:  global
        .offset:         0
        .size:           8
        .value_kind:     global_buffer
      - .address_space:  global
        .offset:         8
        .size:           8
        .value_kind:     global_buffer
      - .offset:         16
        .size:           4
        .value_kind:     by_value
      - .offset:         20
        .size:           4
        .value_kind:     by_value
      - .offset:         24
        .size:           4
        .value_kind:     by_value
      - .offset:         28
        .size:           4
        .value_kind:     by_value
      - .offset:         32
        .size:           4
        .value_kind:     by_value
      - .offset:         36
        .size:           4
        .value_kind:     by_value
      - .offset:         40
        .size:           12
        .value_kind:     by_value
      - .offset:         52
        .size:           12
        .value_kind:     by_value
      - .offset:         64
        .size:           12
        .value_kind:     by_value
    .group_segment_fixed_size: 0
    .kernarg_segment_align: 8
    .kernarg_segment_size: 76
    .language:       OpenCL C
    .language_version:
      - 2
      - 0
    .max_flat_workgroup_size: 64
    .name:           _ZL33flash_attn_stream_k_fixup_uniformILi64ELi2ELi4EEvPfPK15HIP_vector_typeIfLj2EEiiiiiiS1_IjLj3EES5_S5_
    .private_segment_fixed_size: 0
    .sgpr_count:     22
    .sgpr_spill_count: 0
    .symbol:         _ZL33flash_attn_stream_k_fixup_uniformILi64ELi2ELi4EEvPfPK15HIP_vector_typeIfLj2EEiiiiiiS1_IjLj3EES5_S5_.kd
    .uniform_work_group_size: 1
    .uses_dynamic_stack: false
    .vgpr_count:     15
    .vgpr_spill_count: 0
    .wavefront_size: 32
    .workgroup_processor_mode: 1
  - .args:
      - .address_space:  global
        .offset:         0
        .size:           8
        .value_kind:     global_buffer
      - .address_space:  global
        .offset:         8
        .size:           8
        .value_kind:     global_buffer
      - .offset:         16
        .size:           4
        .value_kind:     by_value
      - .offset:         20
        .size:           4
        .value_kind:     by_value
      - .offset:         24
        .size:           4
        .value_kind:     by_value
      - .offset:         28
        .size:           4
        .value_kind:     by_value
      - .offset:         32
        .size:           12
        .value_kind:     by_value
      - .offset:         44
        .size:           12
        .value_kind:     by_value
      - .offset:         56
        .size:           12
        .value_kind:     by_value
      - .offset:         68
        .size:           12
        .value_kind:     by_value
      - .offset:         80
        .size:           4
        .value_kind:     hidden_block_count_x
      - .offset:         84
        .size:           4
        .value_kind:     hidden_block_count_y
      - .offset:         88
        .size:           4
        .value_kind:     hidden_block_count_z
      - .offset:         92
        .size:           2
        .value_kind:     hidden_group_size_x
      - .offset:         94
        .size:           2
        .value_kind:     hidden_group_size_y
      - .offset:         96
        .size:           2
        .value_kind:     hidden_group_size_z
      - .offset:         98
        .size:           2
        .value_kind:     hidden_remainder_x
      - .offset:         100
        .size:           2
        .value_kind:     hidden_remainder_y
      - .offset:         102
        .size:           2
        .value_kind:     hidden_remainder_z
      - .offset:         120
        .size:           8
        .value_kind:     hidden_global_offset_x
      - .offset:         128
        .size:           8
        .value_kind:     hidden_global_offset_y
      - .offset:         136
        .size:           8
        .value_kind:     hidden_global_offset_z
      - .offset:         144
        .size:           2
        .value_kind:     hidden_grid_dims
    .group_segment_fixed_size: 0
    .kernarg_segment_align: 8
    .kernarg_segment_size: 336
    .language:       OpenCL C
    .language_version:
      - 2
      - 0
    .max_flat_workgroup_size: 64
    .name:           _ZL33flash_attn_stream_k_fixup_generalILi64ELi2ELi4EEvPfPK15HIP_vector_typeIfLj2EEiiiiS1_IjLj3EES5_S5_S5_
    .private_segment_fixed_size: 0
    .sgpr_count:     34
    .sgpr_spill_count: 0
    .symbol:         _ZL33flash_attn_stream_k_fixup_generalILi64ELi2ELi4EEvPfPK15HIP_vector_typeIfLj2EEiiiiS1_IjLj3EES5_S5_S5_.kd
    .uniform_work_group_size: 1
    .uses_dynamic_stack: false
    .vgpr_count:     19
    .vgpr_spill_count: 0
    .wavefront_size: 32
    .workgroup_processor_mode: 1
  - .args:
      - .address_space:  global
        .offset:         0
        .size:           8
        .value_kind:     global_buffer
      - .address_space:  global
        .offset:         8
        .size:           8
        .value_kind:     global_buffer
      - .address_space:  global
        .offset:         16
        .size:           8
        .value_kind:     global_buffer
      - .address_space:  global
        .offset:         24
        .size:           8
        .value_kind:     global_buffer
      - .address_space:  global
        .offset:         32
        .size:           8
        .value_kind:     global_buffer
      - .address_space:  global
        .offset:         40
        .size:           8
        .value_kind:     global_buffer
      - .address_space:  global
        .offset:         48
        .size:           8
        .value_kind:     global_buffer
      - .address_space:  global
        .offset:         56
        .size:           8
        .value_kind:     global_buffer
      - .offset:         64
        .size:           4
        .value_kind:     by_value
      - .offset:         68
        .size:           4
        .value_kind:     by_value
      - .offset:         72
        .size:           4
        .value_kind:     by_value
      - .offset:         76
        .size:           4
        .value_kind:     by_value
      - .offset:         80
        .size:           4
        .value_kind:     by_value
      - .offset:         84
        .size:           4
        .value_kind:     by_value
      - .offset:         88
        .size:           4
        .value_kind:     by_value
      - .offset:         92
        .size:           12
        .value_kind:     by_value
      - .offset:         104
        .size:           4
        .value_kind:     by_value
      - .offset:         108
        .size:           4
        .value_kind:     by_value
      - .offset:         112
        .size:           4
        .value_kind:     by_value
      - .offset:         116
        .size:           4
        .value_kind:     by_value
      - .offset:         120
        .size:           4
        .value_kind:     by_value
      - .offset:         124
        .size:           4
        .value_kind:     by_value
      - .offset:         128
        .size:           4
        .value_kind:     by_value
      - .offset:         132
        .size:           4
        .value_kind:     by_value
      - .offset:         136
        .size:           4
        .value_kind:     by_value
      - .offset:         140
        .size:           4
        .value_kind:     by_value
      - .offset:         144
        .size:           4
        .value_kind:     by_value
      - .offset:         152
        .size:           8
        .value_kind:     by_value
      - .offset:         160
        .size:           4
        .value_kind:     by_value
      - .offset:         164
        .size:           4
        .value_kind:     by_value
      - .offset:         168
        .size:           8
        .value_kind:     by_value
      - .offset:         176
        .size:           4
        .value_kind:     by_value
      - .offset:         180
        .size:           4
        .value_kind:     by_value
      - .offset:         184
        .size:           4
        .value_kind:     by_value
      - .offset:         188
        .size:           4
        .value_kind:     by_value
      - .offset:         192
        .size:           4
        .value_kind:     by_value
      - .offset:         200
        .size:           8
        .value_kind:     by_value
      - .offset:         208
        .size:           4
        .value_kind:     hidden_block_count_x
      - .offset:         212
        .size:           4
        .value_kind:     hidden_block_count_y
      - .offset:         216
        .size:           4
        .value_kind:     hidden_block_count_z
      - .offset:         220
        .size:           2
        .value_kind:     hidden_group_size_x
      - .offset:         222
        .size:           2
        .value_kind:     hidden_group_size_y
      - .offset:         224
        .size:           2
        .value_kind:     hidden_group_size_z
      - .offset:         226
        .size:           2
        .value_kind:     hidden_remainder_x
      - .offset:         228
        .size:           2
        .value_kind:     hidden_remainder_y
      - .offset:         230
        .size:           2
        .value_kind:     hidden_remainder_z
      - .offset:         248
        .size:           8
        .value_kind:     hidden_global_offset_x
      - .offset:         256
        .size:           8
        .value_kind:     hidden_global_offset_y
      - .offset:         264
        .size:           8
        .value_kind:     hidden_global_offset_z
      - .offset:         272
        .size:           2
        .value_kind:     hidden_grid_dims
    .group_segment_fixed_size: 5376
    .kernarg_segment_align: 8
    .kernarg_segment_size: 464
    .language:       OpenCL C
    .language_version:
      - 2
      - 0
    .max_flat_workgroup_size: 64
    .name:           _ZL15flash_attn_tileILi64ELi64ELi1ELi4ELb0EEvPKcS1_S1_S1_S1_PKiPfP15HIP_vector_typeIfLj2EEffffjfiS5_IjLj3EEiiiiiiiiiiiliiliiiiil
    .private_segment_fixed_size: 0
    .sgpr_count:     42
    .sgpr_spill_count: 0
    .symbol:         _ZL15flash_attn_tileILi64ELi64ELi1ELi4ELb0EEvPKcS1_S1_S1_S1_PKiPfP15HIP_vector_typeIfLj2EEffffjfiS5_IjLj3EEiiiiiiiiiiiliiliiiiil.kd
    .uniform_work_group_size: 1
    .uses_dynamic_stack: false
    .vgpr_count:     111
    .vgpr_spill_count: 0
    .wavefront_size: 32
    .workgroup_processor_mode: 1
  - .args:
      - .address_space:  global
        .offset:         0
        .size:           8
        .value_kind:     global_buffer
      - .address_space:  global
        .offset:         8
        .size:           8
        .value_kind:     global_buffer
      - .offset:         16
        .size:           4
        .value_kind:     by_value
      - .offset:         20
        .size:           4
        .value_kind:     by_value
      - .offset:         24
        .size:           4
        .value_kind:     by_value
      - .offset:         28
        .size:           4
        .value_kind:     by_value
      - .offset:         32
        .size:           4
        .value_kind:     by_value
      - .offset:         36
        .size:           4
        .value_kind:     by_value
      - .offset:         40
        .size:           12
        .value_kind:     by_value
      - .offset:         52
        .size:           12
        .value_kind:     by_value
      - .offset:         64
        .size:           12
        .value_kind:     by_value
    .group_segment_fixed_size: 0
    .kernarg_segment_align: 8
    .kernarg_segment_size: 76
    .language:       OpenCL C
    .language_version:
      - 2
      - 0
    .max_flat_workgroup_size: 64
    .name:           _ZL33flash_attn_stream_k_fixup_uniformILi64ELi1ELi4EEvPfPK15HIP_vector_typeIfLj2EEiiiiiiS1_IjLj3EES5_S5_
    .private_segment_fixed_size: 0
    .sgpr_count:     22
    .sgpr_spill_count: 0
    .symbol:         _ZL33flash_attn_stream_k_fixup_uniformILi64ELi1ELi4EEvPfPK15HIP_vector_typeIfLj2EEiiiiiiS1_IjLj3EES5_S5_.kd
    .uniform_work_group_size: 1
    .uses_dynamic_stack: false
    .vgpr_count:     15
    .vgpr_spill_count: 0
    .wavefront_size: 32
    .workgroup_processor_mode: 1
  - .args:
      - .address_space:  global
        .offset:         0
        .size:           8
        .value_kind:     global_buffer
      - .address_space:  global
        .offset:         8
        .size:           8
        .value_kind:     global_buffer
      - .offset:         16
        .size:           4
        .value_kind:     by_value
      - .offset:         20
        .size:           4
        .value_kind:     by_value
      - .offset:         24
        .size:           4
        .value_kind:     by_value
      - .offset:         28
        .size:           4
        .value_kind:     by_value
      - .offset:         32
        .size:           12
        .value_kind:     by_value
      - .offset:         44
        .size:           12
        .value_kind:     by_value
      - .offset:         56
        .size:           12
        .value_kind:     by_value
      - .offset:         68
        .size:           12
        .value_kind:     by_value
      - .offset:         80
        .size:           4
        .value_kind:     hidden_block_count_x
      - .offset:         84
        .size:           4
        .value_kind:     hidden_block_count_y
      - .offset:         88
        .size:           4
        .value_kind:     hidden_block_count_z
      - .offset:         92
        .size:           2
        .value_kind:     hidden_group_size_x
      - .offset:         94
        .size:           2
        .value_kind:     hidden_group_size_y
      - .offset:         96
        .size:           2
        .value_kind:     hidden_group_size_z
      - .offset:         98
        .size:           2
        .value_kind:     hidden_remainder_x
      - .offset:         100
        .size:           2
        .value_kind:     hidden_remainder_y
      - .offset:         102
        .size:           2
        .value_kind:     hidden_remainder_z
      - .offset:         120
        .size:           8
        .value_kind:     hidden_global_offset_x
      - .offset:         128
        .size:           8
        .value_kind:     hidden_global_offset_y
      - .offset:         136
        .size:           8
        .value_kind:     hidden_global_offset_z
      - .offset:         144
        .size:           2
        .value_kind:     hidden_grid_dims
    .group_segment_fixed_size: 0
    .kernarg_segment_align: 8
    .kernarg_segment_size: 336
    .language:       OpenCL C
    .language_version:
      - 2
      - 0
    .max_flat_workgroup_size: 64
    .name:           _ZL33flash_attn_stream_k_fixup_generalILi64ELi1ELi4EEvPfPK15HIP_vector_typeIfLj2EEiiiiS1_IjLj3EES5_S5_S5_
    .private_segment_fixed_size: 0
    .sgpr_count:     34
    .sgpr_spill_count: 0
    .symbol:         _ZL33flash_attn_stream_k_fixup_generalILi64ELi1ELi4EEvPfPK15HIP_vector_typeIfLj2EEiiiiS1_IjLj3EES5_S5_S5_.kd
    .uniform_work_group_size: 1
    .uses_dynamic_stack: false
    .vgpr_count:     19
    .vgpr_spill_count: 0
    .wavefront_size: 32
    .workgroup_processor_mode: 1
  - .args:
      - .address_space:  global
        .offset:         0
        .size:           8
        .value_kind:     global_buffer
      - .address_space:  global
        .offset:         8
        .size:           8
        .value_kind:     global_buffer
      - .address_space:  global
        .offset:         16
        .size:           8
        .value_kind:     global_buffer
      - .address_space:  global
        .offset:         24
        .size:           8
        .value_kind:     global_buffer
      - .address_space:  global
        .offset:         32
        .size:           8
        .value_kind:     global_buffer
      - .address_space:  global
        .offset:         40
        .size:           8
        .value_kind:     global_buffer
      - .address_space:  global
        .offset:         48
        .size:           8
        .value_kind:     global_buffer
      - .address_space:  global
        .offset:         56
        .size:           8
        .value_kind:     global_buffer
      - .offset:         64
        .size:           4
        .value_kind:     by_value
      - .offset:         68
        .size:           4
        .value_kind:     by_value
      - .offset:         72
        .size:           4
        .value_kind:     by_value
      - .offset:         76
        .size:           4
        .value_kind:     by_value
      - .offset:         80
        .size:           4
        .value_kind:     by_value
      - .offset:         84
        .size:           4
        .value_kind:     by_value
      - .offset:         88
        .size:           4
        .value_kind:     by_value
      - .offset:         92
        .size:           12
        .value_kind:     by_value
      - .offset:         104
        .size:           4
        .value_kind:     by_value
      - .offset:         108
        .size:           4
        .value_kind:     by_value
      - .offset:         112
        .size:           4
        .value_kind:     by_value
      - .offset:         116
        .size:           4
        .value_kind:     by_value
      - .offset:         120
        .size:           4
        .value_kind:     by_value
      - .offset:         124
        .size:           4
        .value_kind:     by_value
      - .offset:         128
        .size:           4
        .value_kind:     by_value
      - .offset:         132
        .size:           4
        .value_kind:     by_value
      - .offset:         136
        .size:           4
        .value_kind:     by_value
      - .offset:         140
        .size:           4
        .value_kind:     by_value
      - .offset:         144
        .size:           4
        .value_kind:     by_value
      - .offset:         152
        .size:           8
        .value_kind:     by_value
      - .offset:         160
        .size:           4
        .value_kind:     by_value
      - .offset:         164
        .size:           4
        .value_kind:     by_value
      - .offset:         168
        .size:           8
        .value_kind:     by_value
      - .offset:         176
        .size:           4
        .value_kind:     by_value
      - .offset:         180
        .size:           4
        .value_kind:     by_value
      - .offset:         184
        .size:           4
        .value_kind:     by_value
      - .offset:         188
        .size:           4
        .value_kind:     by_value
      - .offset:         192
        .size:           4
        .value_kind:     by_value
      - .offset:         200
        .size:           8
        .value_kind:     by_value
      - .offset:         208
        .size:           4
        .value_kind:     hidden_block_count_x
      - .offset:         212
        .size:           4
        .value_kind:     hidden_block_count_y
      - .offset:         216
        .size:           4
        .value_kind:     hidden_block_count_z
      - .offset:         220
        .size:           2
        .value_kind:     hidden_group_size_x
      - .offset:         222
        .size:           2
        .value_kind:     hidden_group_size_y
      - .offset:         224
        .size:           2
        .value_kind:     hidden_group_size_z
      - .offset:         226
        .size:           2
        .value_kind:     hidden_remainder_x
      - .offset:         228
        .size:           2
        .value_kind:     hidden_remainder_y
      - .offset:         230
        .size:           2
        .value_kind:     hidden_remainder_z
      - .offset:         248
        .size:           8
        .value_kind:     hidden_global_offset_x
      - .offset:         256
        .size:           8
        .value_kind:     hidden_global_offset_y
      - .offset:         264
        .size:           8
        .value_kind:     hidden_global_offset_z
      - .offset:         272
        .size:           2
        .value_kind:     hidden_grid_dims
    .group_segment_fixed_size: 25600
    .kernarg_segment_align: 8
    .kernarg_segment_size: 464
    .language:       OpenCL C
    .language_version:
      - 2
      - 0
    .max_flat_workgroup_size: 128
    .name:           _ZL15flash_attn_tileILi64ELi64ELi32ELi2ELb0EEvPKcS1_S1_S1_S1_PKiPfP15HIP_vector_typeIfLj2EEffffjfiS5_IjLj3EEiiiiiiiiiiiliiliiiiil
    .private_segment_fixed_size: 0
    .sgpr_count:     59
    .sgpr_spill_count: 0
    .symbol:         _ZL15flash_attn_tileILi64ELi64ELi32ELi2ELb0EEvPKcS1_S1_S1_S1_PKiPfP15HIP_vector_typeIfLj2EEffffjfiS5_IjLj3EEiiiiiiiiiiiliiliiiiil.kd
    .uniform_work_group_size: 1
    .uses_dynamic_stack: false
    .vgpr_count:     246
    .vgpr_spill_count: 0
    .wavefront_size: 32
    .workgroup_processor_mode: 1
  - .args:
      - .actual_access:  read_only
        .address_space:  global
        .offset:         0
        .size:           8
        .value_kind:     global_buffer
      - .actual_access:  write_only
        .address_space:  global
        .offset:         8
        .size:           8
        .value_kind:     global_buffer
      - .offset:         16
        .size:           4
        .value_kind:     by_value
      - .offset:         20
        .size:           4
        .value_kind:     by_value
      - .offset:         24
        .size:           4
        .value_kind:     by_value
      - .offset:         32
        .size:           4
        .value_kind:     hidden_block_count_x
      - .offset:         36
        .size:           4
        .value_kind:     hidden_block_count_y
      - .offset:         40
        .size:           4
        .value_kind:     hidden_block_count_z
      - .offset:         44
        .size:           2
        .value_kind:     hidden_group_size_x
      - .offset:         46
        .size:           2
        .value_kind:     hidden_group_size_y
      - .offset:         48
        .size:           2
        .value_kind:     hidden_group_size_z
      - .offset:         50
        .size:           2
        .value_kind:     hidden_remainder_x
      - .offset:         52
        .size:           2
        .value_kind:     hidden_remainder_y
      - .offset:         54
        .size:           2
        .value_kind:     hidden_remainder_z
      - .offset:         72
        .size:           8
        .value_kind:     hidden_global_offset_x
      - .offset:         80
        .size:           8
        .value_kind:     hidden_global_offset_y
      - .offset:         88
        .size:           8
        .value_kind:     hidden_global_offset_z
      - .offset:         96
        .size:           2
        .value_kind:     hidden_grid_dims
    .group_segment_fixed_size: 128
    .kernarg_segment_align: 8
    .kernarg_segment_size: 288
    .language:       OpenCL C
    .language_version:
      - 2
      - 0
    .max_flat_workgroup_size: 128
    .name:           _ZL25flash_attn_mask_to_KV_maxILi32EEvPK7__half2Piiii
    .private_segment_fixed_size: 0
    .sgpr_count:     78
    .sgpr_spill_count: 0
    .symbol:         _ZL25flash_attn_mask_to_KV_maxILi32EEvPK7__half2Piiii.kd
    .uniform_work_group_size: 1
    .uses_dynamic_stack: false
    .vgpr_count:     9
    .vgpr_spill_count: 0
    .wavefront_size: 32
    .workgroup_processor_mode: 1
  - .args:
      - .address_space:  global
        .offset:         0
        .size:           8
        .value_kind:     global_buffer
      - .address_space:  global
        .offset:         8
        .size:           8
        .value_kind:     global_buffer
      - .offset:         16
        .size:           4
        .value_kind:     by_value
      - .offset:         20
        .size:           4
        .value_kind:     by_value
      - .offset:         24
        .size:           4
        .value_kind:     by_value
      - .offset:         28
        .size:           4
        .value_kind:     by_value
      - .offset:         32
        .size:           4
        .value_kind:     by_value
      - .offset:         36
        .size:           4
        .value_kind:     by_value
      - .offset:         40
        .size:           12
        .value_kind:     by_value
      - .offset:         52
        .size:           12
        .value_kind:     by_value
      - .offset:         64
        .size:           12
        .value_kind:     by_value
    .group_segment_fixed_size: 0
    .kernarg_segment_align: 8
    .kernarg_segment_size: 76
    .language:       OpenCL C
    .language_version:
      - 2
      - 0
    .max_flat_workgroup_size: 64
    .name:           _ZL33flash_attn_stream_k_fixup_uniformILi64ELi32ELi2EEvPfPK15HIP_vector_typeIfLj2EEiiiiiiS1_IjLj3EES5_S5_
    .private_segment_fixed_size: 0
    .sgpr_count:     22
    .sgpr_spill_count: 0
    .symbol:         _ZL33flash_attn_stream_k_fixup_uniformILi64ELi32ELi2EEvPfPK15HIP_vector_typeIfLj2EEiiiiiiS1_IjLj3EES5_S5_.kd
    .uniform_work_group_size: 1
    .uses_dynamic_stack: false
    .vgpr_count:     15
    .vgpr_spill_count: 0
    .wavefront_size: 32
    .workgroup_processor_mode: 1
  - .args:
      - .address_space:  global
        .offset:         0
        .size:           8
        .value_kind:     global_buffer
      - .address_space:  global
        .offset:         8
        .size:           8
        .value_kind:     global_buffer
      - .offset:         16
        .size:           4
        .value_kind:     by_value
      - .offset:         20
        .size:           4
        .value_kind:     by_value
      - .offset:         24
        .size:           4
        .value_kind:     by_value
      - .offset:         28
        .size:           4
        .value_kind:     by_value
      - .offset:         32
        .size:           12
        .value_kind:     by_value
      - .offset:         44
        .size:           12
        .value_kind:     by_value
      - .offset:         56
        .size:           12
        .value_kind:     by_value
      - .offset:         68
        .size:           12
        .value_kind:     by_value
      - .offset:         80
        .size:           4
        .value_kind:     hidden_block_count_x
      - .offset:         84
        .size:           4
        .value_kind:     hidden_block_count_y
      - .offset:         88
        .size:           4
        .value_kind:     hidden_block_count_z
      - .offset:         92
        .size:           2
        .value_kind:     hidden_group_size_x
      - .offset:         94
        .size:           2
        .value_kind:     hidden_group_size_y
      - .offset:         96
        .size:           2
        .value_kind:     hidden_group_size_z
      - .offset:         98
        .size:           2
        .value_kind:     hidden_remainder_x
      - .offset:         100
        .size:           2
        .value_kind:     hidden_remainder_y
      - .offset:         102
        .size:           2
        .value_kind:     hidden_remainder_z
      - .offset:         120
        .size:           8
        .value_kind:     hidden_global_offset_x
      - .offset:         128
        .size:           8
        .value_kind:     hidden_global_offset_y
      - .offset:         136
        .size:           8
        .value_kind:     hidden_global_offset_z
      - .offset:         144
        .size:           2
        .value_kind:     hidden_grid_dims
    .group_segment_fixed_size: 0
    .kernarg_segment_align: 8
    .kernarg_segment_size: 336
    .language:       OpenCL C
    .language_version:
      - 2
      - 0
    .max_flat_workgroup_size: 64
    .name:           _ZL33flash_attn_stream_k_fixup_generalILi64ELi32ELi2EEvPfPK15HIP_vector_typeIfLj2EEiiiiS1_IjLj3EES5_S5_S5_
    .private_segment_fixed_size: 0
    .sgpr_count:     34
    .sgpr_spill_count: 0
    .symbol:         _ZL33flash_attn_stream_k_fixup_generalILi64ELi32ELi2EEvPfPK15HIP_vector_typeIfLj2EEiiiiS1_IjLj3EES5_S5_S5_.kd
    .uniform_work_group_size: 1
    .uses_dynamic_stack: false
    .vgpr_count:     19
    .vgpr_spill_count: 0
    .wavefront_size: 32
    .workgroup_processor_mode: 1
  - .args:
      - .address_space:  global
        .offset:         0
        .size:           8
        .value_kind:     global_buffer
      - .address_space:  global
        .offset:         8
        .size:           8
        .value_kind:     global_buffer
      - .address_space:  global
        .offset:         16
        .size:           8
        .value_kind:     global_buffer
      - .address_space:  global
        .offset:         24
        .size:           8
        .value_kind:     global_buffer
      - .address_space:  global
        .offset:         32
        .size:           8
        .value_kind:     global_buffer
      - .address_space:  global
        .offset:         40
        .size:           8
        .value_kind:     global_buffer
      - .address_space:  global
        .offset:         48
        .size:           8
        .value_kind:     global_buffer
      - .address_space:  global
        .offset:         56
        .size:           8
        .value_kind:     global_buffer
      - .offset:         64
        .size:           4
        .value_kind:     by_value
      - .offset:         68
        .size:           4
        .value_kind:     by_value
      - .offset:         72
        .size:           4
        .value_kind:     by_value
      - .offset:         76
        .size:           4
        .value_kind:     by_value
      - .offset:         80
        .size:           4
        .value_kind:     by_value
      - .offset:         84
        .size:           4
        .value_kind:     by_value
      - .offset:         88
        .size:           4
        .value_kind:     by_value
      - .offset:         92
        .size:           12
        .value_kind:     by_value
      - .offset:         104
        .size:           4
        .value_kind:     by_value
      - .offset:         108
        .size:           4
        .value_kind:     by_value
      - .offset:         112
        .size:           4
        .value_kind:     by_value
      - .offset:         116
        .size:           4
        .value_kind:     by_value
      - .offset:         120
        .size:           4
        .value_kind:     by_value
      - .offset:         124
        .size:           4
        .value_kind:     by_value
      - .offset:         128
        .size:           4
        .value_kind:     by_value
      - .offset:         132
        .size:           4
        .value_kind:     by_value
      - .offset:         136
        .size:           4
        .value_kind:     by_value
      - .offset:         140
        .size:           4
        .value_kind:     by_value
      - .offset:         144
        .size:           4
        .value_kind:     by_value
      - .offset:         152
        .size:           8
        .value_kind:     by_value
      - .offset:         160
        .size:           4
        .value_kind:     by_value
      - .offset:         164
        .size:           4
        .value_kind:     by_value
      - .offset:         168
        .size:           8
        .value_kind:     by_value
      - .offset:         176
        .size:           4
        .value_kind:     by_value
      - .offset:         180
        .size:           4
        .value_kind:     by_value
      - .offset:         184
        .size:           4
        .value_kind:     by_value
      - .offset:         188
        .size:           4
        .value_kind:     by_value
      - .offset:         192
        .size:           4
        .value_kind:     by_value
      - .offset:         200
        .size:           8
        .value_kind:     by_value
      - .offset:         208
        .size:           4
        .value_kind:     hidden_block_count_x
      - .offset:         212
        .size:           4
        .value_kind:     hidden_block_count_y
      - .offset:         216
        .size:           4
        .value_kind:     hidden_block_count_z
      - .offset:         220
        .size:           2
        .value_kind:     hidden_group_size_x
      - .offset:         222
        .size:           2
        .value_kind:     hidden_group_size_y
      - .offset:         224
        .size:           2
        .value_kind:     hidden_group_size_z
      - .offset:         226
        .size:           2
        .value_kind:     hidden_remainder_x
      - .offset:         228
        .size:           2
        .value_kind:     hidden_remainder_y
      - .offset:         230
        .size:           2
        .value_kind:     hidden_remainder_z
      - .offset:         248
        .size:           8
        .value_kind:     hidden_global_offset_x
      - .offset:         256
        .size:           8
        .value_kind:     hidden_global_offset_y
      - .offset:         264
        .size:           8
        .value_kind:     hidden_global_offset_z
      - .offset:         272
        .size:           2
        .value_kind:     hidden_grid_dims
    .group_segment_fixed_size: 17408
    .kernarg_segment_align: 8
    .kernarg_segment_size: 464
    .language:       OpenCL C
    .language_version:
      - 2
      - 0
    .max_flat_workgroup_size: 128
    .name:           _ZL15flash_attn_tileILi64ELi64ELi16ELi2ELb0EEvPKcS1_S1_S1_S1_PKiPfP15HIP_vector_typeIfLj2EEffffjfiS5_IjLj3EEiiiiiiiiiiiliiliiiiil
    .private_segment_fixed_size: 0
    .sgpr_count:     54
    .sgpr_spill_count: 0
    .symbol:         _ZL15flash_attn_tileILi64ELi64ELi16ELi2ELb0EEvPKcS1_S1_S1_S1_PKiPfP15HIP_vector_typeIfLj2EEffffjfiS5_IjLj3EEiiiiiiiiiiiliiliiiiil.kd
    .uniform_work_group_size: 1
    .uses_dynamic_stack: false
    .vgpr_count:     251
    .vgpr_spill_count: 0
    .wavefront_size: 32
    .workgroup_processor_mode: 1
  - .args:
      - .address_space:  global
        .offset:         0
        .size:           8
        .value_kind:     global_buffer
      - .address_space:  global
        .offset:         8
        .size:           8
        .value_kind:     global_buffer
      - .offset:         16
        .size:           4
        .value_kind:     by_value
      - .offset:         20
        .size:           4
        .value_kind:     by_value
      - .offset:         24
        .size:           4
        .value_kind:     by_value
      - .offset:         28
        .size:           4
        .value_kind:     by_value
      - .offset:         32
        .size:           4
        .value_kind:     by_value
      - .offset:         36
        .size:           4
        .value_kind:     by_value
      - .offset:         40
        .size:           12
        .value_kind:     by_value
      - .offset:         52
        .size:           12
        .value_kind:     by_value
      - .offset:         64
        .size:           12
        .value_kind:     by_value
    .group_segment_fixed_size: 0
    .kernarg_segment_align: 8
    .kernarg_segment_size: 76
    .language:       OpenCL C
    .language_version:
      - 2
      - 0
    .max_flat_workgroup_size: 64
    .name:           _ZL33flash_attn_stream_k_fixup_uniformILi64ELi16ELi2EEvPfPK15HIP_vector_typeIfLj2EEiiiiiiS1_IjLj3EES5_S5_
    .private_segment_fixed_size: 0
    .sgpr_count:     22
    .sgpr_spill_count: 0
    .symbol:         _ZL33flash_attn_stream_k_fixup_uniformILi64ELi16ELi2EEvPfPK15HIP_vector_typeIfLj2EEiiiiiiS1_IjLj3EES5_S5_.kd
    .uniform_work_group_size: 1
    .uses_dynamic_stack: false
    .vgpr_count:     15
    .vgpr_spill_count: 0
    .wavefront_size: 32
    .workgroup_processor_mode: 1
  - .args:
      - .address_space:  global
        .offset:         0
        .size:           8
        .value_kind:     global_buffer
      - .address_space:  global
        .offset:         8
        .size:           8
        .value_kind:     global_buffer
      - .offset:         16
        .size:           4
        .value_kind:     by_value
      - .offset:         20
        .size:           4
        .value_kind:     by_value
      - .offset:         24
        .size:           4
        .value_kind:     by_value
      - .offset:         28
        .size:           4
        .value_kind:     by_value
      - .offset:         32
        .size:           12
        .value_kind:     by_value
      - .offset:         44
        .size:           12
        .value_kind:     by_value
      - .offset:         56
        .size:           12
        .value_kind:     by_value
      - .offset:         68
        .size:           12
        .value_kind:     by_value
      - .offset:         80
        .size:           4
        .value_kind:     hidden_block_count_x
      - .offset:         84
        .size:           4
        .value_kind:     hidden_block_count_y
      - .offset:         88
        .size:           4
        .value_kind:     hidden_block_count_z
      - .offset:         92
        .size:           2
        .value_kind:     hidden_group_size_x
      - .offset:         94
        .size:           2
        .value_kind:     hidden_group_size_y
      - .offset:         96
        .size:           2
        .value_kind:     hidden_group_size_z
      - .offset:         98
        .size:           2
        .value_kind:     hidden_remainder_x
      - .offset:         100
        .size:           2
        .value_kind:     hidden_remainder_y
      - .offset:         102
        .size:           2
        .value_kind:     hidden_remainder_z
      - .offset:         120
        .size:           8
        .value_kind:     hidden_global_offset_x
      - .offset:         128
        .size:           8
        .value_kind:     hidden_global_offset_y
      - .offset:         136
        .size:           8
        .value_kind:     hidden_global_offset_z
      - .offset:         144
        .size:           2
        .value_kind:     hidden_grid_dims
    .group_segment_fixed_size: 0
    .kernarg_segment_align: 8
    .kernarg_segment_size: 336
    .language:       OpenCL C
    .language_version:
      - 2
      - 0
    .max_flat_workgroup_size: 64
    .name:           _ZL33flash_attn_stream_k_fixup_generalILi64ELi16ELi2EEvPfPK15HIP_vector_typeIfLj2EEiiiiS1_IjLj3EES5_S5_S5_
    .private_segment_fixed_size: 0
    .sgpr_count:     34
    .sgpr_spill_count: 0
    .symbol:         _ZL33flash_attn_stream_k_fixup_generalILi64ELi16ELi2EEvPfPK15HIP_vector_typeIfLj2EEiiiiS1_IjLj3EES5_S5_S5_.kd
    .uniform_work_group_size: 1
    .uses_dynamic_stack: false
    .vgpr_count:     19
    .vgpr_spill_count: 0
    .wavefront_size: 32
    .workgroup_processor_mode: 1
  - .args:
      - .address_space:  global
        .offset:         0
        .size:           8
        .value_kind:     global_buffer
      - .address_space:  global
        .offset:         8
        .size:           8
        .value_kind:     global_buffer
      - .address_space:  global
        .offset:         16
        .size:           8
        .value_kind:     global_buffer
      - .address_space:  global
        .offset:         24
        .size:           8
        .value_kind:     global_buffer
      - .address_space:  global
        .offset:         32
        .size:           8
        .value_kind:     global_buffer
      - .address_space:  global
        .offset:         40
        .size:           8
        .value_kind:     global_buffer
      - .address_space:  global
        .offset:         48
        .size:           8
        .value_kind:     global_buffer
      - .address_space:  global
        .offset:         56
        .size:           8
        .value_kind:     global_buffer
      - .offset:         64
        .size:           4
        .value_kind:     by_value
      - .offset:         68
        .size:           4
        .value_kind:     by_value
      - .offset:         72
        .size:           4
        .value_kind:     by_value
      - .offset:         76
        .size:           4
        .value_kind:     by_value
      - .offset:         80
        .size:           4
        .value_kind:     by_value
      - .offset:         84
        .size:           4
        .value_kind:     by_value
      - .offset:         88
        .size:           4
        .value_kind:     by_value
      - .offset:         92
        .size:           12
        .value_kind:     by_value
      - .offset:         104
        .size:           4
        .value_kind:     by_value
      - .offset:         108
        .size:           4
        .value_kind:     by_value
      - .offset:         112
        .size:           4
        .value_kind:     by_value
      - .offset:         116
        .size:           4
        .value_kind:     by_value
      - .offset:         120
        .size:           4
        .value_kind:     by_value
      - .offset:         124
        .size:           4
        .value_kind:     by_value
      - .offset:         128
        .size:           4
        .value_kind:     by_value
      - .offset:         132
        .size:           4
        .value_kind:     by_value
      - .offset:         136
        .size:           4
        .value_kind:     by_value
      - .offset:         140
        .size:           4
        .value_kind:     by_value
      - .offset:         144
        .size:           4
        .value_kind:     by_value
      - .offset:         152
        .size:           8
        .value_kind:     by_value
      - .offset:         160
        .size:           4
        .value_kind:     by_value
      - .offset:         164
        .size:           4
        .value_kind:     by_value
      - .offset:         168
        .size:           8
        .value_kind:     by_value
      - .offset:         176
        .size:           4
        .value_kind:     by_value
      - .offset:         180
        .size:           4
        .value_kind:     by_value
      - .offset:         184
        .size:           4
        .value_kind:     by_value
      - .offset:         188
        .size:           4
        .value_kind:     by_value
      - .offset:         192
        .size:           4
        .value_kind:     by_value
      - .offset:         200
        .size:           8
        .value_kind:     by_value
      - .offset:         208
        .size:           4
        .value_kind:     hidden_block_count_x
      - .offset:         212
        .size:           4
        .value_kind:     hidden_block_count_y
      - .offset:         216
        .size:           4
        .value_kind:     hidden_block_count_z
      - .offset:         220
        .size:           2
        .value_kind:     hidden_group_size_x
      - .offset:         222
        .size:           2
        .value_kind:     hidden_group_size_y
      - .offset:         224
        .size:           2
        .value_kind:     hidden_group_size_z
      - .offset:         226
        .size:           2
        .value_kind:     hidden_remainder_x
      - .offset:         228
        .size:           2
        .value_kind:     hidden_remainder_y
      - .offset:         230
        .size:           2
        .value_kind:     hidden_remainder_z
      - .offset:         248
        .size:           8
        .value_kind:     hidden_global_offset_x
      - .offset:         256
        .size:           8
        .value_kind:     hidden_global_offset_y
      - .offset:         264
        .size:           8
        .value_kind:     hidden_global_offset_z
      - .offset:         272
        .size:           2
        .value_kind:     hidden_grid_dims
    .group_segment_fixed_size: 24576
    .kernarg_segment_align: 8
    .kernarg_segment_size: 464
    .language:       OpenCL C
    .language_version:
      - 2
      - 0
    .max_flat_workgroup_size: 128
    .name:           _ZL15flash_attn_tileILi64ELi64ELi8ELi2ELb0EEvPKcS1_S1_S1_S1_PKiPfP15HIP_vector_typeIfLj2EEffffjfiS5_IjLj3EEiiiiiiiiiiiliiliiiiil
    .private_segment_fixed_size: 0
    .sgpr_count:     50
    .sgpr_spill_count: 0
    .symbol:         _ZL15flash_attn_tileILi64ELi64ELi8ELi2ELb0EEvPKcS1_S1_S1_S1_PKiPfP15HIP_vector_typeIfLj2EEffffjfiS5_IjLj3EEiiiiiiiiiiiliiliiiiil.kd
    .uniform_work_group_size: 1
    .uses_dynamic_stack: false
    .vgpr_count:     209
    .vgpr_spill_count: 0
    .wavefront_size: 32
    .workgroup_processor_mode: 1
  - .args:
      - .address_space:  global
        .offset:         0
        .size:           8
        .value_kind:     global_buffer
      - .address_space:  global
        .offset:         8
        .size:           8
        .value_kind:     global_buffer
      - .offset:         16
        .size:           4
        .value_kind:     by_value
      - .offset:         20
        .size:           4
        .value_kind:     by_value
      - .offset:         24
        .size:           4
        .value_kind:     by_value
      - .offset:         28
        .size:           4
        .value_kind:     by_value
      - .offset:         32
        .size:           4
        .value_kind:     by_value
      - .offset:         36
        .size:           4
        .value_kind:     by_value
      - .offset:         40
        .size:           12
        .value_kind:     by_value
      - .offset:         52
        .size:           12
        .value_kind:     by_value
      - .offset:         64
        .size:           12
        .value_kind:     by_value
    .group_segment_fixed_size: 0
    .kernarg_segment_align: 8
    .kernarg_segment_size: 76
    .language:       OpenCL C
    .language_version:
      - 2
      - 0
    .max_flat_workgroup_size: 64
    .name:           _ZL33flash_attn_stream_k_fixup_uniformILi64ELi8ELi2EEvPfPK15HIP_vector_typeIfLj2EEiiiiiiS1_IjLj3EES5_S5_
    .private_segment_fixed_size: 0
    .sgpr_count:     22
    .sgpr_spill_count: 0
    .symbol:         _ZL33flash_attn_stream_k_fixup_uniformILi64ELi8ELi2EEvPfPK15HIP_vector_typeIfLj2EEiiiiiiS1_IjLj3EES5_S5_.kd
    .uniform_work_group_size: 1
    .uses_dynamic_stack: false
    .vgpr_count:     15
    .vgpr_spill_count: 0
    .wavefront_size: 32
    .workgroup_processor_mode: 1
  - .args:
      - .address_space:  global
        .offset:         0
        .size:           8
        .value_kind:     global_buffer
      - .address_space:  global
        .offset:         8
        .size:           8
        .value_kind:     global_buffer
      - .offset:         16
        .size:           4
        .value_kind:     by_value
      - .offset:         20
        .size:           4
        .value_kind:     by_value
      - .offset:         24
        .size:           4
        .value_kind:     by_value
      - .offset:         28
        .size:           4
        .value_kind:     by_value
      - .offset:         32
        .size:           12
        .value_kind:     by_value
      - .offset:         44
        .size:           12
        .value_kind:     by_value
      - .offset:         56
        .size:           12
        .value_kind:     by_value
      - .offset:         68
        .size:           12
        .value_kind:     by_value
      - .offset:         80
        .size:           4
        .value_kind:     hidden_block_count_x
      - .offset:         84
        .size:           4
        .value_kind:     hidden_block_count_y
      - .offset:         88
        .size:           4
        .value_kind:     hidden_block_count_z
      - .offset:         92
        .size:           2
        .value_kind:     hidden_group_size_x
      - .offset:         94
        .size:           2
        .value_kind:     hidden_group_size_y
      - .offset:         96
        .size:           2
        .value_kind:     hidden_group_size_z
      - .offset:         98
        .size:           2
        .value_kind:     hidden_remainder_x
      - .offset:         100
        .size:           2
        .value_kind:     hidden_remainder_y
      - .offset:         102
        .size:           2
        .value_kind:     hidden_remainder_z
      - .offset:         120
        .size:           8
        .value_kind:     hidden_global_offset_x
      - .offset:         128
        .size:           8
        .value_kind:     hidden_global_offset_y
      - .offset:         136
        .size:           8
        .value_kind:     hidden_global_offset_z
      - .offset:         144
        .size:           2
        .value_kind:     hidden_grid_dims
    .group_segment_fixed_size: 0
    .kernarg_segment_align: 8
    .kernarg_segment_size: 336
    .language:       OpenCL C
    .language_version:
      - 2
      - 0
    .max_flat_workgroup_size: 64
    .name:           _ZL33flash_attn_stream_k_fixup_generalILi64ELi8ELi2EEvPfPK15HIP_vector_typeIfLj2EEiiiiS1_IjLj3EES5_S5_S5_
    .private_segment_fixed_size: 0
    .sgpr_count:     34
    .sgpr_spill_count: 0
    .symbol:         _ZL33flash_attn_stream_k_fixup_generalILi64ELi8ELi2EEvPfPK15HIP_vector_typeIfLj2EEiiiiS1_IjLj3EES5_S5_S5_.kd
    .uniform_work_group_size: 1
    .uses_dynamic_stack: false
    .vgpr_count:     19
    .vgpr_spill_count: 0
    .wavefront_size: 32
    .workgroup_processor_mode: 1
  - .args:
      - .address_space:  global
        .offset:         0
        .size:           8
        .value_kind:     global_buffer
      - .address_space:  global
        .offset:         8
        .size:           8
        .value_kind:     global_buffer
      - .address_space:  global
        .offset:         16
        .size:           8
        .value_kind:     global_buffer
      - .address_space:  global
        .offset:         24
        .size:           8
        .value_kind:     global_buffer
      - .address_space:  global
        .offset:         32
        .size:           8
        .value_kind:     global_buffer
      - .address_space:  global
        .offset:         40
        .size:           8
        .value_kind:     global_buffer
      - .address_space:  global
        .offset:         48
        .size:           8
        .value_kind:     global_buffer
      - .address_space:  global
        .offset:         56
        .size:           8
        .value_kind:     global_buffer
      - .offset:         64
        .size:           4
        .value_kind:     by_value
      - .offset:         68
        .size:           4
        .value_kind:     by_value
      - .offset:         72
        .size:           4
        .value_kind:     by_value
      - .offset:         76
        .size:           4
        .value_kind:     by_value
      - .offset:         80
        .size:           4
        .value_kind:     by_value
      - .offset:         84
        .size:           4
        .value_kind:     by_value
      - .offset:         88
        .size:           4
        .value_kind:     by_value
      - .offset:         92
        .size:           12
        .value_kind:     by_value
      - .offset:         104
        .size:           4
        .value_kind:     by_value
      - .offset:         108
        .size:           4
        .value_kind:     by_value
      - .offset:         112
        .size:           4
        .value_kind:     by_value
      - .offset:         116
        .size:           4
        .value_kind:     by_value
      - .offset:         120
        .size:           4
        .value_kind:     by_value
      - .offset:         124
        .size:           4
        .value_kind:     by_value
      - .offset:         128
        .size:           4
        .value_kind:     by_value
      - .offset:         132
        .size:           4
        .value_kind:     by_value
      - .offset:         136
        .size:           4
        .value_kind:     by_value
      - .offset:         140
        .size:           4
        .value_kind:     by_value
      - .offset:         144
        .size:           4
        .value_kind:     by_value
      - .offset:         152
        .size:           8
        .value_kind:     by_value
      - .offset:         160
        .size:           4
        .value_kind:     by_value
      - .offset:         164
        .size:           4
        .value_kind:     by_value
      - .offset:         168
        .size:           8
        .value_kind:     by_value
      - .offset:         176
        .size:           4
        .value_kind:     by_value
      - .offset:         180
        .size:           4
        .value_kind:     by_value
      - .offset:         184
        .size:           4
        .value_kind:     by_value
      - .offset:         188
        .size:           4
        .value_kind:     by_value
      - .offset:         192
        .size:           4
        .value_kind:     by_value
      - .offset:         200
        .size:           8
        .value_kind:     by_value
      - .offset:         208
        .size:           4
        .value_kind:     hidden_block_count_x
      - .offset:         212
        .size:           4
        .value_kind:     hidden_block_count_y
      - .offset:         216
        .size:           4
        .value_kind:     hidden_block_count_z
      - .offset:         220
        .size:           2
        .value_kind:     hidden_group_size_x
      - .offset:         222
        .size:           2
        .value_kind:     hidden_group_size_y
      - .offset:         224
        .size:           2
        .value_kind:     hidden_group_size_z
      - .offset:         226
        .size:           2
        .value_kind:     hidden_remainder_x
      - .offset:         228
        .size:           2
        .value_kind:     hidden_remainder_y
      - .offset:         230
        .size:           2
        .value_kind:     hidden_remainder_z
      - .offset:         248
        .size:           8
        .value_kind:     hidden_global_offset_x
      - .offset:         256
        .size:           8
        .value_kind:     hidden_global_offset_y
      - .offset:         264
        .size:           8
        .value_kind:     hidden_global_offset_z
      - .offset:         272
        .size:           2
        .value_kind:     hidden_grid_dims
    .group_segment_fixed_size: 21504
    .kernarg_segment_align: 8
    .kernarg_segment_size: 464
    .language:       OpenCL C
    .language_version:
      - 2
      - 0
    .max_flat_workgroup_size: 128
    .name:           _ZL15flash_attn_tileILi64ELi64ELi4ELi2ELb0EEvPKcS1_S1_S1_S1_PKiPfP15HIP_vector_typeIfLj2EEffffjfiS5_IjLj3EEiiiiiiiiiiiliiliiiiil
    .private_segment_fixed_size: 0
    .sgpr_count:     47
    .sgpr_spill_count: 0
    .symbol:         _ZL15flash_attn_tileILi64ELi64ELi4ELi2ELb0EEvPKcS1_S1_S1_S1_PKiPfP15HIP_vector_typeIfLj2EEffffjfiS5_IjLj3EEiiiiiiiiiiiliiliiiiil.kd
    .uniform_work_group_size: 1
    .uses_dynamic_stack: false
    .vgpr_count:     236
    .vgpr_spill_count: 0
    .wavefront_size: 32
    .workgroup_processor_mode: 1
  - .args:
      - .address_space:  global
        .offset:         0
        .size:           8
        .value_kind:     global_buffer
      - .address_space:  global
        .offset:         8
        .size:           8
        .value_kind:     global_buffer
      - .offset:         16
        .size:           4
        .value_kind:     by_value
      - .offset:         20
        .size:           4
        .value_kind:     by_value
      - .offset:         24
        .size:           4
        .value_kind:     by_value
      - .offset:         28
        .size:           4
        .value_kind:     by_value
      - .offset:         32
        .size:           4
        .value_kind:     by_value
      - .offset:         36
        .size:           4
        .value_kind:     by_value
      - .offset:         40
        .size:           12
        .value_kind:     by_value
      - .offset:         52
        .size:           12
        .value_kind:     by_value
      - .offset:         64
        .size:           12
        .value_kind:     by_value
    .group_segment_fixed_size: 0
    .kernarg_segment_align: 8
    .kernarg_segment_size: 76
    .language:       OpenCL C
    .language_version:
      - 2
      - 0
    .max_flat_workgroup_size: 64
    .name:           _ZL33flash_attn_stream_k_fixup_uniformILi64ELi4ELi2EEvPfPK15HIP_vector_typeIfLj2EEiiiiiiS1_IjLj3EES5_S5_
    .private_segment_fixed_size: 0
    .sgpr_count:     22
    .sgpr_spill_count: 0
    .symbol:         _ZL33flash_attn_stream_k_fixup_uniformILi64ELi4ELi2EEvPfPK15HIP_vector_typeIfLj2EEiiiiiiS1_IjLj3EES5_S5_.kd
    .uniform_work_group_size: 1
    .uses_dynamic_stack: false
    .vgpr_count:     15
    .vgpr_spill_count: 0
    .wavefront_size: 32
    .workgroup_processor_mode: 1
  - .args:
      - .address_space:  global
        .offset:         0
        .size:           8
        .value_kind:     global_buffer
      - .address_space:  global
        .offset:         8
        .size:           8
        .value_kind:     global_buffer
      - .offset:         16
        .size:           4
        .value_kind:     by_value
      - .offset:         20
        .size:           4
        .value_kind:     by_value
      - .offset:         24
        .size:           4
        .value_kind:     by_value
      - .offset:         28
        .size:           4
        .value_kind:     by_value
      - .offset:         32
        .size:           12
        .value_kind:     by_value
      - .offset:         44
        .size:           12
        .value_kind:     by_value
      - .offset:         56
        .size:           12
        .value_kind:     by_value
      - .offset:         68
        .size:           12
        .value_kind:     by_value
      - .offset:         80
        .size:           4
        .value_kind:     hidden_block_count_x
      - .offset:         84
        .size:           4
        .value_kind:     hidden_block_count_y
      - .offset:         88
        .size:           4
        .value_kind:     hidden_block_count_z
      - .offset:         92
        .size:           2
        .value_kind:     hidden_group_size_x
      - .offset:         94
        .size:           2
        .value_kind:     hidden_group_size_y
      - .offset:         96
        .size:           2
        .value_kind:     hidden_group_size_z
      - .offset:         98
        .size:           2
        .value_kind:     hidden_remainder_x
      - .offset:         100
        .size:           2
        .value_kind:     hidden_remainder_y
      - .offset:         102
        .size:           2
        .value_kind:     hidden_remainder_z
      - .offset:         120
        .size:           8
        .value_kind:     hidden_global_offset_x
      - .offset:         128
        .size:           8
        .value_kind:     hidden_global_offset_y
      - .offset:         136
        .size:           8
        .value_kind:     hidden_global_offset_z
      - .offset:         144
        .size:           2
        .value_kind:     hidden_grid_dims
    .group_segment_fixed_size: 0
    .kernarg_segment_align: 8
    .kernarg_segment_size: 336
    .language:       OpenCL C
    .language_version:
      - 2
      - 0
    .max_flat_workgroup_size: 64
    .name:           _ZL33flash_attn_stream_k_fixup_generalILi64ELi4ELi2EEvPfPK15HIP_vector_typeIfLj2EEiiiiS1_IjLj3EES5_S5_S5_
    .private_segment_fixed_size: 0
    .sgpr_count:     34
    .sgpr_spill_count: 0
    .symbol:         _ZL33flash_attn_stream_k_fixup_generalILi64ELi4ELi2EEvPfPK15HIP_vector_typeIfLj2EEiiiiS1_IjLj3EES5_S5_S5_.kd
    .uniform_work_group_size: 1
    .uses_dynamic_stack: false
    .vgpr_count:     19
    .vgpr_spill_count: 0
    .wavefront_size: 32
    .workgroup_processor_mode: 1
  - .args:
      - .address_space:  global
        .offset:         0
        .size:           8
        .value_kind:     global_buffer
      - .address_space:  global
        .offset:         8
        .size:           8
        .value_kind:     global_buffer
      - .address_space:  global
        .offset:         16
        .size:           8
        .value_kind:     global_buffer
      - .address_space:  global
        .offset:         24
        .size:           8
        .value_kind:     global_buffer
      - .address_space:  global
        .offset:         32
        .size:           8
        .value_kind:     global_buffer
      - .address_space:  global
        .offset:         40
        .size:           8
        .value_kind:     global_buffer
      - .address_space:  global
        .offset:         48
        .size:           8
        .value_kind:     global_buffer
      - .address_space:  global
        .offset:         56
        .size:           8
        .value_kind:     global_buffer
      - .offset:         64
        .size:           4
        .value_kind:     by_value
      - .offset:         68
        .size:           4
        .value_kind:     by_value
      - .offset:         72
        .size:           4
        .value_kind:     by_value
      - .offset:         76
        .size:           4
        .value_kind:     by_value
      - .offset:         80
        .size:           4
        .value_kind:     by_value
      - .offset:         84
        .size:           4
        .value_kind:     by_value
      - .offset:         88
        .size:           4
        .value_kind:     by_value
      - .offset:         92
        .size:           12
        .value_kind:     by_value
      - .offset:         104
        .size:           4
        .value_kind:     by_value
      - .offset:         108
        .size:           4
        .value_kind:     by_value
      - .offset:         112
        .size:           4
        .value_kind:     by_value
      - .offset:         116
        .size:           4
        .value_kind:     by_value
      - .offset:         120
        .size:           4
        .value_kind:     by_value
      - .offset:         124
        .size:           4
        .value_kind:     by_value
      - .offset:         128
        .size:           4
        .value_kind:     by_value
      - .offset:         132
        .size:           4
        .value_kind:     by_value
      - .offset:         136
        .size:           4
        .value_kind:     by_value
      - .offset:         140
        .size:           4
        .value_kind:     by_value
      - .offset:         144
        .size:           4
        .value_kind:     by_value
      - .offset:         152
        .size:           8
        .value_kind:     by_value
      - .offset:         160
        .size:           4
        .value_kind:     by_value
      - .offset:         164
        .size:           4
        .value_kind:     by_value
      - .offset:         168
        .size:           8
        .value_kind:     by_value
      - .offset:         176
        .size:           4
        .value_kind:     by_value
      - .offset:         180
        .size:           4
        .value_kind:     by_value
      - .offset:         184
        .size:           4
        .value_kind:     by_value
      - .offset:         188
        .size:           4
        .value_kind:     by_value
      - .offset:         192
        .size:           4
        .value_kind:     by_value
      - .offset:         200
        .size:           8
        .value_kind:     by_value
      - .offset:         208
        .size:           4
        .value_kind:     hidden_block_count_x
      - .offset:         212
        .size:           4
        .value_kind:     hidden_block_count_y
      - .offset:         216
        .size:           4
        .value_kind:     hidden_block_count_z
      - .offset:         220
        .size:           2
        .value_kind:     hidden_group_size_x
      - .offset:         222
        .size:           2
        .value_kind:     hidden_group_size_y
      - .offset:         224
        .size:           2
        .value_kind:     hidden_group_size_z
      - .offset:         226
        .size:           2
        .value_kind:     hidden_remainder_x
      - .offset:         228
        .size:           2
        .value_kind:     hidden_remainder_y
      - .offset:         230
        .size:           2
        .value_kind:     hidden_remainder_z
      - .offset:         248
        .size:           8
        .value_kind:     hidden_global_offset_x
      - .offset:         256
        .size:           8
        .value_kind:     hidden_global_offset_y
      - .offset:         264
        .size:           8
        .value_kind:     hidden_global_offset_z
      - .offset:         272
        .size:           2
        .value_kind:     hidden_grid_dims
    .group_segment_fixed_size: 5376
    .kernarg_segment_align: 8
    .kernarg_segment_size: 464
    .language:       OpenCL C
    .language_version:
      - 2
      - 0
    .max_flat_workgroup_size: 64
    .name:           _ZL15flash_attn_tileILi64ELi64ELi2ELi2ELb0EEvPKcS1_S1_S1_S1_PKiPfP15HIP_vector_typeIfLj2EEffffjfiS5_IjLj3EEiiiiiiiiiiiliiliiiiil
    .private_segment_fixed_size: 0
    .sgpr_count:     42
    .sgpr_spill_count: 0
    .symbol:         _ZL15flash_attn_tileILi64ELi64ELi2ELi2ELb0EEvPKcS1_S1_S1_S1_PKiPfP15HIP_vector_typeIfLj2EEffffjfiS5_IjLj3EEiiiiiiiiiiiliiliiiiil.kd
    .uniform_work_group_size: 1
    .uses_dynamic_stack: false
    .vgpr_count:     110
    .vgpr_spill_count: 0
    .wavefront_size: 32
    .workgroup_processor_mode: 1
  - .args:
      - .address_space:  global
        .offset:         0
        .size:           8
        .value_kind:     global_buffer
      - .address_space:  global
        .offset:         8
        .size:           8
        .value_kind:     global_buffer
      - .offset:         16
        .size:           4
        .value_kind:     by_value
      - .offset:         20
        .size:           4
        .value_kind:     by_value
      - .offset:         24
        .size:           4
        .value_kind:     by_value
      - .offset:         28
        .size:           4
        .value_kind:     by_value
      - .offset:         32
        .size:           4
        .value_kind:     by_value
      - .offset:         36
        .size:           4
        .value_kind:     by_value
      - .offset:         40
        .size:           12
        .value_kind:     by_value
      - .offset:         52
        .size:           12
        .value_kind:     by_value
      - .offset:         64
        .size:           12
        .value_kind:     by_value
    .group_segment_fixed_size: 0
    .kernarg_segment_align: 8
    .kernarg_segment_size: 76
    .language:       OpenCL C
    .language_version:
      - 2
      - 0
    .max_flat_workgroup_size: 64
    .name:           _ZL33flash_attn_stream_k_fixup_uniformILi64ELi2ELi2EEvPfPK15HIP_vector_typeIfLj2EEiiiiiiS1_IjLj3EES5_S5_
    .private_segment_fixed_size: 0
    .sgpr_count:     22
    .sgpr_spill_count: 0
    .symbol:         _ZL33flash_attn_stream_k_fixup_uniformILi64ELi2ELi2EEvPfPK15HIP_vector_typeIfLj2EEiiiiiiS1_IjLj3EES5_S5_.kd
    .uniform_work_group_size: 1
    .uses_dynamic_stack: false
    .vgpr_count:     15
    .vgpr_spill_count: 0
    .wavefront_size: 32
    .workgroup_processor_mode: 1
  - .args:
      - .address_space:  global
        .offset:         0
        .size:           8
        .value_kind:     global_buffer
      - .address_space:  global
        .offset:         8
        .size:           8
        .value_kind:     global_buffer
      - .offset:         16
        .size:           4
        .value_kind:     by_value
      - .offset:         20
        .size:           4
        .value_kind:     by_value
      - .offset:         24
        .size:           4
        .value_kind:     by_value
      - .offset:         28
        .size:           4
        .value_kind:     by_value
      - .offset:         32
        .size:           12
        .value_kind:     by_value
      - .offset:         44
        .size:           12
        .value_kind:     by_value
      - .offset:         56
        .size:           12
        .value_kind:     by_value
      - .offset:         68
        .size:           12
        .value_kind:     by_value
      - .offset:         80
        .size:           4
        .value_kind:     hidden_block_count_x
      - .offset:         84
        .size:           4
        .value_kind:     hidden_block_count_y
      - .offset:         88
        .size:           4
        .value_kind:     hidden_block_count_z
      - .offset:         92
        .size:           2
        .value_kind:     hidden_group_size_x
      - .offset:         94
        .size:           2
        .value_kind:     hidden_group_size_y
      - .offset:         96
        .size:           2
        .value_kind:     hidden_group_size_z
      - .offset:         98
        .size:           2
        .value_kind:     hidden_remainder_x
      - .offset:         100
        .size:           2
        .value_kind:     hidden_remainder_y
      - .offset:         102
        .size:           2
        .value_kind:     hidden_remainder_z
      - .offset:         120
        .size:           8
        .value_kind:     hidden_global_offset_x
      - .offset:         128
        .size:           8
        .value_kind:     hidden_global_offset_y
      - .offset:         136
        .size:           8
        .value_kind:     hidden_global_offset_z
      - .offset:         144
        .size:           2
        .value_kind:     hidden_grid_dims
    .group_segment_fixed_size: 0
    .kernarg_segment_align: 8
    .kernarg_segment_size: 336
    .language:       OpenCL C
    .language_version:
      - 2
      - 0
    .max_flat_workgroup_size: 64
    .name:           _ZL33flash_attn_stream_k_fixup_generalILi64ELi2ELi2EEvPfPK15HIP_vector_typeIfLj2EEiiiiS1_IjLj3EES5_S5_S5_
    .private_segment_fixed_size: 0
    .sgpr_count:     34
    .sgpr_spill_count: 0
    .symbol:         _ZL33flash_attn_stream_k_fixup_generalILi64ELi2ELi2EEvPfPK15HIP_vector_typeIfLj2EEiiiiS1_IjLj3EES5_S5_S5_.kd
    .uniform_work_group_size: 1
    .uses_dynamic_stack: false
    .vgpr_count:     19
    .vgpr_spill_count: 0
    .wavefront_size: 32
    .workgroup_processor_mode: 1
  - .args:
      - .address_space:  global
        .offset:         0
        .size:           8
        .value_kind:     global_buffer
      - .address_space:  global
        .offset:         8
        .size:           8
        .value_kind:     global_buffer
      - .address_space:  global
        .offset:         16
        .size:           8
        .value_kind:     global_buffer
      - .address_space:  global
        .offset:         24
        .size:           8
        .value_kind:     global_buffer
      - .address_space:  global
        .offset:         32
        .size:           8
        .value_kind:     global_buffer
      - .address_space:  global
        .offset:         40
        .size:           8
        .value_kind:     global_buffer
      - .address_space:  global
        .offset:         48
        .size:           8
        .value_kind:     global_buffer
      - .address_space:  global
        .offset:         56
        .size:           8
        .value_kind:     global_buffer
      - .offset:         64
        .size:           4
        .value_kind:     by_value
      - .offset:         68
        .size:           4
        .value_kind:     by_value
      - .offset:         72
        .size:           4
        .value_kind:     by_value
      - .offset:         76
        .size:           4
        .value_kind:     by_value
      - .offset:         80
        .size:           4
        .value_kind:     by_value
      - .offset:         84
        .size:           4
        .value_kind:     by_value
      - .offset:         88
        .size:           4
        .value_kind:     by_value
      - .offset:         92
        .size:           12
        .value_kind:     by_value
      - .offset:         104
        .size:           4
        .value_kind:     by_value
      - .offset:         108
        .size:           4
        .value_kind:     by_value
      - .offset:         112
        .size:           4
        .value_kind:     by_value
      - .offset:         116
        .size:           4
        .value_kind:     by_value
      - .offset:         120
        .size:           4
        .value_kind:     by_value
      - .offset:         124
        .size:           4
        .value_kind:     by_value
      - .offset:         128
        .size:           4
        .value_kind:     by_value
      - .offset:         132
        .size:           4
        .value_kind:     by_value
      - .offset:         136
        .size:           4
        .value_kind:     by_value
      - .offset:         140
        .size:           4
        .value_kind:     by_value
      - .offset:         144
        .size:           4
        .value_kind:     by_value
      - .offset:         152
        .size:           8
        .value_kind:     by_value
      - .offset:         160
        .size:           4
        .value_kind:     by_value
      - .offset:         164
        .size:           4
        .value_kind:     by_value
      - .offset:         168
        .size:           8
        .value_kind:     by_value
      - .offset:         176
        .size:           4
        .value_kind:     by_value
      - .offset:         180
        .size:           4
        .value_kind:     by_value
      - .offset:         184
        .size:           4
        .value_kind:     by_value
      - .offset:         188
        .size:           4
        .value_kind:     by_value
      - .offset:         192
        .size:           4
        .value_kind:     by_value
      - .offset:         200
        .size:           8
        .value_kind:     by_value
      - .offset:         208
        .size:           4
        .value_kind:     hidden_block_count_x
      - .offset:         212
        .size:           4
        .value_kind:     hidden_block_count_y
      - .offset:         216
        .size:           4
        .value_kind:     hidden_block_count_z
      - .offset:         220
        .size:           2
        .value_kind:     hidden_group_size_x
      - .offset:         222
        .size:           2
        .value_kind:     hidden_group_size_y
      - .offset:         224
        .size:           2
        .value_kind:     hidden_group_size_z
      - .offset:         226
        .size:           2
        .value_kind:     hidden_remainder_x
      - .offset:         228
        .size:           2
        .value_kind:     hidden_remainder_y
      - .offset:         230
        .size:           2
        .value_kind:     hidden_remainder_z
      - .offset:         248
        .size:           8
        .value_kind:     hidden_global_offset_x
      - .offset:         256
        .size:           8
        .value_kind:     hidden_global_offset_y
      - .offset:         264
        .size:           8
        .value_kind:     hidden_global_offset_z
      - .offset:         272
        .size:           2
        .value_kind:     hidden_grid_dims
    .group_segment_fixed_size: 4992
    .kernarg_segment_align: 8
    .kernarg_segment_size: 464
    .language:       OpenCL C
    .language_version:
      - 2
      - 0
    .max_flat_workgroup_size: 64
    .name:           _ZL15flash_attn_tileILi64ELi64ELi1ELi2ELb0EEvPKcS1_S1_S1_S1_PKiPfP15HIP_vector_typeIfLj2EEffffjfiS5_IjLj3EEiiiiiiiiiiiliiliiiiil
    .private_segment_fixed_size: 0
    .sgpr_count:     42
    .sgpr_spill_count: 0
    .symbol:         _ZL15flash_attn_tileILi64ELi64ELi1ELi2ELb0EEvPKcS1_S1_S1_S1_PKiPfP15HIP_vector_typeIfLj2EEffffjfiS5_IjLj3EEiiiiiiiiiiiliiliiiiil.kd
    .uniform_work_group_size: 1
    .uses_dynamic_stack: false
    .vgpr_count:     71
    .vgpr_spill_count: 0
    .wavefront_size: 32
    .workgroup_processor_mode: 1
  - .args:
      - .address_space:  global
        .offset:         0
        .size:           8
        .value_kind:     global_buffer
      - .address_space:  global
        .offset:         8
        .size:           8
        .value_kind:     global_buffer
      - .offset:         16
        .size:           4
        .value_kind:     by_value
      - .offset:         20
        .size:           4
        .value_kind:     by_value
      - .offset:         24
        .size:           4
        .value_kind:     by_value
      - .offset:         28
        .size:           4
        .value_kind:     by_value
      - .offset:         32
        .size:           4
        .value_kind:     by_value
      - .offset:         36
        .size:           4
        .value_kind:     by_value
      - .offset:         40
        .size:           12
        .value_kind:     by_value
      - .offset:         52
        .size:           12
        .value_kind:     by_value
      - .offset:         64
        .size:           12
        .value_kind:     by_value
    .group_segment_fixed_size: 0
    .kernarg_segment_align: 8
    .kernarg_segment_size: 76
    .language:       OpenCL C
    .language_version:
      - 2
      - 0
    .max_flat_workgroup_size: 64
    .name:           _ZL33flash_attn_stream_k_fixup_uniformILi64ELi1ELi2EEvPfPK15HIP_vector_typeIfLj2EEiiiiiiS1_IjLj3EES5_S5_
    .private_segment_fixed_size: 0
    .sgpr_count:     22
    .sgpr_spill_count: 0
    .symbol:         _ZL33flash_attn_stream_k_fixup_uniformILi64ELi1ELi2EEvPfPK15HIP_vector_typeIfLj2EEiiiiiiS1_IjLj3EES5_S5_.kd
    .uniform_work_group_size: 1
    .uses_dynamic_stack: false
    .vgpr_count:     15
    .vgpr_spill_count: 0
    .wavefront_size: 32
    .workgroup_processor_mode: 1
  - .args:
      - .address_space:  global
        .offset:         0
        .size:           8
        .value_kind:     global_buffer
      - .address_space:  global
        .offset:         8
        .size:           8
        .value_kind:     global_buffer
      - .offset:         16
        .size:           4
        .value_kind:     by_value
      - .offset:         20
        .size:           4
        .value_kind:     by_value
      - .offset:         24
        .size:           4
        .value_kind:     by_value
      - .offset:         28
        .size:           4
        .value_kind:     by_value
      - .offset:         32
        .size:           12
        .value_kind:     by_value
      - .offset:         44
        .size:           12
        .value_kind:     by_value
      - .offset:         56
        .size:           12
        .value_kind:     by_value
      - .offset:         68
        .size:           12
        .value_kind:     by_value
      - .offset:         80
        .size:           4
        .value_kind:     hidden_block_count_x
      - .offset:         84
        .size:           4
        .value_kind:     hidden_block_count_y
      - .offset:         88
        .size:           4
        .value_kind:     hidden_block_count_z
      - .offset:         92
        .size:           2
        .value_kind:     hidden_group_size_x
      - .offset:         94
        .size:           2
        .value_kind:     hidden_group_size_y
      - .offset:         96
        .size:           2
        .value_kind:     hidden_group_size_z
      - .offset:         98
        .size:           2
        .value_kind:     hidden_remainder_x
      - .offset:         100
        .size:           2
        .value_kind:     hidden_remainder_y
      - .offset:         102
        .size:           2
        .value_kind:     hidden_remainder_z
      - .offset:         120
        .size:           8
        .value_kind:     hidden_global_offset_x
      - .offset:         128
        .size:           8
        .value_kind:     hidden_global_offset_y
      - .offset:         136
        .size:           8
        .value_kind:     hidden_global_offset_z
      - .offset:         144
        .size:           2
        .value_kind:     hidden_grid_dims
    .group_segment_fixed_size: 0
    .kernarg_segment_align: 8
    .kernarg_segment_size: 336
    .language:       OpenCL C
    .language_version:
      - 2
      - 0
    .max_flat_workgroup_size: 64
    .name:           _ZL33flash_attn_stream_k_fixup_generalILi64ELi1ELi2EEvPfPK15HIP_vector_typeIfLj2EEiiiiS1_IjLj3EES5_S5_S5_
    .private_segment_fixed_size: 0
    .sgpr_count:     34
    .sgpr_spill_count: 0
    .symbol:         _ZL33flash_attn_stream_k_fixup_generalILi64ELi1ELi2EEvPfPK15HIP_vector_typeIfLj2EEiiiiS1_IjLj3EES5_S5_S5_.kd
    .uniform_work_group_size: 1
    .uses_dynamic_stack: false
    .vgpr_count:     19
    .vgpr_spill_count: 0
    .wavefront_size: 32
    .workgroup_processor_mode: 1
  - .args:
      - .address_space:  global
        .offset:         0
        .size:           8
        .value_kind:     global_buffer
      - .address_space:  global
        .offset:         8
        .size:           8
        .value_kind:     global_buffer
      - .address_space:  global
        .offset:         16
        .size:           8
        .value_kind:     global_buffer
      - .address_space:  global
        .offset:         24
        .size:           8
        .value_kind:     global_buffer
      - .address_space:  global
        .offset:         32
        .size:           8
        .value_kind:     global_buffer
      - .address_space:  global
        .offset:         40
        .size:           8
        .value_kind:     global_buffer
      - .address_space:  global
        .offset:         48
        .size:           8
        .value_kind:     global_buffer
      - .address_space:  global
        .offset:         56
        .size:           8
        .value_kind:     global_buffer
      - .offset:         64
        .size:           4
        .value_kind:     by_value
      - .offset:         68
        .size:           4
        .value_kind:     by_value
      - .offset:         72
        .size:           4
        .value_kind:     by_value
      - .offset:         76
        .size:           4
        .value_kind:     by_value
      - .offset:         80
        .size:           4
        .value_kind:     by_value
      - .offset:         84
        .size:           4
        .value_kind:     by_value
      - .offset:         88
        .size:           4
        .value_kind:     by_value
      - .offset:         92
        .size:           12
        .value_kind:     by_value
      - .offset:         104
        .size:           4
        .value_kind:     by_value
      - .offset:         108
        .size:           4
        .value_kind:     by_value
      - .offset:         112
        .size:           4
        .value_kind:     by_value
      - .offset:         116
        .size:           4
        .value_kind:     by_value
      - .offset:         120
        .size:           4
        .value_kind:     by_value
      - .offset:         124
        .size:           4
        .value_kind:     by_value
      - .offset:         128
        .size:           4
        .value_kind:     by_value
      - .offset:         132
        .size:           4
        .value_kind:     by_value
      - .offset:         136
        .size:           4
        .value_kind:     by_value
      - .offset:         140
        .size:           4
        .value_kind:     by_value
      - .offset:         144
        .size:           4
        .value_kind:     by_value
      - .offset:         152
        .size:           8
        .value_kind:     by_value
      - .offset:         160
        .size:           4
        .value_kind:     by_value
      - .offset:         164
        .size:           4
        .value_kind:     by_value
      - .offset:         168
        .size:           8
        .value_kind:     by_value
      - .offset:         176
        .size:           4
        .value_kind:     by_value
      - .offset:         180
        .size:           4
        .value_kind:     by_value
      - .offset:         184
        .size:           4
        .value_kind:     by_value
      - .offset:         188
        .size:           4
        .value_kind:     by_value
      - .offset:         192
        .size:           4
        .value_kind:     by_value
      - .offset:         200
        .size:           8
        .value_kind:     by_value
      - .offset:         208
        .size:           4
        .value_kind:     hidden_block_count_x
      - .offset:         212
        .size:           4
        .value_kind:     hidden_block_count_y
      - .offset:         216
        .size:           4
        .value_kind:     hidden_block_count_z
      - .offset:         220
        .size:           2
        .value_kind:     hidden_group_size_x
      - .offset:         222
        .size:           2
        .value_kind:     hidden_group_size_y
      - .offset:         224
        .size:           2
        .value_kind:     hidden_group_size_z
      - .offset:         226
        .size:           2
        .value_kind:     hidden_remainder_x
      - .offset:         228
        .size:           2
        .value_kind:     hidden_remainder_y
      - .offset:         230
        .size:           2
        .value_kind:     hidden_remainder_z
      - .offset:         248
        .size:           8
        .value_kind:     hidden_global_offset_x
      - .offset:         256
        .size:           8
        .value_kind:     hidden_global_offset_y
      - .offset:         264
        .size:           8
        .value_kind:     hidden_global_offset_z
      - .offset:         272
        .size:           2
        .value_kind:     hidden_grid_dims
    .group_segment_fixed_size: 25600
    .kernarg_segment_align: 8
    .kernarg_segment_size: 464
    .language:       OpenCL C
    .language_version:
      - 2
      - 0
    .max_flat_workgroup_size: 128
    .name:           _ZL15flash_attn_tileILi64ELi64ELi64ELi1ELb0EEvPKcS1_S1_S1_S1_PKiPfP15HIP_vector_typeIfLj2EEffffjfiS5_IjLj3EEiiiiiiiiiiiliiliiiiil
    .private_segment_fixed_size: 64
    .sgpr_count:     74
    .sgpr_spill_count: 0
    .symbol:         _ZL15flash_attn_tileILi64ELi64ELi64ELi1ELb0EEvPKcS1_S1_S1_S1_PKiPfP15HIP_vector_typeIfLj2EEffffjfiS5_IjLj3EEiiiiiiiiiiiliiliiiiil.kd
    .uniform_work_group_size: 1
    .uses_dynamic_stack: false
    .vgpr_count:     256
    .vgpr_spill_count: 11
    .wavefront_size: 32
    .workgroup_processor_mode: 1
  - .args:
      - .actual_access:  read_only
        .address_space:  global
        .offset:         0
        .size:           8
        .value_kind:     global_buffer
      - .actual_access:  write_only
        .address_space:  global
        .offset:         8
        .size:           8
        .value_kind:     global_buffer
      - .offset:         16
        .size:           4
        .value_kind:     by_value
      - .offset:         20
        .size:           4
        .value_kind:     by_value
      - .offset:         24
        .size:           4
        .value_kind:     by_value
      - .offset:         32
        .size:           4
        .value_kind:     hidden_block_count_x
      - .offset:         36
        .size:           4
        .value_kind:     hidden_block_count_y
      - .offset:         40
        .size:           4
        .value_kind:     hidden_block_count_z
      - .offset:         44
        .size:           2
        .value_kind:     hidden_group_size_x
      - .offset:         46
        .size:           2
        .value_kind:     hidden_group_size_y
      - .offset:         48
        .size:           2
        .value_kind:     hidden_group_size_z
      - .offset:         50
        .size:           2
        .value_kind:     hidden_remainder_x
      - .offset:         52
        .size:           2
        .value_kind:     hidden_remainder_y
      - .offset:         54
        .size:           2
        .value_kind:     hidden_remainder_z
      - .offset:         72
        .size:           8
        .value_kind:     hidden_global_offset_x
      - .offset:         80
        .size:           8
        .value_kind:     hidden_global_offset_y
      - .offset:         88
        .size:           8
        .value_kind:     hidden_global_offset_z
      - .offset:         96
        .size:           2
        .value_kind:     hidden_grid_dims
    .group_segment_fixed_size: 128
    .kernarg_segment_align: 8
    .kernarg_segment_size: 288
    .language:       OpenCL C
    .language_version:
      - 2
      - 0
    .max_flat_workgroup_size: 128
    .name:           _ZL25flash_attn_mask_to_KV_maxILi64EEvPK7__half2Piiii
    .private_segment_fixed_size: 0
    .sgpr_count:     107
    .sgpr_spill_count: 33
    .symbol:         _ZL25flash_attn_mask_to_KV_maxILi64EEvPK7__half2Piiii.kd
    .uniform_work_group_size: 1
    .uses_dynamic_stack: false
    .vgpr_count:     11
    .vgpr_spill_count: 0
    .wavefront_size: 32
    .workgroup_processor_mode: 1
  - .args:
      - .address_space:  global
        .offset:         0
        .size:           8
        .value_kind:     global_buffer
      - .address_space:  global
        .offset:         8
        .size:           8
        .value_kind:     global_buffer
      - .offset:         16
        .size:           4
        .value_kind:     by_value
      - .offset:         20
        .size:           4
        .value_kind:     by_value
      - .offset:         24
        .size:           4
        .value_kind:     by_value
      - .offset:         28
        .size:           4
        .value_kind:     by_value
      - .offset:         32
        .size:           4
        .value_kind:     by_value
      - .offset:         36
        .size:           4
        .value_kind:     by_value
      - .offset:         40
        .size:           12
        .value_kind:     by_value
      - .offset:         52
        .size:           12
        .value_kind:     by_value
      - .offset:         64
        .size:           12
        .value_kind:     by_value
    .group_segment_fixed_size: 0
    .kernarg_segment_align: 8
    .kernarg_segment_size: 76
    .language:       OpenCL C
    .language_version:
      - 2
      - 0
    .max_flat_workgroup_size: 64
    .name:           _ZL33flash_attn_stream_k_fixup_uniformILi64ELi64ELi1EEvPfPK15HIP_vector_typeIfLj2EEiiiiiiS1_IjLj3EES5_S5_
    .private_segment_fixed_size: 0
    .sgpr_count:     22
    .sgpr_spill_count: 0
    .symbol:         _ZL33flash_attn_stream_k_fixup_uniformILi64ELi64ELi1EEvPfPK15HIP_vector_typeIfLj2EEiiiiiiS1_IjLj3EES5_S5_.kd
    .uniform_work_group_size: 1
    .uses_dynamic_stack: false
    .vgpr_count:     15
    .vgpr_spill_count: 0
    .wavefront_size: 32
    .workgroup_processor_mode: 1
  - .args:
      - .address_space:  global
        .offset:         0
        .size:           8
        .value_kind:     global_buffer
      - .address_space:  global
        .offset:         8
        .size:           8
        .value_kind:     global_buffer
      - .offset:         16
        .size:           4
        .value_kind:     by_value
      - .offset:         20
        .size:           4
        .value_kind:     by_value
      - .offset:         24
        .size:           4
        .value_kind:     by_value
      - .offset:         28
        .size:           4
        .value_kind:     by_value
      - .offset:         32
        .size:           12
        .value_kind:     by_value
      - .offset:         44
        .size:           12
        .value_kind:     by_value
      - .offset:         56
        .size:           12
        .value_kind:     by_value
      - .offset:         68
        .size:           12
        .value_kind:     by_value
      - .offset:         80
        .size:           4
        .value_kind:     hidden_block_count_x
      - .offset:         84
        .size:           4
        .value_kind:     hidden_block_count_y
      - .offset:         88
        .size:           4
        .value_kind:     hidden_block_count_z
      - .offset:         92
        .size:           2
        .value_kind:     hidden_group_size_x
      - .offset:         94
        .size:           2
        .value_kind:     hidden_group_size_y
      - .offset:         96
        .size:           2
        .value_kind:     hidden_group_size_z
      - .offset:         98
        .size:           2
        .value_kind:     hidden_remainder_x
      - .offset:         100
        .size:           2
        .value_kind:     hidden_remainder_y
      - .offset:         102
        .size:           2
        .value_kind:     hidden_remainder_z
      - .offset:         120
        .size:           8
        .value_kind:     hidden_global_offset_x
      - .offset:         128
        .size:           8
        .value_kind:     hidden_global_offset_y
      - .offset:         136
        .size:           8
        .value_kind:     hidden_global_offset_z
      - .offset:         144
        .size:           2
        .value_kind:     hidden_grid_dims
    .group_segment_fixed_size: 0
    .kernarg_segment_align: 8
    .kernarg_segment_size: 336
    .language:       OpenCL C
    .language_version:
      - 2
      - 0
    .max_flat_workgroup_size: 64
    .name:           _ZL33flash_attn_stream_k_fixup_generalILi64ELi64ELi1EEvPfPK15HIP_vector_typeIfLj2EEiiiiS1_IjLj3EES5_S5_S5_
    .private_segment_fixed_size: 0
    .sgpr_count:     34
    .sgpr_spill_count: 0
    .symbol:         _ZL33flash_attn_stream_k_fixup_generalILi64ELi64ELi1EEvPfPK15HIP_vector_typeIfLj2EEiiiiS1_IjLj3EES5_S5_S5_.kd
    .uniform_work_group_size: 1
    .uses_dynamic_stack: false
    .vgpr_count:     19
    .vgpr_spill_count: 0
    .wavefront_size: 32
    .workgroup_processor_mode: 1
  - .args:
      - .address_space:  global
        .offset:         0
        .size:           8
        .value_kind:     global_buffer
      - .address_space:  global
        .offset:         8
        .size:           8
        .value_kind:     global_buffer
      - .address_space:  global
        .offset:         16
        .size:           8
        .value_kind:     global_buffer
      - .address_space:  global
        .offset:         24
        .size:           8
        .value_kind:     global_buffer
      - .address_space:  global
        .offset:         32
        .size:           8
        .value_kind:     global_buffer
      - .address_space:  global
        .offset:         40
        .size:           8
        .value_kind:     global_buffer
      - .address_space:  global
        .offset:         48
        .size:           8
        .value_kind:     global_buffer
      - .address_space:  global
        .offset:         56
        .size:           8
        .value_kind:     global_buffer
      - .offset:         64
        .size:           4
        .value_kind:     by_value
      - .offset:         68
        .size:           4
        .value_kind:     by_value
      - .offset:         72
        .size:           4
        .value_kind:     by_value
      - .offset:         76
        .size:           4
        .value_kind:     by_value
      - .offset:         80
        .size:           4
        .value_kind:     by_value
      - .offset:         84
        .size:           4
        .value_kind:     by_value
      - .offset:         88
        .size:           4
        .value_kind:     by_value
      - .offset:         92
        .size:           12
        .value_kind:     by_value
      - .offset:         104
        .size:           4
        .value_kind:     by_value
      - .offset:         108
        .size:           4
        .value_kind:     by_value
      - .offset:         112
        .size:           4
        .value_kind:     by_value
      - .offset:         116
        .size:           4
        .value_kind:     by_value
      - .offset:         120
        .size:           4
        .value_kind:     by_value
      - .offset:         124
        .size:           4
        .value_kind:     by_value
      - .offset:         128
        .size:           4
        .value_kind:     by_value
      - .offset:         132
        .size:           4
        .value_kind:     by_value
      - .offset:         136
        .size:           4
        .value_kind:     by_value
      - .offset:         140
        .size:           4
        .value_kind:     by_value
      - .offset:         144
        .size:           4
        .value_kind:     by_value
      - .offset:         152
        .size:           8
        .value_kind:     by_value
      - .offset:         160
        .size:           4
        .value_kind:     by_value
      - .offset:         164
        .size:           4
        .value_kind:     by_value
      - .offset:         168
        .size:           8
        .value_kind:     by_value
      - .offset:         176
        .size:           4
        .value_kind:     by_value
      - .offset:         180
        .size:           4
        .value_kind:     by_value
      - .offset:         184
        .size:           4
        .value_kind:     by_value
      - .offset:         188
        .size:           4
        .value_kind:     by_value
      - .offset:         192
        .size:           4
        .value_kind:     by_value
      - .offset:         200
        .size:           8
        .value_kind:     by_value
      - .offset:         208
        .size:           4
        .value_kind:     hidden_block_count_x
      - .offset:         212
        .size:           4
        .value_kind:     hidden_block_count_y
      - .offset:         216
        .size:           4
        .value_kind:     hidden_block_count_z
      - .offset:         220
        .size:           2
        .value_kind:     hidden_group_size_x
      - .offset:         222
        .size:           2
        .value_kind:     hidden_group_size_y
      - .offset:         224
        .size:           2
        .value_kind:     hidden_group_size_z
      - .offset:         226
        .size:           2
        .value_kind:     hidden_remainder_x
      - .offset:         228
        .size:           2
        .value_kind:     hidden_remainder_y
      - .offset:         230
        .size:           2
        .value_kind:     hidden_remainder_z
      - .offset:         248
        .size:           8
        .value_kind:     hidden_global_offset_x
      - .offset:         256
        .size:           8
        .value_kind:     hidden_global_offset_y
      - .offset:         264
        .size:           8
        .value_kind:     hidden_global_offset_z
      - .offset:         272
        .size:           2
        .value_kind:     hidden_grid_dims
    .group_segment_fixed_size: 17408
    .kernarg_segment_align: 8
    .kernarg_segment_size: 464
    .language:       OpenCL C
    .language_version:
      - 2
      - 0
    .max_flat_workgroup_size: 128
    .name:           _ZL15flash_attn_tileILi64ELi64ELi32ELi1ELb0EEvPKcS1_S1_S1_S1_PKiPfP15HIP_vector_typeIfLj2EEffffjfiS5_IjLj3EEiiiiiiiiiiiliiliiiiil
    .private_segment_fixed_size: 32
    .sgpr_count:     52
    .sgpr_spill_count: 0
    .symbol:         _ZL15flash_attn_tileILi64ELi64ELi32ELi1ELb0EEvPKcS1_S1_S1_S1_PKiPfP15HIP_vector_typeIfLj2EEffffjfiS5_IjLj3EEiiiiiiiiiiiliiliiiiil.kd
    .uniform_work_group_size: 1
    .uses_dynamic_stack: false
    .vgpr_count:     153
    .vgpr_spill_count: 0
    .wavefront_size: 32
    .workgroup_processor_mode: 1
  - .args:
      - .address_space:  global
        .offset:         0
        .size:           8
        .value_kind:     global_buffer
      - .address_space:  global
        .offset:         8
        .size:           8
        .value_kind:     global_buffer
      - .offset:         16
        .size:           4
        .value_kind:     by_value
      - .offset:         20
        .size:           4
        .value_kind:     by_value
      - .offset:         24
        .size:           4
        .value_kind:     by_value
      - .offset:         28
        .size:           4
        .value_kind:     by_value
      - .offset:         32
        .size:           4
        .value_kind:     by_value
      - .offset:         36
        .size:           4
        .value_kind:     by_value
      - .offset:         40
        .size:           12
        .value_kind:     by_value
      - .offset:         52
        .size:           12
        .value_kind:     by_value
      - .offset:         64
        .size:           12
        .value_kind:     by_value
    .group_segment_fixed_size: 0
    .kernarg_segment_align: 8
    .kernarg_segment_size: 76
    .language:       OpenCL C
    .language_version:
      - 2
      - 0
    .max_flat_workgroup_size: 64
    .name:           _ZL33flash_attn_stream_k_fixup_uniformILi64ELi32ELi1EEvPfPK15HIP_vector_typeIfLj2EEiiiiiiS1_IjLj3EES5_S5_
    .private_segment_fixed_size: 0
    .sgpr_count:     22
    .sgpr_spill_count: 0
    .symbol:         _ZL33flash_attn_stream_k_fixup_uniformILi64ELi32ELi1EEvPfPK15HIP_vector_typeIfLj2EEiiiiiiS1_IjLj3EES5_S5_.kd
    .uniform_work_group_size: 1
    .uses_dynamic_stack: false
    .vgpr_count:     15
    .vgpr_spill_count: 0
    .wavefront_size: 32
    .workgroup_processor_mode: 1
  - .args:
      - .address_space:  global
        .offset:         0
        .size:           8
        .value_kind:     global_buffer
      - .address_space:  global
        .offset:         8
        .size:           8
        .value_kind:     global_buffer
      - .offset:         16
        .size:           4
        .value_kind:     by_value
      - .offset:         20
        .size:           4
        .value_kind:     by_value
      - .offset:         24
        .size:           4
        .value_kind:     by_value
      - .offset:         28
        .size:           4
        .value_kind:     by_value
      - .offset:         32
        .size:           12
        .value_kind:     by_value
      - .offset:         44
        .size:           12
        .value_kind:     by_value
      - .offset:         56
        .size:           12
        .value_kind:     by_value
      - .offset:         68
        .size:           12
        .value_kind:     by_value
      - .offset:         80
        .size:           4
        .value_kind:     hidden_block_count_x
      - .offset:         84
        .size:           4
        .value_kind:     hidden_block_count_y
      - .offset:         88
        .size:           4
        .value_kind:     hidden_block_count_z
      - .offset:         92
        .size:           2
        .value_kind:     hidden_group_size_x
      - .offset:         94
        .size:           2
        .value_kind:     hidden_group_size_y
      - .offset:         96
        .size:           2
        .value_kind:     hidden_group_size_z
      - .offset:         98
        .size:           2
        .value_kind:     hidden_remainder_x
      - .offset:         100
        .size:           2
        .value_kind:     hidden_remainder_y
      - .offset:         102
        .size:           2
        .value_kind:     hidden_remainder_z
      - .offset:         120
        .size:           8
        .value_kind:     hidden_global_offset_x
      - .offset:         128
        .size:           8
        .value_kind:     hidden_global_offset_y
      - .offset:         136
        .size:           8
        .value_kind:     hidden_global_offset_z
      - .offset:         144
        .size:           2
        .value_kind:     hidden_grid_dims
    .group_segment_fixed_size: 0
    .kernarg_segment_align: 8
    .kernarg_segment_size: 336
    .language:       OpenCL C
    .language_version:
      - 2
      - 0
    .max_flat_workgroup_size: 64
    .name:           _ZL33flash_attn_stream_k_fixup_generalILi64ELi32ELi1EEvPfPK15HIP_vector_typeIfLj2EEiiiiS1_IjLj3EES5_S5_S5_
    .private_segment_fixed_size: 0
    .sgpr_count:     34
    .sgpr_spill_count: 0
    .symbol:         _ZL33flash_attn_stream_k_fixup_generalILi64ELi32ELi1EEvPfPK15HIP_vector_typeIfLj2EEiiiiS1_IjLj3EES5_S5_S5_.kd
    .uniform_work_group_size: 1
    .uses_dynamic_stack: false
    .vgpr_count:     19
    .vgpr_spill_count: 0
    .wavefront_size: 32
    .workgroup_processor_mode: 1
  - .args:
      - .address_space:  global
        .offset:         0
        .size:           8
        .value_kind:     global_buffer
      - .address_space:  global
        .offset:         8
        .size:           8
        .value_kind:     global_buffer
      - .address_space:  global
        .offset:         16
        .size:           8
        .value_kind:     global_buffer
      - .address_space:  global
        .offset:         24
        .size:           8
        .value_kind:     global_buffer
      - .address_space:  global
        .offset:         32
        .size:           8
        .value_kind:     global_buffer
      - .address_space:  global
        .offset:         40
        .size:           8
        .value_kind:     global_buffer
      - .address_space:  global
        .offset:         48
        .size:           8
        .value_kind:     global_buffer
      - .address_space:  global
        .offset:         56
        .size:           8
        .value_kind:     global_buffer
      - .offset:         64
        .size:           4
        .value_kind:     by_value
      - .offset:         68
        .size:           4
        .value_kind:     by_value
      - .offset:         72
        .size:           4
        .value_kind:     by_value
      - .offset:         76
        .size:           4
        .value_kind:     by_value
      - .offset:         80
        .size:           4
        .value_kind:     by_value
      - .offset:         84
        .size:           4
        .value_kind:     by_value
      - .offset:         88
        .size:           4
        .value_kind:     by_value
      - .offset:         92
        .size:           12
        .value_kind:     by_value
      - .offset:         104
        .size:           4
        .value_kind:     by_value
      - .offset:         108
        .size:           4
        .value_kind:     by_value
      - .offset:         112
        .size:           4
        .value_kind:     by_value
      - .offset:         116
        .size:           4
        .value_kind:     by_value
      - .offset:         120
        .size:           4
        .value_kind:     by_value
      - .offset:         124
        .size:           4
        .value_kind:     by_value
      - .offset:         128
        .size:           4
        .value_kind:     by_value
      - .offset:         132
        .size:           4
        .value_kind:     by_value
      - .offset:         136
        .size:           4
        .value_kind:     by_value
      - .offset:         140
        .size:           4
        .value_kind:     by_value
      - .offset:         144
        .size:           4
        .value_kind:     by_value
      - .offset:         152
        .size:           8
        .value_kind:     by_value
      - .offset:         160
        .size:           4
        .value_kind:     by_value
      - .offset:         164
        .size:           4
        .value_kind:     by_value
      - .offset:         168
        .size:           8
        .value_kind:     by_value
      - .offset:         176
        .size:           4
        .value_kind:     by_value
      - .offset:         180
        .size:           4
        .value_kind:     by_value
      - .offset:         184
        .size:           4
        .value_kind:     by_value
      - .offset:         188
        .size:           4
        .value_kind:     by_value
      - .offset:         192
        .size:           4
        .value_kind:     by_value
      - .offset:         200
        .size:           8
        .value_kind:     by_value
      - .offset:         208
        .size:           4
        .value_kind:     hidden_block_count_x
      - .offset:         212
        .size:           4
        .value_kind:     hidden_block_count_y
      - .offset:         216
        .size:           4
        .value_kind:     hidden_block_count_z
      - .offset:         220
        .size:           2
        .value_kind:     hidden_group_size_x
      - .offset:         222
        .size:           2
        .value_kind:     hidden_group_size_y
      - .offset:         224
        .size:           2
        .value_kind:     hidden_group_size_z
      - .offset:         226
        .size:           2
        .value_kind:     hidden_remainder_x
      - .offset:         228
        .size:           2
        .value_kind:     hidden_remainder_y
      - .offset:         230
        .size:           2
        .value_kind:     hidden_remainder_z
      - .offset:         248
        .size:           8
        .value_kind:     hidden_global_offset_x
      - .offset:         256
        .size:           8
        .value_kind:     hidden_global_offset_y
      - .offset:         264
        .size:           8
        .value_kind:     hidden_global_offset_z
      - .offset:         272
        .size:           2
        .value_kind:     hidden_grid_dims
    .group_segment_fixed_size: 24576
    .kernarg_segment_align: 8
    .kernarg_segment_size: 464
    .language:       OpenCL C
    .language_version:
      - 2
      - 0
    .max_flat_workgroup_size: 128
    .name:           _ZL15flash_attn_tileILi64ELi64ELi16ELi1ELb0EEvPKcS1_S1_S1_S1_PKiPfP15HIP_vector_typeIfLj2EEffffjfiS5_IjLj3EEiiiiiiiiiiiliiliiiiil
    .private_segment_fixed_size: 32
    .sgpr_count:     50
    .sgpr_spill_count: 0
    .symbol:         _ZL15flash_attn_tileILi64ELi64ELi16ELi1ELb0EEvPKcS1_S1_S1_S1_PKiPfP15HIP_vector_typeIfLj2EEffffjfiS5_IjLj3EEiiiiiiiiiiiliiliiiiil.kd
    .uniform_work_group_size: 1
    .uses_dynamic_stack: false
    .vgpr_count:     165
    .vgpr_spill_count: 0
    .wavefront_size: 32
    .workgroup_processor_mode: 1
  - .args:
      - .address_space:  global
        .offset:         0
        .size:           8
        .value_kind:     global_buffer
      - .address_space:  global
        .offset:         8
        .size:           8
        .value_kind:     global_buffer
      - .offset:         16
        .size:           4
        .value_kind:     by_value
      - .offset:         20
        .size:           4
        .value_kind:     by_value
      - .offset:         24
        .size:           4
        .value_kind:     by_value
      - .offset:         28
        .size:           4
        .value_kind:     by_value
      - .offset:         32
        .size:           4
        .value_kind:     by_value
      - .offset:         36
        .size:           4
        .value_kind:     by_value
      - .offset:         40
        .size:           12
        .value_kind:     by_value
      - .offset:         52
        .size:           12
        .value_kind:     by_value
      - .offset:         64
        .size:           12
        .value_kind:     by_value
    .group_segment_fixed_size: 0
    .kernarg_segment_align: 8
    .kernarg_segment_size: 76
    .language:       OpenCL C
    .language_version:
      - 2
      - 0
    .max_flat_workgroup_size: 64
    .name:           _ZL33flash_attn_stream_k_fixup_uniformILi64ELi16ELi1EEvPfPK15HIP_vector_typeIfLj2EEiiiiiiS1_IjLj3EES5_S5_
    .private_segment_fixed_size: 0
    .sgpr_count:     22
    .sgpr_spill_count: 0
    .symbol:         _ZL33flash_attn_stream_k_fixup_uniformILi64ELi16ELi1EEvPfPK15HIP_vector_typeIfLj2EEiiiiiiS1_IjLj3EES5_S5_.kd
    .uniform_work_group_size: 1
    .uses_dynamic_stack: false
    .vgpr_count:     15
    .vgpr_spill_count: 0
    .wavefront_size: 32
    .workgroup_processor_mode: 1
  - .args:
      - .address_space:  global
        .offset:         0
        .size:           8
        .value_kind:     global_buffer
      - .address_space:  global
        .offset:         8
        .size:           8
        .value_kind:     global_buffer
      - .offset:         16
        .size:           4
        .value_kind:     by_value
      - .offset:         20
        .size:           4
        .value_kind:     by_value
      - .offset:         24
        .size:           4
        .value_kind:     by_value
      - .offset:         28
        .size:           4
        .value_kind:     by_value
      - .offset:         32
        .size:           12
        .value_kind:     by_value
      - .offset:         44
        .size:           12
        .value_kind:     by_value
      - .offset:         56
        .size:           12
        .value_kind:     by_value
      - .offset:         68
        .size:           12
        .value_kind:     by_value
      - .offset:         80
        .size:           4
        .value_kind:     hidden_block_count_x
      - .offset:         84
        .size:           4
        .value_kind:     hidden_block_count_y
      - .offset:         88
        .size:           4
        .value_kind:     hidden_block_count_z
      - .offset:         92
        .size:           2
        .value_kind:     hidden_group_size_x
      - .offset:         94
        .size:           2
        .value_kind:     hidden_group_size_y
      - .offset:         96
        .size:           2
        .value_kind:     hidden_group_size_z
      - .offset:         98
        .size:           2
        .value_kind:     hidden_remainder_x
      - .offset:         100
        .size:           2
        .value_kind:     hidden_remainder_y
      - .offset:         102
        .size:           2
        .value_kind:     hidden_remainder_z
      - .offset:         120
        .size:           8
        .value_kind:     hidden_global_offset_x
      - .offset:         128
        .size:           8
        .value_kind:     hidden_global_offset_y
      - .offset:         136
        .size:           8
        .value_kind:     hidden_global_offset_z
      - .offset:         144
        .size:           2
        .value_kind:     hidden_grid_dims
    .group_segment_fixed_size: 0
    .kernarg_segment_align: 8
    .kernarg_segment_size: 336
    .language:       OpenCL C
    .language_version:
      - 2
      - 0
    .max_flat_workgroup_size: 64
    .name:           _ZL33flash_attn_stream_k_fixup_generalILi64ELi16ELi1EEvPfPK15HIP_vector_typeIfLj2EEiiiiS1_IjLj3EES5_S5_S5_
    .private_segment_fixed_size: 0
    .sgpr_count:     34
    .sgpr_spill_count: 0
    .symbol:         _ZL33flash_attn_stream_k_fixup_generalILi64ELi16ELi1EEvPfPK15HIP_vector_typeIfLj2EEiiiiS1_IjLj3EES5_S5_S5_.kd
    .uniform_work_group_size: 1
    .uses_dynamic_stack: false
    .vgpr_count:     19
    .vgpr_spill_count: 0
    .wavefront_size: 32
    .workgroup_processor_mode: 1
  - .args:
      - .address_space:  global
        .offset:         0
        .size:           8
        .value_kind:     global_buffer
      - .address_space:  global
        .offset:         8
        .size:           8
        .value_kind:     global_buffer
      - .address_space:  global
        .offset:         16
        .size:           8
        .value_kind:     global_buffer
      - .address_space:  global
        .offset:         24
        .size:           8
        .value_kind:     global_buffer
      - .address_space:  global
        .offset:         32
        .size:           8
        .value_kind:     global_buffer
      - .address_space:  global
        .offset:         40
        .size:           8
        .value_kind:     global_buffer
      - .address_space:  global
        .offset:         48
        .size:           8
        .value_kind:     global_buffer
      - .address_space:  global
        .offset:         56
        .size:           8
        .value_kind:     global_buffer
      - .offset:         64
        .size:           4
        .value_kind:     by_value
      - .offset:         68
        .size:           4
        .value_kind:     by_value
      - .offset:         72
        .size:           4
        .value_kind:     by_value
      - .offset:         76
        .size:           4
        .value_kind:     by_value
      - .offset:         80
        .size:           4
        .value_kind:     by_value
      - .offset:         84
        .size:           4
        .value_kind:     by_value
      - .offset:         88
        .size:           4
        .value_kind:     by_value
      - .offset:         92
        .size:           12
        .value_kind:     by_value
      - .offset:         104
        .size:           4
        .value_kind:     by_value
      - .offset:         108
        .size:           4
        .value_kind:     by_value
      - .offset:         112
        .size:           4
        .value_kind:     by_value
      - .offset:         116
        .size:           4
        .value_kind:     by_value
      - .offset:         120
        .size:           4
        .value_kind:     by_value
      - .offset:         124
        .size:           4
        .value_kind:     by_value
      - .offset:         128
        .size:           4
        .value_kind:     by_value
      - .offset:         132
        .size:           4
        .value_kind:     by_value
      - .offset:         136
        .size:           4
        .value_kind:     by_value
      - .offset:         140
        .size:           4
        .value_kind:     by_value
      - .offset:         144
        .size:           4
        .value_kind:     by_value
      - .offset:         152
        .size:           8
        .value_kind:     by_value
      - .offset:         160
        .size:           4
        .value_kind:     by_value
      - .offset:         164
        .size:           4
        .value_kind:     by_value
      - .offset:         168
        .size:           8
        .value_kind:     by_value
      - .offset:         176
        .size:           4
        .value_kind:     by_value
      - .offset:         180
        .size:           4
        .value_kind:     by_value
      - .offset:         184
        .size:           4
        .value_kind:     by_value
      - .offset:         188
        .size:           4
        .value_kind:     by_value
      - .offset:         192
        .size:           4
        .value_kind:     by_value
      - .offset:         200
        .size:           8
        .value_kind:     by_value
      - .offset:         208
        .size:           4
        .value_kind:     hidden_block_count_x
      - .offset:         212
        .size:           4
        .value_kind:     hidden_block_count_y
      - .offset:         216
        .size:           4
        .value_kind:     hidden_block_count_z
      - .offset:         220
        .size:           2
        .value_kind:     hidden_group_size_x
      - .offset:         222
        .size:           2
        .value_kind:     hidden_group_size_y
      - .offset:         224
        .size:           2
        .value_kind:     hidden_group_size_z
      - .offset:         226
        .size:           2
        .value_kind:     hidden_remainder_x
      - .offset:         228
        .size:           2
        .value_kind:     hidden_remainder_y
      - .offset:         230
        .size:           2
        .value_kind:     hidden_remainder_z
      - .offset:         248
        .size:           8
        .value_kind:     hidden_global_offset_x
      - .offset:         256
        .size:           8
        .value_kind:     hidden_global_offset_y
      - .offset:         264
        .size:           8
        .value_kind:     hidden_global_offset_z
      - .offset:         272
        .size:           2
        .value_kind:     hidden_grid_dims
    .group_segment_fixed_size: 21504
    .kernarg_segment_align: 8
    .kernarg_segment_size: 464
    .language:       OpenCL C
    .language_version:
      - 2
      - 0
    .max_flat_workgroup_size: 128
    .name:           _ZL15flash_attn_tileILi64ELi64ELi8ELi1ELb0EEvPKcS1_S1_S1_S1_PKiPfP15HIP_vector_typeIfLj2EEffffjfiS5_IjLj3EEiiiiiiiiiiiliiliiiiil
    .private_segment_fixed_size: 32
    .sgpr_count:     49
    .sgpr_spill_count: 0
    .symbol:         _ZL15flash_attn_tileILi64ELi64ELi8ELi1ELb0EEvPKcS1_S1_S1_S1_PKiPfP15HIP_vector_typeIfLj2EEffffjfiS5_IjLj3EEiiiiiiiiiiiliiliiiiil.kd
    .uniform_work_group_size: 1
    .uses_dynamic_stack: false
    .vgpr_count:     135
    .vgpr_spill_count: 0
    .wavefront_size: 32
    .workgroup_processor_mode: 1
  - .args:
      - .address_space:  global
        .offset:         0
        .size:           8
        .value_kind:     global_buffer
      - .address_space:  global
        .offset:         8
        .size:           8
        .value_kind:     global_buffer
      - .offset:         16
        .size:           4
        .value_kind:     by_value
      - .offset:         20
        .size:           4
        .value_kind:     by_value
      - .offset:         24
        .size:           4
        .value_kind:     by_value
      - .offset:         28
        .size:           4
        .value_kind:     by_value
      - .offset:         32
        .size:           4
        .value_kind:     by_value
      - .offset:         36
        .size:           4
        .value_kind:     by_value
      - .offset:         40
        .size:           12
        .value_kind:     by_value
      - .offset:         52
        .size:           12
        .value_kind:     by_value
      - .offset:         64
        .size:           12
        .value_kind:     by_value
    .group_segment_fixed_size: 0
    .kernarg_segment_align: 8
    .kernarg_segment_size: 76
    .language:       OpenCL C
    .language_version:
      - 2
      - 0
    .max_flat_workgroup_size: 64
    .name:           _ZL33flash_attn_stream_k_fixup_uniformILi64ELi8ELi1EEvPfPK15HIP_vector_typeIfLj2EEiiiiiiS1_IjLj3EES5_S5_
    .private_segment_fixed_size: 0
    .sgpr_count:     22
    .sgpr_spill_count: 0
    .symbol:         _ZL33flash_attn_stream_k_fixup_uniformILi64ELi8ELi1EEvPfPK15HIP_vector_typeIfLj2EEiiiiiiS1_IjLj3EES5_S5_.kd
    .uniform_work_group_size: 1
    .uses_dynamic_stack: false
    .vgpr_count:     15
    .vgpr_spill_count: 0
    .wavefront_size: 32
    .workgroup_processor_mode: 1
  - .args:
      - .address_space:  global
        .offset:         0
        .size:           8
        .value_kind:     global_buffer
      - .address_space:  global
        .offset:         8
        .size:           8
        .value_kind:     global_buffer
      - .offset:         16
        .size:           4
        .value_kind:     by_value
      - .offset:         20
        .size:           4
        .value_kind:     by_value
      - .offset:         24
        .size:           4
        .value_kind:     by_value
      - .offset:         28
        .size:           4
        .value_kind:     by_value
      - .offset:         32
        .size:           12
        .value_kind:     by_value
      - .offset:         44
        .size:           12
        .value_kind:     by_value
      - .offset:         56
        .size:           12
        .value_kind:     by_value
      - .offset:         68
        .size:           12
        .value_kind:     by_value
      - .offset:         80
        .size:           4
        .value_kind:     hidden_block_count_x
      - .offset:         84
        .size:           4
        .value_kind:     hidden_block_count_y
      - .offset:         88
        .size:           4
        .value_kind:     hidden_block_count_z
      - .offset:         92
        .size:           2
        .value_kind:     hidden_group_size_x
      - .offset:         94
        .size:           2
        .value_kind:     hidden_group_size_y
      - .offset:         96
        .size:           2
        .value_kind:     hidden_group_size_z
      - .offset:         98
        .size:           2
        .value_kind:     hidden_remainder_x
      - .offset:         100
        .size:           2
        .value_kind:     hidden_remainder_y
      - .offset:         102
        .size:           2
        .value_kind:     hidden_remainder_z
      - .offset:         120
        .size:           8
        .value_kind:     hidden_global_offset_x
      - .offset:         128
        .size:           8
        .value_kind:     hidden_global_offset_y
      - .offset:         136
        .size:           8
        .value_kind:     hidden_global_offset_z
      - .offset:         144
        .size:           2
        .value_kind:     hidden_grid_dims
    .group_segment_fixed_size: 0
    .kernarg_segment_align: 8
    .kernarg_segment_size: 336
    .language:       OpenCL C
    .language_version:
      - 2
      - 0
    .max_flat_workgroup_size: 64
    .name:           _ZL33flash_attn_stream_k_fixup_generalILi64ELi8ELi1EEvPfPK15HIP_vector_typeIfLj2EEiiiiS1_IjLj3EES5_S5_S5_
    .private_segment_fixed_size: 0
    .sgpr_count:     34
    .sgpr_spill_count: 0
    .symbol:         _ZL33flash_attn_stream_k_fixup_generalILi64ELi8ELi1EEvPfPK15HIP_vector_typeIfLj2EEiiiiS1_IjLj3EES5_S5_S5_.kd
    .uniform_work_group_size: 1
    .uses_dynamic_stack: false
    .vgpr_count:     19
    .vgpr_spill_count: 0
    .wavefront_size: 32
    .workgroup_processor_mode: 1
  - .args:
      - .address_space:  global
        .offset:         0
        .size:           8
        .value_kind:     global_buffer
      - .address_space:  global
        .offset:         8
        .size:           8
        .value_kind:     global_buffer
      - .address_space:  global
        .offset:         16
        .size:           8
        .value_kind:     global_buffer
      - .address_space:  global
        .offset:         24
        .size:           8
        .value_kind:     global_buffer
      - .address_space:  global
        .offset:         32
        .size:           8
        .value_kind:     global_buffer
      - .address_space:  global
        .offset:         40
        .size:           8
        .value_kind:     global_buffer
      - .address_space:  global
        .offset:         48
        .size:           8
        .value_kind:     global_buffer
      - .address_space:  global
        .offset:         56
        .size:           8
        .value_kind:     global_buffer
      - .offset:         64
        .size:           4
        .value_kind:     by_value
      - .offset:         68
        .size:           4
        .value_kind:     by_value
      - .offset:         72
        .size:           4
        .value_kind:     by_value
      - .offset:         76
        .size:           4
        .value_kind:     by_value
      - .offset:         80
        .size:           4
        .value_kind:     by_value
      - .offset:         84
        .size:           4
        .value_kind:     by_value
      - .offset:         88
        .size:           4
        .value_kind:     by_value
      - .offset:         92
        .size:           12
        .value_kind:     by_value
      - .offset:         104
        .size:           4
        .value_kind:     by_value
      - .offset:         108
        .size:           4
        .value_kind:     by_value
      - .offset:         112
        .size:           4
        .value_kind:     by_value
      - .offset:         116
        .size:           4
        .value_kind:     by_value
      - .offset:         120
        .size:           4
        .value_kind:     by_value
      - .offset:         124
        .size:           4
        .value_kind:     by_value
      - .offset:         128
        .size:           4
        .value_kind:     by_value
      - .offset:         132
        .size:           4
        .value_kind:     by_value
      - .offset:         136
        .size:           4
        .value_kind:     by_value
      - .offset:         140
        .size:           4
        .value_kind:     by_value
      - .offset:         144
        .size:           4
        .value_kind:     by_value
      - .offset:         152
        .size:           8
        .value_kind:     by_value
      - .offset:         160
        .size:           4
        .value_kind:     by_value
      - .offset:         164
        .size:           4
        .value_kind:     by_value
      - .offset:         168
        .size:           8
        .value_kind:     by_value
      - .offset:         176
        .size:           4
        .value_kind:     by_value
      - .offset:         180
        .size:           4
        .value_kind:     by_value
      - .offset:         184
        .size:           4
        .value_kind:     by_value
      - .offset:         188
        .size:           4
        .value_kind:     by_value
      - .offset:         192
        .size:           4
        .value_kind:     by_value
      - .offset:         200
        .size:           8
        .value_kind:     by_value
      - .offset:         208
        .size:           4
        .value_kind:     hidden_block_count_x
      - .offset:         212
        .size:           4
        .value_kind:     hidden_block_count_y
      - .offset:         216
        .size:           4
        .value_kind:     hidden_block_count_z
      - .offset:         220
        .size:           2
        .value_kind:     hidden_group_size_x
      - .offset:         222
        .size:           2
        .value_kind:     hidden_group_size_y
      - .offset:         224
        .size:           2
        .value_kind:     hidden_group_size_z
      - .offset:         226
        .size:           2
        .value_kind:     hidden_remainder_x
      - .offset:         228
        .size:           2
        .value_kind:     hidden_remainder_y
      - .offset:         230
        .size:           2
        .value_kind:     hidden_remainder_z
      - .offset:         248
        .size:           8
        .value_kind:     hidden_global_offset_x
      - .offset:         256
        .size:           8
        .value_kind:     hidden_global_offset_y
      - .offset:         264
        .size:           8
        .value_kind:     hidden_global_offset_z
      - .offset:         272
        .size:           2
        .value_kind:     hidden_grid_dims
    .group_segment_fixed_size: 5376
    .kernarg_segment_align: 8
    .kernarg_segment_size: 464
    .language:       OpenCL C
    .language_version:
      - 2
      - 0
    .max_flat_workgroup_size: 64
    .name:           _ZL15flash_attn_tileILi64ELi64ELi4ELi1ELb0EEvPKcS1_S1_S1_S1_PKiPfP15HIP_vector_typeIfLj2EEffffjfiS5_IjLj3EEiiiiiiiiiiiliiliiiiil
    .private_segment_fixed_size: 32
    .sgpr_count:     49
    .sgpr_spill_count: 0
    .symbol:         _ZL15flash_attn_tileILi64ELi64ELi4ELi1ELb0EEvPKcS1_S1_S1_S1_PKiPfP15HIP_vector_typeIfLj2EEffffjfiS5_IjLj3EEiiiiiiiiiiiliiliiiiil.kd
    .uniform_work_group_size: 1
    .uses_dynamic_stack: false
    .vgpr_count:     78
    .vgpr_spill_count: 0
    .wavefront_size: 32
    .workgroup_processor_mode: 1
  - .args:
      - .address_space:  global
        .offset:         0
        .size:           8
        .value_kind:     global_buffer
      - .address_space:  global
        .offset:         8
        .size:           8
        .value_kind:     global_buffer
      - .offset:         16
        .size:           4
        .value_kind:     by_value
      - .offset:         20
        .size:           4
        .value_kind:     by_value
      - .offset:         24
        .size:           4
        .value_kind:     by_value
      - .offset:         28
        .size:           4
        .value_kind:     by_value
      - .offset:         32
        .size:           4
        .value_kind:     by_value
      - .offset:         36
        .size:           4
        .value_kind:     by_value
      - .offset:         40
        .size:           12
        .value_kind:     by_value
      - .offset:         52
        .size:           12
        .value_kind:     by_value
      - .offset:         64
        .size:           12
        .value_kind:     by_value
    .group_segment_fixed_size: 0
    .kernarg_segment_align: 8
    .kernarg_segment_size: 76
    .language:       OpenCL C
    .language_version:
      - 2
      - 0
    .max_flat_workgroup_size: 64
    .name:           _ZL33flash_attn_stream_k_fixup_uniformILi64ELi4ELi1EEvPfPK15HIP_vector_typeIfLj2EEiiiiiiS1_IjLj3EES5_S5_
    .private_segment_fixed_size: 0
    .sgpr_count:     22
    .sgpr_spill_count: 0
    .symbol:         _ZL33flash_attn_stream_k_fixup_uniformILi64ELi4ELi1EEvPfPK15HIP_vector_typeIfLj2EEiiiiiiS1_IjLj3EES5_S5_.kd
    .uniform_work_group_size: 1
    .uses_dynamic_stack: false
    .vgpr_count:     15
    .vgpr_spill_count: 0
    .wavefront_size: 32
    .workgroup_processor_mode: 1
  - .args:
      - .address_space:  global
        .offset:         0
        .size:           8
        .value_kind:     global_buffer
      - .address_space:  global
        .offset:         8
        .size:           8
        .value_kind:     global_buffer
      - .offset:         16
        .size:           4
        .value_kind:     by_value
      - .offset:         20
        .size:           4
        .value_kind:     by_value
      - .offset:         24
        .size:           4
        .value_kind:     by_value
      - .offset:         28
        .size:           4
        .value_kind:     by_value
      - .offset:         32
        .size:           12
        .value_kind:     by_value
      - .offset:         44
        .size:           12
        .value_kind:     by_value
      - .offset:         56
        .size:           12
        .value_kind:     by_value
      - .offset:         68
        .size:           12
        .value_kind:     by_value
      - .offset:         80
        .size:           4
        .value_kind:     hidden_block_count_x
      - .offset:         84
        .size:           4
        .value_kind:     hidden_block_count_y
      - .offset:         88
        .size:           4
        .value_kind:     hidden_block_count_z
      - .offset:         92
        .size:           2
        .value_kind:     hidden_group_size_x
      - .offset:         94
        .size:           2
        .value_kind:     hidden_group_size_y
      - .offset:         96
        .size:           2
        .value_kind:     hidden_group_size_z
      - .offset:         98
        .size:           2
        .value_kind:     hidden_remainder_x
      - .offset:         100
        .size:           2
        .value_kind:     hidden_remainder_y
      - .offset:         102
        .size:           2
        .value_kind:     hidden_remainder_z
      - .offset:         120
        .size:           8
        .value_kind:     hidden_global_offset_x
      - .offset:         128
        .size:           8
        .value_kind:     hidden_global_offset_y
      - .offset:         136
        .size:           8
        .value_kind:     hidden_global_offset_z
      - .offset:         144
        .size:           2
        .value_kind:     hidden_grid_dims
    .group_segment_fixed_size: 0
    .kernarg_segment_align: 8
    .kernarg_segment_size: 336
    .language:       OpenCL C
    .language_version:
      - 2
      - 0
    .max_flat_workgroup_size: 64
    .name:           _ZL33flash_attn_stream_k_fixup_generalILi64ELi4ELi1EEvPfPK15HIP_vector_typeIfLj2EEiiiiS1_IjLj3EES5_S5_S5_
    .private_segment_fixed_size: 0
    .sgpr_count:     34
    .sgpr_spill_count: 0
    .symbol:         _ZL33flash_attn_stream_k_fixup_generalILi64ELi4ELi1EEvPfPK15HIP_vector_typeIfLj2EEiiiiS1_IjLj3EES5_S5_S5_.kd
    .uniform_work_group_size: 1
    .uses_dynamic_stack: false
    .vgpr_count:     19
    .vgpr_spill_count: 0
    .wavefront_size: 32
    .workgroup_processor_mode: 1
  - .args:
      - .address_space:  global
        .offset:         0
        .size:           8
        .value_kind:     global_buffer
      - .address_space:  global
        .offset:         8
        .size:           8
        .value_kind:     global_buffer
      - .address_space:  global
        .offset:         16
        .size:           8
        .value_kind:     global_buffer
      - .address_space:  global
        .offset:         24
        .size:           8
        .value_kind:     global_buffer
      - .address_space:  global
        .offset:         32
        .size:           8
        .value_kind:     global_buffer
      - .address_space:  global
        .offset:         40
        .size:           8
        .value_kind:     global_buffer
      - .address_space:  global
        .offset:         48
        .size:           8
        .value_kind:     global_buffer
      - .address_space:  global
        .offset:         56
        .size:           8
        .value_kind:     global_buffer
      - .offset:         64
        .size:           4
        .value_kind:     by_value
      - .offset:         68
        .size:           4
        .value_kind:     by_value
      - .offset:         72
        .size:           4
        .value_kind:     by_value
      - .offset:         76
        .size:           4
        .value_kind:     by_value
      - .offset:         80
        .size:           4
        .value_kind:     by_value
      - .offset:         84
        .size:           4
        .value_kind:     by_value
      - .offset:         88
        .size:           4
        .value_kind:     by_value
      - .offset:         92
        .size:           12
        .value_kind:     by_value
      - .offset:         104
        .size:           4
        .value_kind:     by_value
      - .offset:         108
        .size:           4
        .value_kind:     by_value
      - .offset:         112
        .size:           4
        .value_kind:     by_value
      - .offset:         116
        .size:           4
        .value_kind:     by_value
      - .offset:         120
        .size:           4
        .value_kind:     by_value
      - .offset:         124
        .size:           4
        .value_kind:     by_value
      - .offset:         128
        .size:           4
        .value_kind:     by_value
      - .offset:         132
        .size:           4
        .value_kind:     by_value
      - .offset:         136
        .size:           4
        .value_kind:     by_value
      - .offset:         140
        .size:           4
        .value_kind:     by_value
      - .offset:         144
        .size:           4
        .value_kind:     by_value
      - .offset:         152
        .size:           8
        .value_kind:     by_value
      - .offset:         160
        .size:           4
        .value_kind:     by_value
      - .offset:         164
        .size:           4
        .value_kind:     by_value
      - .offset:         168
        .size:           8
        .value_kind:     by_value
      - .offset:         176
        .size:           4
        .value_kind:     by_value
      - .offset:         180
        .size:           4
        .value_kind:     by_value
      - .offset:         184
        .size:           4
        .value_kind:     by_value
      - .offset:         188
        .size:           4
        .value_kind:     by_value
      - .offset:         192
        .size:           4
        .value_kind:     by_value
      - .offset:         200
        .size:           8
        .value_kind:     by_value
      - .offset:         208
        .size:           4
        .value_kind:     hidden_block_count_x
      - .offset:         212
        .size:           4
        .value_kind:     hidden_block_count_y
      - .offset:         216
        .size:           4
        .value_kind:     hidden_block_count_z
      - .offset:         220
        .size:           2
        .value_kind:     hidden_group_size_x
      - .offset:         222
        .size:           2
        .value_kind:     hidden_group_size_y
      - .offset:         224
        .size:           2
        .value_kind:     hidden_group_size_z
      - .offset:         226
        .size:           2
        .value_kind:     hidden_remainder_x
      - .offset:         228
        .size:           2
        .value_kind:     hidden_remainder_y
      - .offset:         230
        .size:           2
        .value_kind:     hidden_remainder_z
      - .offset:         248
        .size:           8
        .value_kind:     hidden_global_offset_x
      - .offset:         256
        .size:           8
        .value_kind:     hidden_global_offset_y
      - .offset:         264
        .size:           8
        .value_kind:     hidden_global_offset_z
      - .offset:         272
        .size:           2
        .value_kind:     hidden_grid_dims
    .group_segment_fixed_size: 4992
    .kernarg_segment_align: 8
    .kernarg_segment_size: 464
    .language:       OpenCL C
    .language_version:
      - 2
      - 0
    .max_flat_workgroup_size: 64
    .name:           _ZL15flash_attn_tileILi64ELi64ELi2ELi1ELb0EEvPKcS1_S1_S1_S1_PKiPfP15HIP_vector_typeIfLj2EEffffjfiS5_IjLj3EEiiiiiiiiiiiliiliiiiil
    .private_segment_fixed_size: 32
    .sgpr_count:     54
    .sgpr_spill_count: 0
    .symbol:         _ZL15flash_attn_tileILi64ELi64ELi2ELi1ELb0EEvPKcS1_S1_S1_S1_PKiPfP15HIP_vector_typeIfLj2EEffffjfiS5_IjLj3EEiiiiiiiiiiiliiliiiiil.kd
    .uniform_work_group_size: 1
    .uses_dynamic_stack: false
    .vgpr_count:     64
    .vgpr_spill_count: 0
    .wavefront_size: 32
    .workgroup_processor_mode: 1
  - .args:
      - .address_space:  global
        .offset:         0
        .size:           8
        .value_kind:     global_buffer
      - .address_space:  global
        .offset:         8
        .size:           8
        .value_kind:     global_buffer
      - .offset:         16
        .size:           4
        .value_kind:     by_value
      - .offset:         20
        .size:           4
        .value_kind:     by_value
      - .offset:         24
        .size:           4
        .value_kind:     by_value
      - .offset:         28
        .size:           4
        .value_kind:     by_value
      - .offset:         32
        .size:           4
        .value_kind:     by_value
      - .offset:         36
        .size:           4
        .value_kind:     by_value
      - .offset:         40
        .size:           12
        .value_kind:     by_value
      - .offset:         52
        .size:           12
        .value_kind:     by_value
      - .offset:         64
        .size:           12
        .value_kind:     by_value
    .group_segment_fixed_size: 0
    .kernarg_segment_align: 8
    .kernarg_segment_size: 76
    .language:       OpenCL C
    .language_version:
      - 2
      - 0
    .max_flat_workgroup_size: 64
    .name:           _ZL33flash_attn_stream_k_fixup_uniformILi64ELi2ELi1EEvPfPK15HIP_vector_typeIfLj2EEiiiiiiS1_IjLj3EES5_S5_
    .private_segment_fixed_size: 0
    .sgpr_count:     22
    .sgpr_spill_count: 0
    .symbol:         _ZL33flash_attn_stream_k_fixup_uniformILi64ELi2ELi1EEvPfPK15HIP_vector_typeIfLj2EEiiiiiiS1_IjLj3EES5_S5_.kd
    .uniform_work_group_size: 1
    .uses_dynamic_stack: false
    .vgpr_count:     15
    .vgpr_spill_count: 0
    .wavefront_size: 32
    .workgroup_processor_mode: 1
  - .args:
      - .address_space:  global
        .offset:         0
        .size:           8
        .value_kind:     global_buffer
      - .address_space:  global
        .offset:         8
        .size:           8
        .value_kind:     global_buffer
      - .offset:         16
        .size:           4
        .value_kind:     by_value
      - .offset:         20
        .size:           4
        .value_kind:     by_value
      - .offset:         24
        .size:           4
        .value_kind:     by_value
      - .offset:         28
        .size:           4
        .value_kind:     by_value
      - .offset:         32
        .size:           12
        .value_kind:     by_value
      - .offset:         44
        .size:           12
        .value_kind:     by_value
      - .offset:         56
        .size:           12
        .value_kind:     by_value
      - .offset:         68
        .size:           12
        .value_kind:     by_value
      - .offset:         80
        .size:           4
        .value_kind:     hidden_block_count_x
      - .offset:         84
        .size:           4
        .value_kind:     hidden_block_count_y
      - .offset:         88
        .size:           4
        .value_kind:     hidden_block_count_z
      - .offset:         92
        .size:           2
        .value_kind:     hidden_group_size_x
      - .offset:         94
        .size:           2
        .value_kind:     hidden_group_size_y
      - .offset:         96
        .size:           2
        .value_kind:     hidden_group_size_z
      - .offset:         98
        .size:           2
        .value_kind:     hidden_remainder_x
      - .offset:         100
        .size:           2
        .value_kind:     hidden_remainder_y
      - .offset:         102
        .size:           2
        .value_kind:     hidden_remainder_z
      - .offset:         120
        .size:           8
        .value_kind:     hidden_global_offset_x
      - .offset:         128
        .size:           8
        .value_kind:     hidden_global_offset_y
      - .offset:         136
        .size:           8
        .value_kind:     hidden_global_offset_z
      - .offset:         144
        .size:           2
        .value_kind:     hidden_grid_dims
    .group_segment_fixed_size: 0
    .kernarg_segment_align: 8
    .kernarg_segment_size: 336
    .language:       OpenCL C
    .language_version:
      - 2
      - 0
    .max_flat_workgroup_size: 64
    .name:           _ZL33flash_attn_stream_k_fixup_generalILi64ELi2ELi1EEvPfPK15HIP_vector_typeIfLj2EEiiiiS1_IjLj3EES5_S5_S5_
    .private_segment_fixed_size: 0
    .sgpr_count:     34
    .sgpr_spill_count: 0
    .symbol:         _ZL33flash_attn_stream_k_fixup_generalILi64ELi2ELi1EEvPfPK15HIP_vector_typeIfLj2EEiiiiS1_IjLj3EES5_S5_S5_.kd
    .uniform_work_group_size: 1
    .uses_dynamic_stack: false
    .vgpr_count:     19
    .vgpr_spill_count: 0
    .wavefront_size: 32
    .workgroup_processor_mode: 1
  - .args:
      - .address_space:  global
        .offset:         0
        .size:           8
        .value_kind:     global_buffer
      - .address_space:  global
        .offset:         8
        .size:           8
        .value_kind:     global_buffer
      - .address_space:  global
        .offset:         16
        .size:           8
        .value_kind:     global_buffer
      - .address_space:  global
        .offset:         24
        .size:           8
        .value_kind:     global_buffer
      - .address_space:  global
        .offset:         32
        .size:           8
        .value_kind:     global_buffer
      - .address_space:  global
        .offset:         40
        .size:           8
        .value_kind:     global_buffer
      - .address_space:  global
        .offset:         48
        .size:           8
        .value_kind:     global_buffer
      - .address_space:  global
        .offset:         56
        .size:           8
        .value_kind:     global_buffer
      - .offset:         64
        .size:           4
        .value_kind:     by_value
      - .offset:         68
        .size:           4
        .value_kind:     by_value
      - .offset:         72
        .size:           4
        .value_kind:     by_value
      - .offset:         76
        .size:           4
        .value_kind:     by_value
      - .offset:         80
        .size:           4
        .value_kind:     by_value
      - .offset:         84
        .size:           4
        .value_kind:     by_value
      - .offset:         88
        .size:           4
        .value_kind:     by_value
      - .offset:         92
        .size:           12
        .value_kind:     by_value
      - .offset:         104
        .size:           4
        .value_kind:     by_value
      - .offset:         108
        .size:           4
        .value_kind:     by_value
      - .offset:         112
        .size:           4
        .value_kind:     by_value
      - .offset:         116
        .size:           4
        .value_kind:     by_value
      - .offset:         120
        .size:           4
        .value_kind:     by_value
      - .offset:         124
        .size:           4
        .value_kind:     by_value
      - .offset:         128
        .size:           4
        .value_kind:     by_value
      - .offset:         132
        .size:           4
        .value_kind:     by_value
      - .offset:         136
        .size:           4
        .value_kind:     by_value
      - .offset:         140
        .size:           4
        .value_kind:     by_value
      - .offset:         144
        .size:           4
        .value_kind:     by_value
      - .offset:         152
        .size:           8
        .value_kind:     by_value
      - .offset:         160
        .size:           4
        .value_kind:     by_value
      - .offset:         164
        .size:           4
        .value_kind:     by_value
      - .offset:         168
        .size:           8
        .value_kind:     by_value
      - .offset:         176
        .size:           4
        .value_kind:     by_value
      - .offset:         180
        .size:           4
        .value_kind:     by_value
      - .offset:         184
        .size:           4
        .value_kind:     by_value
      - .offset:         188
        .size:           4
        .value_kind:     by_value
      - .offset:         192
        .size:           4
        .value_kind:     by_value
      - .offset:         200
        .size:           8
        .value_kind:     by_value
      - .offset:         208
        .size:           4
        .value_kind:     hidden_block_count_x
      - .offset:         212
        .size:           4
        .value_kind:     hidden_block_count_y
      - .offset:         216
        .size:           4
        .value_kind:     hidden_block_count_z
      - .offset:         220
        .size:           2
        .value_kind:     hidden_group_size_x
      - .offset:         222
        .size:           2
        .value_kind:     hidden_group_size_y
      - .offset:         224
        .size:           2
        .value_kind:     hidden_group_size_z
      - .offset:         226
        .size:           2
        .value_kind:     hidden_remainder_x
      - .offset:         228
        .size:           2
        .value_kind:     hidden_remainder_y
      - .offset:         230
        .size:           2
        .value_kind:     hidden_remainder_z
      - .offset:         248
        .size:           8
        .value_kind:     hidden_global_offset_x
      - .offset:         256
        .size:           8
        .value_kind:     hidden_global_offset_y
      - .offset:         264
        .size:           8
        .value_kind:     hidden_global_offset_z
      - .offset:         272
        .size:           2
        .value_kind:     hidden_grid_dims
      - .offset:         288
        .size:           8
        .value_kind:     hidden_hostcall_buffer
    .group_segment_fixed_size: 0
    .kernarg_segment_align: 8
    .kernarg_segment_size: 464
    .language:       OpenCL C
    .language_version:
      - 2
      - 0
    .max_flat_workgroup_size: 128
    .name:           _ZL15flash_attn_tileILi64ELi64ELi8ELi8ELb1EEvPKcS1_S1_S1_S1_PKiPfP15HIP_vector_typeIfLj2EEffffjfiS5_IjLj3EEiiiiiiiiiiiliiliiiiil
    .private_segment_fixed_size: 16
    .sgpr_count:     36
    .sgpr_spill_count: 0
    .symbol:         _ZL15flash_attn_tileILi64ELi64ELi8ELi8ELb1EEvPKcS1_S1_S1_S1_PKiPfP15HIP_vector_typeIfLj2EEffffjfiS5_IjLj3EEiiiiiiiiiiiliiliiiiil.kd
    .uniform_work_group_size: 1
    .uses_dynamic_stack: false
    .vgpr_count:     37
    .vgpr_spill_count: 0
    .wavefront_size: 32
    .workgroup_processor_mode: 1
  - .args:
      - .address_space:  global
        .offset:         0
        .size:           8
        .value_kind:     global_buffer
      - .address_space:  global
        .offset:         8
        .size:           8
        .value_kind:     global_buffer
      - .address_space:  global
        .offset:         16
        .size:           8
        .value_kind:     global_buffer
      - .address_space:  global
        .offset:         24
        .size:           8
        .value_kind:     global_buffer
      - .address_space:  global
        .offset:         32
        .size:           8
        .value_kind:     global_buffer
      - .address_space:  global
        .offset:         40
        .size:           8
        .value_kind:     global_buffer
      - .address_space:  global
        .offset:         48
        .size:           8
        .value_kind:     global_buffer
      - .address_space:  global
        .offset:         56
        .size:           8
        .value_kind:     global_buffer
      - .offset:         64
        .size:           4
        .value_kind:     by_value
      - .offset:         68
        .size:           4
        .value_kind:     by_value
      - .offset:         72
        .size:           4
        .value_kind:     by_value
      - .offset:         76
        .size:           4
        .value_kind:     by_value
      - .offset:         80
        .size:           4
        .value_kind:     by_value
      - .offset:         84
        .size:           4
        .value_kind:     by_value
      - .offset:         88
        .size:           4
        .value_kind:     by_value
      - .offset:         92
        .size:           12
        .value_kind:     by_value
      - .offset:         104
        .size:           4
        .value_kind:     by_value
      - .offset:         108
        .size:           4
        .value_kind:     by_value
      - .offset:         112
        .size:           4
        .value_kind:     by_value
      - .offset:         116
        .size:           4
        .value_kind:     by_value
      - .offset:         120
        .size:           4
        .value_kind:     by_value
      - .offset:         124
        .size:           4
        .value_kind:     by_value
      - .offset:         128
        .size:           4
        .value_kind:     by_value
      - .offset:         132
        .size:           4
        .value_kind:     by_value
      - .offset:         136
        .size:           4
        .value_kind:     by_value
      - .offset:         140
        .size:           4
        .value_kind:     by_value
      - .offset:         144
        .size:           4
        .value_kind:     by_value
      - .offset:         152
        .size:           8
        .value_kind:     by_value
      - .offset:         160
        .size:           4
        .value_kind:     by_value
      - .offset:         164
        .size:           4
        .value_kind:     by_value
      - .offset:         168
        .size:           8
        .value_kind:     by_value
      - .offset:         176
        .size:           4
        .value_kind:     by_value
      - .offset:         180
        .size:           4
        .value_kind:     by_value
      - .offset:         184
        .size:           4
        .value_kind:     by_value
      - .offset:         188
        .size:           4
        .value_kind:     by_value
      - .offset:         192
        .size:           4
        .value_kind:     by_value
      - .offset:         200
        .size:           8
        .value_kind:     by_value
      - .offset:         208
        .size:           4
        .value_kind:     hidden_block_count_x
      - .offset:         212
        .size:           4
        .value_kind:     hidden_block_count_y
      - .offset:         216
        .size:           4
        .value_kind:     hidden_block_count_z
      - .offset:         220
        .size:           2
        .value_kind:     hidden_group_size_x
      - .offset:         222
        .size:           2
        .value_kind:     hidden_group_size_y
      - .offset:         224
        .size:           2
        .value_kind:     hidden_group_size_z
      - .offset:         226
        .size:           2
        .value_kind:     hidden_remainder_x
      - .offset:         228
        .size:           2
        .value_kind:     hidden_remainder_y
      - .offset:         230
        .size:           2
        .value_kind:     hidden_remainder_z
      - .offset:         248
        .size:           8
        .value_kind:     hidden_global_offset_x
      - .offset:         256
        .size:           8
        .value_kind:     hidden_global_offset_y
      - .offset:         264
        .size:           8
        .value_kind:     hidden_global_offset_z
      - .offset:         272
        .size:           2
        .value_kind:     hidden_grid_dims
      - .offset:         288
        .size:           8
        .value_kind:     hidden_hostcall_buffer
    .group_segment_fixed_size: 0
    .kernarg_segment_align: 8
    .kernarg_segment_size: 464
    .language:       OpenCL C
    .language_version:
      - 2
      - 0
    .max_flat_workgroup_size: 128
    .name:           _ZL15flash_attn_tileILi64ELi64ELi4ELi8ELb1EEvPKcS1_S1_S1_S1_PKiPfP15HIP_vector_typeIfLj2EEffffjfiS5_IjLj3EEiiiiiiiiiiiliiliiiiil
    .private_segment_fixed_size: 16
    .sgpr_count:     36
    .sgpr_spill_count: 0
    .symbol:         _ZL15flash_attn_tileILi64ELi64ELi4ELi8ELb1EEvPKcS1_S1_S1_S1_PKiPfP15HIP_vector_typeIfLj2EEffffjfiS5_IjLj3EEiiiiiiiiiiiliiliiiiil.kd
    .uniform_work_group_size: 1
    .uses_dynamic_stack: false
    .vgpr_count:     37
    .vgpr_spill_count: 0
    .wavefront_size: 32
    .workgroup_processor_mode: 1
  - .args:
      - .address_space:  global
        .offset:         0
        .size:           8
        .value_kind:     global_buffer
      - .address_space:  global
        .offset:         8
        .size:           8
        .value_kind:     global_buffer
      - .address_space:  global
        .offset:         16
        .size:           8
        .value_kind:     global_buffer
      - .address_space:  global
        .offset:         24
        .size:           8
        .value_kind:     global_buffer
      - .address_space:  global
        .offset:         32
        .size:           8
        .value_kind:     global_buffer
      - .address_space:  global
        .offset:         40
        .size:           8
        .value_kind:     global_buffer
      - .address_space:  global
        .offset:         48
        .size:           8
        .value_kind:     global_buffer
      - .address_space:  global
        .offset:         56
        .size:           8
        .value_kind:     global_buffer
      - .offset:         64
        .size:           4
        .value_kind:     by_value
      - .offset:         68
        .size:           4
        .value_kind:     by_value
      - .offset:         72
        .size:           4
        .value_kind:     by_value
      - .offset:         76
        .size:           4
        .value_kind:     by_value
      - .offset:         80
        .size:           4
        .value_kind:     by_value
      - .offset:         84
        .size:           4
        .value_kind:     by_value
      - .offset:         88
        .size:           4
        .value_kind:     by_value
      - .offset:         92
        .size:           12
        .value_kind:     by_value
      - .offset:         104
        .size:           4
        .value_kind:     by_value
      - .offset:         108
        .size:           4
        .value_kind:     by_value
      - .offset:         112
        .size:           4
        .value_kind:     by_value
      - .offset:         116
        .size:           4
        .value_kind:     by_value
      - .offset:         120
        .size:           4
        .value_kind:     by_value
      - .offset:         124
        .size:           4
        .value_kind:     by_value
      - .offset:         128
        .size:           4
        .value_kind:     by_value
      - .offset:         132
        .size:           4
        .value_kind:     by_value
      - .offset:         136
        .size:           4
        .value_kind:     by_value
      - .offset:         140
        .size:           4
        .value_kind:     by_value
      - .offset:         144
        .size:           4
        .value_kind:     by_value
      - .offset:         152
        .size:           8
        .value_kind:     by_value
      - .offset:         160
        .size:           4
        .value_kind:     by_value
      - .offset:         164
        .size:           4
        .value_kind:     by_value
      - .offset:         168
        .size:           8
        .value_kind:     by_value
      - .offset:         176
        .size:           4
        .value_kind:     by_value
      - .offset:         180
        .size:           4
        .value_kind:     by_value
      - .offset:         184
        .size:           4
        .value_kind:     by_value
      - .offset:         188
        .size:           4
        .value_kind:     by_value
      - .offset:         192
        .size:           4
        .value_kind:     by_value
      - .offset:         200
        .size:           8
        .value_kind:     by_value
      - .offset:         208
        .size:           4
        .value_kind:     hidden_block_count_x
      - .offset:         212
        .size:           4
        .value_kind:     hidden_block_count_y
      - .offset:         216
        .size:           4
        .value_kind:     hidden_block_count_z
      - .offset:         220
        .size:           2
        .value_kind:     hidden_group_size_x
      - .offset:         222
        .size:           2
        .value_kind:     hidden_group_size_y
      - .offset:         224
        .size:           2
        .value_kind:     hidden_group_size_z
      - .offset:         226
        .size:           2
        .value_kind:     hidden_remainder_x
      - .offset:         228
        .size:           2
        .value_kind:     hidden_remainder_y
      - .offset:         230
        .size:           2
        .value_kind:     hidden_remainder_z
      - .offset:         248
        .size:           8
        .value_kind:     hidden_global_offset_x
      - .offset:         256
        .size:           8
        .value_kind:     hidden_global_offset_y
      - .offset:         264
        .size:           8
        .value_kind:     hidden_global_offset_z
      - .offset:         272
        .size:           2
        .value_kind:     hidden_grid_dims
      - .offset:         288
        .size:           8
        .value_kind:     hidden_hostcall_buffer
    .group_segment_fixed_size: 0
    .kernarg_segment_align: 8
    .kernarg_segment_size: 464
    .language:       OpenCL C
    .language_version:
      - 2
      - 0
    .max_flat_workgroup_size: 128
    .name:           _ZL15flash_attn_tileILi64ELi64ELi2ELi8ELb1EEvPKcS1_S1_S1_S1_PKiPfP15HIP_vector_typeIfLj2EEffffjfiS5_IjLj3EEiiiiiiiiiiiliiliiiiil
    .private_segment_fixed_size: 16
    .sgpr_count:     36
    .sgpr_spill_count: 0
    .symbol:         _ZL15flash_attn_tileILi64ELi64ELi2ELi8ELb1EEvPKcS1_S1_S1_S1_PKiPfP15HIP_vector_typeIfLj2EEffffjfiS5_IjLj3EEiiiiiiiiiiiliiliiiiil.kd
    .uniform_work_group_size: 1
    .uses_dynamic_stack: false
    .vgpr_count:     37
    .vgpr_spill_count: 0
    .wavefront_size: 32
    .workgroup_processor_mode: 1
  - .args:
      - .address_space:  global
        .offset:         0
        .size:           8
        .value_kind:     global_buffer
      - .address_space:  global
        .offset:         8
        .size:           8
        .value_kind:     global_buffer
      - .address_space:  global
        .offset:         16
        .size:           8
        .value_kind:     global_buffer
      - .address_space:  global
        .offset:         24
        .size:           8
        .value_kind:     global_buffer
      - .address_space:  global
        .offset:         32
        .size:           8
        .value_kind:     global_buffer
      - .address_space:  global
        .offset:         40
        .size:           8
        .value_kind:     global_buffer
      - .address_space:  global
        .offset:         48
        .size:           8
        .value_kind:     global_buffer
      - .address_space:  global
        .offset:         56
        .size:           8
        .value_kind:     global_buffer
      - .offset:         64
        .size:           4
        .value_kind:     by_value
      - .offset:         68
        .size:           4
        .value_kind:     by_value
      - .offset:         72
        .size:           4
        .value_kind:     by_value
      - .offset:         76
        .size:           4
        .value_kind:     by_value
      - .offset:         80
        .size:           4
        .value_kind:     by_value
      - .offset:         84
        .size:           4
        .value_kind:     by_value
      - .offset:         88
        .size:           4
        .value_kind:     by_value
      - .offset:         92
        .size:           12
        .value_kind:     by_value
      - .offset:         104
        .size:           4
        .value_kind:     by_value
      - .offset:         108
        .size:           4
        .value_kind:     by_value
      - .offset:         112
        .size:           4
        .value_kind:     by_value
      - .offset:         116
        .size:           4
        .value_kind:     by_value
      - .offset:         120
        .size:           4
        .value_kind:     by_value
      - .offset:         124
        .size:           4
        .value_kind:     by_value
      - .offset:         128
        .size:           4
        .value_kind:     by_value
      - .offset:         132
        .size:           4
        .value_kind:     by_value
      - .offset:         136
        .size:           4
        .value_kind:     by_value
      - .offset:         140
        .size:           4
        .value_kind:     by_value
      - .offset:         144
        .size:           4
        .value_kind:     by_value
      - .offset:         152
        .size:           8
        .value_kind:     by_value
      - .offset:         160
        .size:           4
        .value_kind:     by_value
      - .offset:         164
        .size:           4
        .value_kind:     by_value
      - .offset:         168
        .size:           8
        .value_kind:     by_value
      - .offset:         176
        .size:           4
        .value_kind:     by_value
      - .offset:         180
        .size:           4
        .value_kind:     by_value
      - .offset:         184
        .size:           4
        .value_kind:     by_value
      - .offset:         188
        .size:           4
        .value_kind:     by_value
      - .offset:         192
        .size:           4
        .value_kind:     by_value
      - .offset:         200
        .size:           8
        .value_kind:     by_value
      - .offset:         208
        .size:           4
        .value_kind:     hidden_block_count_x
      - .offset:         212
        .size:           4
        .value_kind:     hidden_block_count_y
      - .offset:         216
        .size:           4
        .value_kind:     hidden_block_count_z
      - .offset:         220
        .size:           2
        .value_kind:     hidden_group_size_x
      - .offset:         222
        .size:           2
        .value_kind:     hidden_group_size_y
      - .offset:         224
        .size:           2
        .value_kind:     hidden_group_size_z
      - .offset:         226
        .size:           2
        .value_kind:     hidden_remainder_x
      - .offset:         228
        .size:           2
        .value_kind:     hidden_remainder_y
      - .offset:         230
        .size:           2
        .value_kind:     hidden_remainder_z
      - .offset:         248
        .size:           8
        .value_kind:     hidden_global_offset_x
      - .offset:         256
        .size:           8
        .value_kind:     hidden_global_offset_y
      - .offset:         264
        .size:           8
        .value_kind:     hidden_global_offset_z
      - .offset:         272
        .size:           2
        .value_kind:     hidden_grid_dims
      - .offset:         288
        .size:           8
        .value_kind:     hidden_hostcall_buffer
    .group_segment_fixed_size: 0
    .kernarg_segment_align: 8
    .kernarg_segment_size: 464
    .language:       OpenCL C
    .language_version:
      - 2
      - 0
    .max_flat_workgroup_size: 128
    .name:           _ZL15flash_attn_tileILi64ELi64ELi1ELi8ELb1EEvPKcS1_S1_S1_S1_PKiPfP15HIP_vector_typeIfLj2EEffffjfiS5_IjLj3EEiiiiiiiiiiiliiliiiiil
    .private_segment_fixed_size: 16
    .sgpr_count:     36
    .sgpr_spill_count: 0
    .symbol:         _ZL15flash_attn_tileILi64ELi64ELi1ELi8ELb1EEvPKcS1_S1_S1_S1_PKiPfP15HIP_vector_typeIfLj2EEffffjfiS5_IjLj3EEiiiiiiiiiiiliiliiiiil.kd
    .uniform_work_group_size: 1
    .uses_dynamic_stack: false
    .vgpr_count:     37
    .vgpr_spill_count: 0
    .wavefront_size: 32
    .workgroup_processor_mode: 1
  - .args:
      - .address_space:  global
        .offset:         0
        .size:           8
        .value_kind:     global_buffer
      - .address_space:  global
        .offset:         8
        .size:           8
        .value_kind:     global_buffer
      - .address_space:  global
        .offset:         16
        .size:           8
        .value_kind:     global_buffer
      - .address_space:  global
        .offset:         24
        .size:           8
        .value_kind:     global_buffer
      - .address_space:  global
        .offset:         32
        .size:           8
        .value_kind:     global_buffer
      - .address_space:  global
        .offset:         40
        .size:           8
        .value_kind:     global_buffer
      - .address_space:  global
        .offset:         48
        .size:           8
        .value_kind:     global_buffer
      - .address_space:  global
        .offset:         56
        .size:           8
        .value_kind:     global_buffer
      - .offset:         64
        .size:           4
        .value_kind:     by_value
      - .offset:         68
        .size:           4
        .value_kind:     by_value
      - .offset:         72
        .size:           4
        .value_kind:     by_value
      - .offset:         76
        .size:           4
        .value_kind:     by_value
      - .offset:         80
        .size:           4
        .value_kind:     by_value
      - .offset:         84
        .size:           4
        .value_kind:     by_value
      - .offset:         88
        .size:           4
        .value_kind:     by_value
      - .offset:         92
        .size:           12
        .value_kind:     by_value
      - .offset:         104
        .size:           4
        .value_kind:     by_value
      - .offset:         108
        .size:           4
        .value_kind:     by_value
      - .offset:         112
        .size:           4
        .value_kind:     by_value
      - .offset:         116
        .size:           4
        .value_kind:     by_value
      - .offset:         120
        .size:           4
        .value_kind:     by_value
      - .offset:         124
        .size:           4
        .value_kind:     by_value
      - .offset:         128
        .size:           4
        .value_kind:     by_value
      - .offset:         132
        .size:           4
        .value_kind:     by_value
      - .offset:         136
        .size:           4
        .value_kind:     by_value
      - .offset:         140
        .size:           4
        .value_kind:     by_value
      - .offset:         144
        .size:           4
        .value_kind:     by_value
      - .offset:         152
        .size:           8
        .value_kind:     by_value
      - .offset:         160
        .size:           4
        .value_kind:     by_value
      - .offset:         164
        .size:           4
        .value_kind:     by_value
      - .offset:         168
        .size:           8
        .value_kind:     by_value
      - .offset:         176
        .size:           4
        .value_kind:     by_value
      - .offset:         180
        .size:           4
        .value_kind:     by_value
      - .offset:         184
        .size:           4
        .value_kind:     by_value
      - .offset:         188
        .size:           4
        .value_kind:     by_value
      - .offset:         192
        .size:           4
        .value_kind:     by_value
      - .offset:         200
        .size:           8
        .value_kind:     by_value
      - .offset:         208
        .size:           4
        .value_kind:     hidden_block_count_x
      - .offset:         212
        .size:           4
        .value_kind:     hidden_block_count_y
      - .offset:         216
        .size:           4
        .value_kind:     hidden_block_count_z
      - .offset:         220
        .size:           2
        .value_kind:     hidden_group_size_x
      - .offset:         222
        .size:           2
        .value_kind:     hidden_group_size_y
      - .offset:         224
        .size:           2
        .value_kind:     hidden_group_size_z
      - .offset:         226
        .size:           2
        .value_kind:     hidden_remainder_x
      - .offset:         228
        .size:           2
        .value_kind:     hidden_remainder_y
      - .offset:         230
        .size:           2
        .value_kind:     hidden_remainder_z
      - .offset:         248
        .size:           8
        .value_kind:     hidden_global_offset_x
      - .offset:         256
        .size:           8
        .value_kind:     hidden_global_offset_y
      - .offset:         264
        .size:           8
        .value_kind:     hidden_global_offset_z
      - .offset:         272
        .size:           2
        .value_kind:     hidden_grid_dims
      - .offset:         288
        .size:           8
        .value_kind:     hidden_hostcall_buffer
    .group_segment_fixed_size: 0
    .kernarg_segment_align: 8
    .kernarg_segment_size: 464
    .language:       OpenCL C
    .language_version:
      - 2
      - 0
    .max_flat_workgroup_size: 128
    .name:           _ZL15flash_attn_tileILi64ELi64ELi16ELi4ELb1EEvPKcS1_S1_S1_S1_PKiPfP15HIP_vector_typeIfLj2EEffffjfiS5_IjLj3EEiiiiiiiiiiiliiliiiiil
    .private_segment_fixed_size: 16
    .sgpr_count:     36
    .sgpr_spill_count: 0
    .symbol:         _ZL15flash_attn_tileILi64ELi64ELi16ELi4ELb1EEvPKcS1_S1_S1_S1_PKiPfP15HIP_vector_typeIfLj2EEffffjfiS5_IjLj3EEiiiiiiiiiiiliiliiiiil.kd
    .uniform_work_group_size: 1
    .uses_dynamic_stack: false
    .vgpr_count:     37
    .vgpr_spill_count: 0
    .wavefront_size: 32
    .workgroup_processor_mode: 1
  - .args:
      - .address_space:  global
        .offset:         0
        .size:           8
        .value_kind:     global_buffer
      - .address_space:  global
        .offset:         8
        .size:           8
        .value_kind:     global_buffer
      - .address_space:  global
        .offset:         16
        .size:           8
        .value_kind:     global_buffer
      - .address_space:  global
        .offset:         24
        .size:           8
        .value_kind:     global_buffer
      - .address_space:  global
        .offset:         32
        .size:           8
        .value_kind:     global_buffer
      - .address_space:  global
        .offset:         40
        .size:           8
        .value_kind:     global_buffer
      - .address_space:  global
        .offset:         48
        .size:           8
        .value_kind:     global_buffer
      - .address_space:  global
        .offset:         56
        .size:           8
        .value_kind:     global_buffer
      - .offset:         64
        .size:           4
        .value_kind:     by_value
      - .offset:         68
        .size:           4
        .value_kind:     by_value
      - .offset:         72
        .size:           4
        .value_kind:     by_value
      - .offset:         76
        .size:           4
        .value_kind:     by_value
      - .offset:         80
        .size:           4
        .value_kind:     by_value
      - .offset:         84
        .size:           4
        .value_kind:     by_value
      - .offset:         88
        .size:           4
        .value_kind:     by_value
      - .offset:         92
        .size:           12
        .value_kind:     by_value
      - .offset:         104
        .size:           4
        .value_kind:     by_value
      - .offset:         108
        .size:           4
        .value_kind:     by_value
      - .offset:         112
        .size:           4
        .value_kind:     by_value
      - .offset:         116
        .size:           4
        .value_kind:     by_value
      - .offset:         120
        .size:           4
        .value_kind:     by_value
      - .offset:         124
        .size:           4
        .value_kind:     by_value
      - .offset:         128
        .size:           4
        .value_kind:     by_value
      - .offset:         132
        .size:           4
        .value_kind:     by_value
      - .offset:         136
        .size:           4
        .value_kind:     by_value
      - .offset:         140
        .size:           4
        .value_kind:     by_value
      - .offset:         144
        .size:           4
        .value_kind:     by_value
      - .offset:         152
        .size:           8
        .value_kind:     by_value
      - .offset:         160
        .size:           4
        .value_kind:     by_value
      - .offset:         164
        .size:           4
        .value_kind:     by_value
      - .offset:         168
        .size:           8
        .value_kind:     by_value
      - .offset:         176
        .size:           4
        .value_kind:     by_value
      - .offset:         180
        .size:           4
        .value_kind:     by_value
      - .offset:         184
        .size:           4
        .value_kind:     by_value
      - .offset:         188
        .size:           4
        .value_kind:     by_value
      - .offset:         192
        .size:           4
        .value_kind:     by_value
      - .offset:         200
        .size:           8
        .value_kind:     by_value
      - .offset:         208
        .size:           4
        .value_kind:     hidden_block_count_x
      - .offset:         212
        .size:           4
        .value_kind:     hidden_block_count_y
      - .offset:         216
        .size:           4
        .value_kind:     hidden_block_count_z
      - .offset:         220
        .size:           2
        .value_kind:     hidden_group_size_x
      - .offset:         222
        .size:           2
        .value_kind:     hidden_group_size_y
      - .offset:         224
        .size:           2
        .value_kind:     hidden_group_size_z
      - .offset:         226
        .size:           2
        .value_kind:     hidden_remainder_x
      - .offset:         228
        .size:           2
        .value_kind:     hidden_remainder_y
      - .offset:         230
        .size:           2
        .value_kind:     hidden_remainder_z
      - .offset:         248
        .size:           8
        .value_kind:     hidden_global_offset_x
      - .offset:         256
        .size:           8
        .value_kind:     hidden_global_offset_y
      - .offset:         264
        .size:           8
        .value_kind:     hidden_global_offset_z
      - .offset:         272
        .size:           2
        .value_kind:     hidden_grid_dims
      - .offset:         288
        .size:           8
        .value_kind:     hidden_hostcall_buffer
    .group_segment_fixed_size: 0
    .kernarg_segment_align: 8
    .kernarg_segment_size: 464
    .language:       OpenCL C
    .language_version:
      - 2
      - 0
    .max_flat_workgroup_size: 128
    .name:           _ZL15flash_attn_tileILi64ELi64ELi8ELi4ELb1EEvPKcS1_S1_S1_S1_PKiPfP15HIP_vector_typeIfLj2EEffffjfiS5_IjLj3EEiiiiiiiiiiiliiliiiiil
    .private_segment_fixed_size: 16
    .sgpr_count:     36
    .sgpr_spill_count: 0
    .symbol:         _ZL15flash_attn_tileILi64ELi64ELi8ELi4ELb1EEvPKcS1_S1_S1_S1_PKiPfP15HIP_vector_typeIfLj2EEffffjfiS5_IjLj3EEiiiiiiiiiiiliiliiiiil.kd
    .uniform_work_group_size: 1
    .uses_dynamic_stack: false
    .vgpr_count:     37
    .vgpr_spill_count: 0
    .wavefront_size: 32
    .workgroup_processor_mode: 1
  - .args:
      - .address_space:  global
        .offset:         0
        .size:           8
        .value_kind:     global_buffer
      - .address_space:  global
        .offset:         8
        .size:           8
        .value_kind:     global_buffer
      - .address_space:  global
        .offset:         16
        .size:           8
        .value_kind:     global_buffer
      - .address_space:  global
        .offset:         24
        .size:           8
        .value_kind:     global_buffer
      - .address_space:  global
        .offset:         32
        .size:           8
        .value_kind:     global_buffer
      - .address_space:  global
        .offset:         40
        .size:           8
        .value_kind:     global_buffer
      - .address_space:  global
        .offset:         48
        .size:           8
        .value_kind:     global_buffer
      - .address_space:  global
        .offset:         56
        .size:           8
        .value_kind:     global_buffer
      - .offset:         64
        .size:           4
        .value_kind:     by_value
      - .offset:         68
        .size:           4
        .value_kind:     by_value
      - .offset:         72
        .size:           4
        .value_kind:     by_value
      - .offset:         76
        .size:           4
        .value_kind:     by_value
      - .offset:         80
        .size:           4
        .value_kind:     by_value
      - .offset:         84
        .size:           4
        .value_kind:     by_value
      - .offset:         88
        .size:           4
        .value_kind:     by_value
      - .offset:         92
        .size:           12
        .value_kind:     by_value
      - .offset:         104
        .size:           4
        .value_kind:     by_value
      - .offset:         108
        .size:           4
        .value_kind:     by_value
      - .offset:         112
        .size:           4
        .value_kind:     by_value
      - .offset:         116
        .size:           4
        .value_kind:     by_value
      - .offset:         120
        .size:           4
        .value_kind:     by_value
      - .offset:         124
        .size:           4
        .value_kind:     by_value
      - .offset:         128
        .size:           4
        .value_kind:     by_value
      - .offset:         132
        .size:           4
        .value_kind:     by_value
      - .offset:         136
        .size:           4
        .value_kind:     by_value
      - .offset:         140
        .size:           4
        .value_kind:     by_value
      - .offset:         144
        .size:           4
        .value_kind:     by_value
      - .offset:         152
        .size:           8
        .value_kind:     by_value
      - .offset:         160
        .size:           4
        .value_kind:     by_value
      - .offset:         164
        .size:           4
        .value_kind:     by_value
      - .offset:         168
        .size:           8
        .value_kind:     by_value
      - .offset:         176
        .size:           4
        .value_kind:     by_value
      - .offset:         180
        .size:           4
        .value_kind:     by_value
      - .offset:         184
        .size:           4
        .value_kind:     by_value
      - .offset:         188
        .size:           4
        .value_kind:     by_value
      - .offset:         192
        .size:           4
        .value_kind:     by_value
      - .offset:         200
        .size:           8
        .value_kind:     by_value
      - .offset:         208
        .size:           4
        .value_kind:     hidden_block_count_x
      - .offset:         212
        .size:           4
        .value_kind:     hidden_block_count_y
      - .offset:         216
        .size:           4
        .value_kind:     hidden_block_count_z
      - .offset:         220
        .size:           2
        .value_kind:     hidden_group_size_x
      - .offset:         222
        .size:           2
        .value_kind:     hidden_group_size_y
      - .offset:         224
        .size:           2
        .value_kind:     hidden_group_size_z
      - .offset:         226
        .size:           2
        .value_kind:     hidden_remainder_x
      - .offset:         228
        .size:           2
        .value_kind:     hidden_remainder_y
      - .offset:         230
        .size:           2
        .value_kind:     hidden_remainder_z
      - .offset:         248
        .size:           8
        .value_kind:     hidden_global_offset_x
      - .offset:         256
        .size:           8
        .value_kind:     hidden_global_offset_y
      - .offset:         264
        .size:           8
        .value_kind:     hidden_global_offset_z
      - .offset:         272
        .size:           2
        .value_kind:     hidden_grid_dims
      - .offset:         288
        .size:           8
        .value_kind:     hidden_hostcall_buffer
    .group_segment_fixed_size: 0
    .kernarg_segment_align: 8
    .kernarg_segment_size: 464
    .language:       OpenCL C
    .language_version:
      - 2
      - 0
    .max_flat_workgroup_size: 128
    .name:           _ZL15flash_attn_tileILi64ELi64ELi4ELi4ELb1EEvPKcS1_S1_S1_S1_PKiPfP15HIP_vector_typeIfLj2EEffffjfiS5_IjLj3EEiiiiiiiiiiiliiliiiiil
    .private_segment_fixed_size: 16
    .sgpr_count:     36
    .sgpr_spill_count: 0
    .symbol:         _ZL15flash_attn_tileILi64ELi64ELi4ELi4ELb1EEvPKcS1_S1_S1_S1_PKiPfP15HIP_vector_typeIfLj2EEffffjfiS5_IjLj3EEiiiiiiiiiiiliiliiiiil.kd
    .uniform_work_group_size: 1
    .uses_dynamic_stack: false
    .vgpr_count:     37
    .vgpr_spill_count: 0
    .wavefront_size: 32
    .workgroup_processor_mode: 1
  - .args:
      - .address_space:  global
        .offset:         0
        .size:           8
        .value_kind:     global_buffer
      - .address_space:  global
        .offset:         8
        .size:           8
        .value_kind:     global_buffer
      - .address_space:  global
        .offset:         16
        .size:           8
        .value_kind:     global_buffer
      - .address_space:  global
        .offset:         24
        .size:           8
        .value_kind:     global_buffer
      - .address_space:  global
        .offset:         32
        .size:           8
        .value_kind:     global_buffer
      - .address_space:  global
        .offset:         40
        .size:           8
        .value_kind:     global_buffer
      - .address_space:  global
        .offset:         48
        .size:           8
        .value_kind:     global_buffer
      - .address_space:  global
        .offset:         56
        .size:           8
        .value_kind:     global_buffer
      - .offset:         64
        .size:           4
        .value_kind:     by_value
      - .offset:         68
        .size:           4
        .value_kind:     by_value
      - .offset:         72
        .size:           4
        .value_kind:     by_value
      - .offset:         76
        .size:           4
        .value_kind:     by_value
      - .offset:         80
        .size:           4
        .value_kind:     by_value
      - .offset:         84
        .size:           4
        .value_kind:     by_value
      - .offset:         88
        .size:           4
        .value_kind:     by_value
      - .offset:         92
        .size:           12
        .value_kind:     by_value
      - .offset:         104
        .size:           4
        .value_kind:     by_value
      - .offset:         108
        .size:           4
        .value_kind:     by_value
      - .offset:         112
        .size:           4
        .value_kind:     by_value
      - .offset:         116
        .size:           4
        .value_kind:     by_value
      - .offset:         120
        .size:           4
        .value_kind:     by_value
      - .offset:         124
        .size:           4
        .value_kind:     by_value
      - .offset:         128
        .size:           4
        .value_kind:     by_value
      - .offset:         132
        .size:           4
        .value_kind:     by_value
      - .offset:         136
        .size:           4
        .value_kind:     by_value
      - .offset:         140
        .size:           4
        .value_kind:     by_value
      - .offset:         144
        .size:           4
        .value_kind:     by_value
      - .offset:         152
        .size:           8
        .value_kind:     by_value
      - .offset:         160
        .size:           4
        .value_kind:     by_value
      - .offset:         164
        .size:           4
        .value_kind:     by_value
      - .offset:         168
        .size:           8
        .value_kind:     by_value
      - .offset:         176
        .size:           4
        .value_kind:     by_value
      - .offset:         180
        .size:           4
        .value_kind:     by_value
      - .offset:         184
        .size:           4
        .value_kind:     by_value
      - .offset:         188
        .size:           4
        .value_kind:     by_value
      - .offset:         192
        .size:           4
        .value_kind:     by_value
      - .offset:         200
        .size:           8
        .value_kind:     by_value
      - .offset:         208
        .size:           4
        .value_kind:     hidden_block_count_x
      - .offset:         212
        .size:           4
        .value_kind:     hidden_block_count_y
      - .offset:         216
        .size:           4
        .value_kind:     hidden_block_count_z
      - .offset:         220
        .size:           2
        .value_kind:     hidden_group_size_x
      - .offset:         222
        .size:           2
        .value_kind:     hidden_group_size_y
      - .offset:         224
        .size:           2
        .value_kind:     hidden_group_size_z
      - .offset:         226
        .size:           2
        .value_kind:     hidden_remainder_x
      - .offset:         228
        .size:           2
        .value_kind:     hidden_remainder_y
      - .offset:         230
        .size:           2
        .value_kind:     hidden_remainder_z
      - .offset:         248
        .size:           8
        .value_kind:     hidden_global_offset_x
      - .offset:         256
        .size:           8
        .value_kind:     hidden_global_offset_y
      - .offset:         264
        .size:           8
        .value_kind:     hidden_global_offset_z
      - .offset:         272
        .size:           2
        .value_kind:     hidden_grid_dims
      - .offset:         288
        .size:           8
        .value_kind:     hidden_hostcall_buffer
    .group_segment_fixed_size: 0
    .kernarg_segment_align: 8
    .kernarg_segment_size: 464
    .language:       OpenCL C
    .language_version:
      - 2
      - 0
    .max_flat_workgroup_size: 128
    .name:           _ZL15flash_attn_tileILi64ELi64ELi2ELi4ELb1EEvPKcS1_S1_S1_S1_PKiPfP15HIP_vector_typeIfLj2EEffffjfiS5_IjLj3EEiiiiiiiiiiiliiliiiiil
    .private_segment_fixed_size: 16
    .sgpr_count:     36
    .sgpr_spill_count: 0
    .symbol:         _ZL15flash_attn_tileILi64ELi64ELi2ELi4ELb1EEvPKcS1_S1_S1_S1_PKiPfP15HIP_vector_typeIfLj2EEffffjfiS5_IjLj3EEiiiiiiiiiiiliiliiiiil.kd
    .uniform_work_group_size: 1
    .uses_dynamic_stack: false
    .vgpr_count:     37
    .vgpr_spill_count: 0
    .wavefront_size: 32
    .workgroup_processor_mode: 1
  - .args:
      - .address_space:  global
        .offset:         0
        .size:           8
        .value_kind:     global_buffer
      - .address_space:  global
        .offset:         8
        .size:           8
        .value_kind:     global_buffer
      - .address_space:  global
        .offset:         16
        .size:           8
        .value_kind:     global_buffer
      - .address_space:  global
        .offset:         24
        .size:           8
        .value_kind:     global_buffer
      - .address_space:  global
        .offset:         32
        .size:           8
        .value_kind:     global_buffer
      - .address_space:  global
        .offset:         40
        .size:           8
        .value_kind:     global_buffer
      - .address_space:  global
        .offset:         48
        .size:           8
        .value_kind:     global_buffer
      - .address_space:  global
        .offset:         56
        .size:           8
        .value_kind:     global_buffer
      - .offset:         64
        .size:           4
        .value_kind:     by_value
      - .offset:         68
        .size:           4
        .value_kind:     by_value
      - .offset:         72
        .size:           4
        .value_kind:     by_value
      - .offset:         76
        .size:           4
        .value_kind:     by_value
      - .offset:         80
        .size:           4
        .value_kind:     by_value
      - .offset:         84
        .size:           4
        .value_kind:     by_value
      - .offset:         88
        .size:           4
        .value_kind:     by_value
      - .offset:         92
        .size:           12
        .value_kind:     by_value
      - .offset:         104
        .size:           4
        .value_kind:     by_value
      - .offset:         108
        .size:           4
        .value_kind:     by_value
      - .offset:         112
        .size:           4
        .value_kind:     by_value
      - .offset:         116
        .size:           4
        .value_kind:     by_value
      - .offset:         120
        .size:           4
        .value_kind:     by_value
      - .offset:         124
        .size:           4
        .value_kind:     by_value
      - .offset:         128
        .size:           4
        .value_kind:     by_value
      - .offset:         132
        .size:           4
        .value_kind:     by_value
      - .offset:         136
        .size:           4
        .value_kind:     by_value
      - .offset:         140
        .size:           4
        .value_kind:     by_value
      - .offset:         144
        .size:           4
        .value_kind:     by_value
      - .offset:         152
        .size:           8
        .value_kind:     by_value
      - .offset:         160
        .size:           4
        .value_kind:     by_value
      - .offset:         164
        .size:           4
        .value_kind:     by_value
      - .offset:         168
        .size:           8
        .value_kind:     by_value
      - .offset:         176
        .size:           4
        .value_kind:     by_value
      - .offset:         180
        .size:           4
        .value_kind:     by_value
      - .offset:         184
        .size:           4
        .value_kind:     by_value
      - .offset:         188
        .size:           4
        .value_kind:     by_value
      - .offset:         192
        .size:           4
        .value_kind:     by_value
      - .offset:         200
        .size:           8
        .value_kind:     by_value
      - .offset:         208
        .size:           4
        .value_kind:     hidden_block_count_x
      - .offset:         212
        .size:           4
        .value_kind:     hidden_block_count_y
      - .offset:         216
        .size:           4
        .value_kind:     hidden_block_count_z
      - .offset:         220
        .size:           2
        .value_kind:     hidden_group_size_x
      - .offset:         222
        .size:           2
        .value_kind:     hidden_group_size_y
      - .offset:         224
        .size:           2
        .value_kind:     hidden_group_size_z
      - .offset:         226
        .size:           2
        .value_kind:     hidden_remainder_x
      - .offset:         228
        .size:           2
        .value_kind:     hidden_remainder_y
      - .offset:         230
        .size:           2
        .value_kind:     hidden_remainder_z
      - .offset:         248
        .size:           8
        .value_kind:     hidden_global_offset_x
      - .offset:         256
        .size:           8
        .value_kind:     hidden_global_offset_y
      - .offset:         264
        .size:           8
        .value_kind:     hidden_global_offset_z
      - .offset:         272
        .size:           2
        .value_kind:     hidden_grid_dims
      - .offset:         288
        .size:           8
        .value_kind:     hidden_hostcall_buffer
    .group_segment_fixed_size: 0
    .kernarg_segment_align: 8
    .kernarg_segment_size: 464
    .language:       OpenCL C
    .language_version:
      - 2
      - 0
    .max_flat_workgroup_size: 64
    .name:           _ZL15flash_attn_tileILi64ELi64ELi1ELi4ELb1EEvPKcS1_S1_S1_S1_PKiPfP15HIP_vector_typeIfLj2EEffffjfiS5_IjLj3EEiiiiiiiiiiiliiliiiiil
    .private_segment_fixed_size: 16
    .sgpr_count:     36
    .sgpr_spill_count: 0
    .symbol:         _ZL15flash_attn_tileILi64ELi64ELi1ELi4ELb1EEvPKcS1_S1_S1_S1_PKiPfP15HIP_vector_typeIfLj2EEffffjfiS5_IjLj3EEiiiiiiiiiiiliiliiiiil.kd
    .uniform_work_group_size: 1
    .uses_dynamic_stack: false
    .vgpr_count:     37
    .vgpr_spill_count: 0
    .wavefront_size: 32
    .workgroup_processor_mode: 1
  - .args:
      - .address_space:  global
        .offset:         0
        .size:           8
        .value_kind:     global_buffer
      - .address_space:  global
        .offset:         8
        .size:           8
        .value_kind:     global_buffer
      - .address_space:  global
        .offset:         16
        .size:           8
        .value_kind:     global_buffer
      - .address_space:  global
        .offset:         24
        .size:           8
        .value_kind:     global_buffer
      - .address_space:  global
        .offset:         32
        .size:           8
        .value_kind:     global_buffer
      - .address_space:  global
        .offset:         40
        .size:           8
        .value_kind:     global_buffer
      - .address_space:  global
        .offset:         48
        .size:           8
        .value_kind:     global_buffer
      - .address_space:  global
        .offset:         56
        .size:           8
        .value_kind:     global_buffer
      - .offset:         64
        .size:           4
        .value_kind:     by_value
      - .offset:         68
        .size:           4
        .value_kind:     by_value
      - .offset:         72
        .size:           4
        .value_kind:     by_value
      - .offset:         76
        .size:           4
        .value_kind:     by_value
      - .offset:         80
        .size:           4
        .value_kind:     by_value
      - .offset:         84
        .size:           4
        .value_kind:     by_value
      - .offset:         88
        .size:           4
        .value_kind:     by_value
      - .offset:         92
        .size:           12
        .value_kind:     by_value
      - .offset:         104
        .size:           4
        .value_kind:     by_value
      - .offset:         108
        .size:           4
        .value_kind:     by_value
      - .offset:         112
        .size:           4
        .value_kind:     by_value
      - .offset:         116
        .size:           4
        .value_kind:     by_value
      - .offset:         120
        .size:           4
        .value_kind:     by_value
      - .offset:         124
        .size:           4
        .value_kind:     by_value
      - .offset:         128
        .size:           4
        .value_kind:     by_value
      - .offset:         132
        .size:           4
        .value_kind:     by_value
      - .offset:         136
        .size:           4
        .value_kind:     by_value
      - .offset:         140
        .size:           4
        .value_kind:     by_value
      - .offset:         144
        .size:           4
        .value_kind:     by_value
      - .offset:         152
        .size:           8
        .value_kind:     by_value
      - .offset:         160
        .size:           4
        .value_kind:     by_value
      - .offset:         164
        .size:           4
        .value_kind:     by_value
      - .offset:         168
        .size:           8
        .value_kind:     by_value
      - .offset:         176
        .size:           4
        .value_kind:     by_value
      - .offset:         180
        .size:           4
        .value_kind:     by_value
      - .offset:         184
        .size:           4
        .value_kind:     by_value
      - .offset:         188
        .size:           4
        .value_kind:     by_value
      - .offset:         192
        .size:           4
        .value_kind:     by_value
      - .offset:         200
        .size:           8
        .value_kind:     by_value
      - .offset:         208
        .size:           4
        .value_kind:     hidden_block_count_x
      - .offset:         212
        .size:           4
        .value_kind:     hidden_block_count_y
      - .offset:         216
        .size:           4
        .value_kind:     hidden_block_count_z
      - .offset:         220
        .size:           2
        .value_kind:     hidden_group_size_x
      - .offset:         222
        .size:           2
        .value_kind:     hidden_group_size_y
      - .offset:         224
        .size:           2
        .value_kind:     hidden_group_size_z
      - .offset:         226
        .size:           2
        .value_kind:     hidden_remainder_x
      - .offset:         228
        .size:           2
        .value_kind:     hidden_remainder_y
      - .offset:         230
        .size:           2
        .value_kind:     hidden_remainder_z
      - .offset:         248
        .size:           8
        .value_kind:     hidden_global_offset_x
      - .offset:         256
        .size:           8
        .value_kind:     hidden_global_offset_y
      - .offset:         264
        .size:           8
        .value_kind:     hidden_global_offset_z
      - .offset:         272
        .size:           2
        .value_kind:     hidden_grid_dims
      - .offset:         288
        .size:           8
        .value_kind:     hidden_hostcall_buffer
    .group_segment_fixed_size: 0
    .kernarg_segment_align: 8
    .kernarg_segment_size: 464
    .language:       OpenCL C
    .language_version:
      - 2
      - 0
    .max_flat_workgroup_size: 128
    .name:           _ZL15flash_attn_tileILi64ELi64ELi32ELi2ELb1EEvPKcS1_S1_S1_S1_PKiPfP15HIP_vector_typeIfLj2EEffffjfiS5_IjLj3EEiiiiiiiiiiiliiliiiiil
    .private_segment_fixed_size: 16
    .sgpr_count:     36
    .sgpr_spill_count: 0
    .symbol:         _ZL15flash_attn_tileILi64ELi64ELi32ELi2ELb1EEvPKcS1_S1_S1_S1_PKiPfP15HIP_vector_typeIfLj2EEffffjfiS5_IjLj3EEiiiiiiiiiiiliiliiiiil.kd
    .uniform_work_group_size: 1
    .uses_dynamic_stack: false
    .vgpr_count:     37
    .vgpr_spill_count: 0
    .wavefront_size: 32
    .workgroup_processor_mode: 1
  - .args:
      - .address_space:  global
        .offset:         0
        .size:           8
        .value_kind:     global_buffer
      - .address_space:  global
        .offset:         8
        .size:           8
        .value_kind:     global_buffer
      - .address_space:  global
        .offset:         16
        .size:           8
        .value_kind:     global_buffer
      - .address_space:  global
        .offset:         24
        .size:           8
        .value_kind:     global_buffer
      - .address_space:  global
        .offset:         32
        .size:           8
        .value_kind:     global_buffer
      - .address_space:  global
        .offset:         40
        .size:           8
        .value_kind:     global_buffer
      - .address_space:  global
        .offset:         48
        .size:           8
        .value_kind:     global_buffer
      - .address_space:  global
        .offset:         56
        .size:           8
        .value_kind:     global_buffer
      - .offset:         64
        .size:           4
        .value_kind:     by_value
      - .offset:         68
        .size:           4
        .value_kind:     by_value
      - .offset:         72
        .size:           4
        .value_kind:     by_value
      - .offset:         76
        .size:           4
        .value_kind:     by_value
      - .offset:         80
        .size:           4
        .value_kind:     by_value
      - .offset:         84
        .size:           4
        .value_kind:     by_value
      - .offset:         88
        .size:           4
        .value_kind:     by_value
      - .offset:         92
        .size:           12
        .value_kind:     by_value
      - .offset:         104
        .size:           4
        .value_kind:     by_value
      - .offset:         108
        .size:           4
        .value_kind:     by_value
      - .offset:         112
        .size:           4
        .value_kind:     by_value
      - .offset:         116
        .size:           4
        .value_kind:     by_value
      - .offset:         120
        .size:           4
        .value_kind:     by_value
      - .offset:         124
        .size:           4
        .value_kind:     by_value
      - .offset:         128
        .size:           4
        .value_kind:     by_value
      - .offset:         132
        .size:           4
        .value_kind:     by_value
      - .offset:         136
        .size:           4
        .value_kind:     by_value
      - .offset:         140
        .size:           4
        .value_kind:     by_value
      - .offset:         144
        .size:           4
        .value_kind:     by_value
      - .offset:         152
        .size:           8
        .value_kind:     by_value
      - .offset:         160
        .size:           4
        .value_kind:     by_value
      - .offset:         164
        .size:           4
        .value_kind:     by_value
      - .offset:         168
        .size:           8
        .value_kind:     by_value
      - .offset:         176
        .size:           4
        .value_kind:     by_value
      - .offset:         180
        .size:           4
        .value_kind:     by_value
      - .offset:         184
        .size:           4
        .value_kind:     by_value
      - .offset:         188
        .size:           4
        .value_kind:     by_value
      - .offset:         192
        .size:           4
        .value_kind:     by_value
      - .offset:         200
        .size:           8
        .value_kind:     by_value
      - .offset:         208
        .size:           4
        .value_kind:     hidden_block_count_x
      - .offset:         212
        .size:           4
        .value_kind:     hidden_block_count_y
      - .offset:         216
        .size:           4
        .value_kind:     hidden_block_count_z
      - .offset:         220
        .size:           2
        .value_kind:     hidden_group_size_x
      - .offset:         222
        .size:           2
        .value_kind:     hidden_group_size_y
      - .offset:         224
        .size:           2
        .value_kind:     hidden_group_size_z
      - .offset:         226
        .size:           2
        .value_kind:     hidden_remainder_x
      - .offset:         228
        .size:           2
        .value_kind:     hidden_remainder_y
      - .offset:         230
        .size:           2
        .value_kind:     hidden_remainder_z
      - .offset:         248
        .size:           8
        .value_kind:     hidden_global_offset_x
      - .offset:         256
        .size:           8
        .value_kind:     hidden_global_offset_y
      - .offset:         264
        .size:           8
        .value_kind:     hidden_global_offset_z
      - .offset:         272
        .size:           2
        .value_kind:     hidden_grid_dims
      - .offset:         288
        .size:           8
        .value_kind:     hidden_hostcall_buffer
    .group_segment_fixed_size: 0
    .kernarg_segment_align: 8
    .kernarg_segment_size: 464
    .language:       OpenCL C
    .language_version:
      - 2
      - 0
    .max_flat_workgroup_size: 128
    .name:           _ZL15flash_attn_tileILi64ELi64ELi16ELi2ELb1EEvPKcS1_S1_S1_S1_PKiPfP15HIP_vector_typeIfLj2EEffffjfiS5_IjLj3EEiiiiiiiiiiiliiliiiiil
    .private_segment_fixed_size: 16
    .sgpr_count:     36
    .sgpr_spill_count: 0
    .symbol:         _ZL15flash_attn_tileILi64ELi64ELi16ELi2ELb1EEvPKcS1_S1_S1_S1_PKiPfP15HIP_vector_typeIfLj2EEffffjfiS5_IjLj3EEiiiiiiiiiiiliiliiiiil.kd
    .uniform_work_group_size: 1
    .uses_dynamic_stack: false
    .vgpr_count:     37
    .vgpr_spill_count: 0
    .wavefront_size: 32
    .workgroup_processor_mode: 1
  - .args:
      - .address_space:  global
        .offset:         0
        .size:           8
        .value_kind:     global_buffer
      - .address_space:  global
        .offset:         8
        .size:           8
        .value_kind:     global_buffer
      - .address_space:  global
        .offset:         16
        .size:           8
        .value_kind:     global_buffer
      - .address_space:  global
        .offset:         24
        .size:           8
        .value_kind:     global_buffer
      - .address_space:  global
        .offset:         32
        .size:           8
        .value_kind:     global_buffer
      - .address_space:  global
        .offset:         40
        .size:           8
        .value_kind:     global_buffer
      - .address_space:  global
        .offset:         48
        .size:           8
        .value_kind:     global_buffer
      - .address_space:  global
        .offset:         56
        .size:           8
        .value_kind:     global_buffer
      - .offset:         64
        .size:           4
        .value_kind:     by_value
      - .offset:         68
        .size:           4
        .value_kind:     by_value
      - .offset:         72
        .size:           4
        .value_kind:     by_value
      - .offset:         76
        .size:           4
        .value_kind:     by_value
      - .offset:         80
        .size:           4
        .value_kind:     by_value
      - .offset:         84
        .size:           4
        .value_kind:     by_value
      - .offset:         88
        .size:           4
        .value_kind:     by_value
      - .offset:         92
        .size:           12
        .value_kind:     by_value
      - .offset:         104
        .size:           4
        .value_kind:     by_value
      - .offset:         108
        .size:           4
        .value_kind:     by_value
      - .offset:         112
        .size:           4
        .value_kind:     by_value
      - .offset:         116
        .size:           4
        .value_kind:     by_value
      - .offset:         120
        .size:           4
        .value_kind:     by_value
      - .offset:         124
        .size:           4
        .value_kind:     by_value
      - .offset:         128
        .size:           4
        .value_kind:     by_value
      - .offset:         132
        .size:           4
        .value_kind:     by_value
      - .offset:         136
        .size:           4
        .value_kind:     by_value
      - .offset:         140
        .size:           4
        .value_kind:     by_value
      - .offset:         144
        .size:           4
        .value_kind:     by_value
      - .offset:         152
        .size:           8
        .value_kind:     by_value
      - .offset:         160
        .size:           4
        .value_kind:     by_value
      - .offset:         164
        .size:           4
        .value_kind:     by_value
      - .offset:         168
        .size:           8
        .value_kind:     by_value
      - .offset:         176
        .size:           4
        .value_kind:     by_value
      - .offset:         180
        .size:           4
        .value_kind:     by_value
      - .offset:         184
        .size:           4
        .value_kind:     by_value
      - .offset:         188
        .size:           4
        .value_kind:     by_value
      - .offset:         192
        .size:           4
        .value_kind:     by_value
      - .offset:         200
        .size:           8
        .value_kind:     by_value
      - .offset:         208
        .size:           4
        .value_kind:     hidden_block_count_x
      - .offset:         212
        .size:           4
        .value_kind:     hidden_block_count_y
      - .offset:         216
        .size:           4
        .value_kind:     hidden_block_count_z
      - .offset:         220
        .size:           2
        .value_kind:     hidden_group_size_x
      - .offset:         222
        .size:           2
        .value_kind:     hidden_group_size_y
      - .offset:         224
        .size:           2
        .value_kind:     hidden_group_size_z
      - .offset:         226
        .size:           2
        .value_kind:     hidden_remainder_x
      - .offset:         228
        .size:           2
        .value_kind:     hidden_remainder_y
      - .offset:         230
        .size:           2
        .value_kind:     hidden_remainder_z
      - .offset:         248
        .size:           8
        .value_kind:     hidden_global_offset_x
      - .offset:         256
        .size:           8
        .value_kind:     hidden_global_offset_y
      - .offset:         264
        .size:           8
        .value_kind:     hidden_global_offset_z
      - .offset:         272
        .size:           2
        .value_kind:     hidden_grid_dims
      - .offset:         288
        .size:           8
        .value_kind:     hidden_hostcall_buffer
    .group_segment_fixed_size: 0
    .kernarg_segment_align: 8
    .kernarg_segment_size: 464
    .language:       OpenCL C
    .language_version:
      - 2
      - 0
    .max_flat_workgroup_size: 128
    .name:           _ZL15flash_attn_tileILi64ELi64ELi8ELi2ELb1EEvPKcS1_S1_S1_S1_PKiPfP15HIP_vector_typeIfLj2EEffffjfiS5_IjLj3EEiiiiiiiiiiiliiliiiiil
    .private_segment_fixed_size: 16
    .sgpr_count:     36
    .sgpr_spill_count: 0
    .symbol:         _ZL15flash_attn_tileILi64ELi64ELi8ELi2ELb1EEvPKcS1_S1_S1_S1_PKiPfP15HIP_vector_typeIfLj2EEffffjfiS5_IjLj3EEiiiiiiiiiiiliiliiiiil.kd
    .uniform_work_group_size: 1
    .uses_dynamic_stack: false
    .vgpr_count:     37
    .vgpr_spill_count: 0
    .wavefront_size: 32
    .workgroup_processor_mode: 1
  - .args:
      - .address_space:  global
        .offset:         0
        .size:           8
        .value_kind:     global_buffer
      - .address_space:  global
        .offset:         8
        .size:           8
        .value_kind:     global_buffer
      - .address_space:  global
        .offset:         16
        .size:           8
        .value_kind:     global_buffer
      - .address_space:  global
        .offset:         24
        .size:           8
        .value_kind:     global_buffer
      - .address_space:  global
        .offset:         32
        .size:           8
        .value_kind:     global_buffer
      - .address_space:  global
        .offset:         40
        .size:           8
        .value_kind:     global_buffer
      - .address_space:  global
        .offset:         48
        .size:           8
        .value_kind:     global_buffer
      - .address_space:  global
        .offset:         56
        .size:           8
        .value_kind:     global_buffer
      - .offset:         64
        .size:           4
        .value_kind:     by_value
      - .offset:         68
        .size:           4
        .value_kind:     by_value
      - .offset:         72
        .size:           4
        .value_kind:     by_value
      - .offset:         76
        .size:           4
        .value_kind:     by_value
      - .offset:         80
        .size:           4
        .value_kind:     by_value
      - .offset:         84
        .size:           4
        .value_kind:     by_value
      - .offset:         88
        .size:           4
        .value_kind:     by_value
      - .offset:         92
        .size:           12
        .value_kind:     by_value
      - .offset:         104
        .size:           4
        .value_kind:     by_value
      - .offset:         108
        .size:           4
        .value_kind:     by_value
      - .offset:         112
        .size:           4
        .value_kind:     by_value
      - .offset:         116
        .size:           4
        .value_kind:     by_value
      - .offset:         120
        .size:           4
        .value_kind:     by_value
      - .offset:         124
        .size:           4
        .value_kind:     by_value
      - .offset:         128
        .size:           4
        .value_kind:     by_value
      - .offset:         132
        .size:           4
        .value_kind:     by_value
      - .offset:         136
        .size:           4
        .value_kind:     by_value
      - .offset:         140
        .size:           4
        .value_kind:     by_value
      - .offset:         144
        .size:           4
        .value_kind:     by_value
      - .offset:         152
        .size:           8
        .value_kind:     by_value
      - .offset:         160
        .size:           4
        .value_kind:     by_value
      - .offset:         164
        .size:           4
        .value_kind:     by_value
      - .offset:         168
        .size:           8
        .value_kind:     by_value
      - .offset:         176
        .size:           4
        .value_kind:     by_value
      - .offset:         180
        .size:           4
        .value_kind:     by_value
      - .offset:         184
        .size:           4
        .value_kind:     by_value
      - .offset:         188
        .size:           4
        .value_kind:     by_value
      - .offset:         192
        .size:           4
        .value_kind:     by_value
      - .offset:         200
        .size:           8
        .value_kind:     by_value
      - .offset:         208
        .size:           4
        .value_kind:     hidden_block_count_x
      - .offset:         212
        .size:           4
        .value_kind:     hidden_block_count_y
      - .offset:         216
        .size:           4
        .value_kind:     hidden_block_count_z
      - .offset:         220
        .size:           2
        .value_kind:     hidden_group_size_x
      - .offset:         222
        .size:           2
        .value_kind:     hidden_group_size_y
      - .offset:         224
        .size:           2
        .value_kind:     hidden_group_size_z
      - .offset:         226
        .size:           2
        .value_kind:     hidden_remainder_x
      - .offset:         228
        .size:           2
        .value_kind:     hidden_remainder_y
      - .offset:         230
        .size:           2
        .value_kind:     hidden_remainder_z
      - .offset:         248
        .size:           8
        .value_kind:     hidden_global_offset_x
      - .offset:         256
        .size:           8
        .value_kind:     hidden_global_offset_y
      - .offset:         264
        .size:           8
        .value_kind:     hidden_global_offset_z
      - .offset:         272
        .size:           2
        .value_kind:     hidden_grid_dims
      - .offset:         288
        .size:           8
        .value_kind:     hidden_hostcall_buffer
    .group_segment_fixed_size: 0
    .kernarg_segment_align: 8
    .kernarg_segment_size: 464
    .language:       OpenCL C
    .language_version:
      - 2
      - 0
    .max_flat_workgroup_size: 128
    .name:           _ZL15flash_attn_tileILi64ELi64ELi4ELi2ELb1EEvPKcS1_S1_S1_S1_PKiPfP15HIP_vector_typeIfLj2EEffffjfiS5_IjLj3EEiiiiiiiiiiiliiliiiiil
    .private_segment_fixed_size: 16
    .sgpr_count:     36
    .sgpr_spill_count: 0
    .symbol:         _ZL15flash_attn_tileILi64ELi64ELi4ELi2ELb1EEvPKcS1_S1_S1_S1_PKiPfP15HIP_vector_typeIfLj2EEffffjfiS5_IjLj3EEiiiiiiiiiiiliiliiiiil.kd
    .uniform_work_group_size: 1
    .uses_dynamic_stack: false
    .vgpr_count:     37
    .vgpr_spill_count: 0
    .wavefront_size: 32
    .workgroup_processor_mode: 1
  - .args:
      - .address_space:  global
        .offset:         0
        .size:           8
        .value_kind:     global_buffer
      - .address_space:  global
        .offset:         8
        .size:           8
        .value_kind:     global_buffer
      - .address_space:  global
        .offset:         16
        .size:           8
        .value_kind:     global_buffer
      - .address_space:  global
        .offset:         24
        .size:           8
        .value_kind:     global_buffer
      - .address_space:  global
        .offset:         32
        .size:           8
        .value_kind:     global_buffer
      - .address_space:  global
        .offset:         40
        .size:           8
        .value_kind:     global_buffer
      - .address_space:  global
        .offset:         48
        .size:           8
        .value_kind:     global_buffer
      - .address_space:  global
        .offset:         56
        .size:           8
        .value_kind:     global_buffer
      - .offset:         64
        .size:           4
        .value_kind:     by_value
      - .offset:         68
        .size:           4
        .value_kind:     by_value
      - .offset:         72
        .size:           4
        .value_kind:     by_value
      - .offset:         76
        .size:           4
        .value_kind:     by_value
      - .offset:         80
        .size:           4
        .value_kind:     by_value
      - .offset:         84
        .size:           4
        .value_kind:     by_value
      - .offset:         88
        .size:           4
        .value_kind:     by_value
      - .offset:         92
        .size:           12
        .value_kind:     by_value
      - .offset:         104
        .size:           4
        .value_kind:     by_value
      - .offset:         108
        .size:           4
        .value_kind:     by_value
      - .offset:         112
        .size:           4
        .value_kind:     by_value
      - .offset:         116
        .size:           4
        .value_kind:     by_value
      - .offset:         120
        .size:           4
        .value_kind:     by_value
      - .offset:         124
        .size:           4
        .value_kind:     by_value
      - .offset:         128
        .size:           4
        .value_kind:     by_value
      - .offset:         132
        .size:           4
        .value_kind:     by_value
      - .offset:         136
        .size:           4
        .value_kind:     by_value
      - .offset:         140
        .size:           4
        .value_kind:     by_value
      - .offset:         144
        .size:           4
        .value_kind:     by_value
      - .offset:         152
        .size:           8
        .value_kind:     by_value
      - .offset:         160
        .size:           4
        .value_kind:     by_value
      - .offset:         164
        .size:           4
        .value_kind:     by_value
      - .offset:         168
        .size:           8
        .value_kind:     by_value
      - .offset:         176
        .size:           4
        .value_kind:     by_value
      - .offset:         180
        .size:           4
        .value_kind:     by_value
      - .offset:         184
        .size:           4
        .value_kind:     by_value
      - .offset:         188
        .size:           4
        .value_kind:     by_value
      - .offset:         192
        .size:           4
        .value_kind:     by_value
      - .offset:         200
        .size:           8
        .value_kind:     by_value
      - .offset:         208
        .size:           4
        .value_kind:     hidden_block_count_x
      - .offset:         212
        .size:           4
        .value_kind:     hidden_block_count_y
      - .offset:         216
        .size:           4
        .value_kind:     hidden_block_count_z
      - .offset:         220
        .size:           2
        .value_kind:     hidden_group_size_x
      - .offset:         222
        .size:           2
        .value_kind:     hidden_group_size_y
      - .offset:         224
        .size:           2
        .value_kind:     hidden_group_size_z
      - .offset:         226
        .size:           2
        .value_kind:     hidden_remainder_x
      - .offset:         228
        .size:           2
        .value_kind:     hidden_remainder_y
      - .offset:         230
        .size:           2
        .value_kind:     hidden_remainder_z
      - .offset:         248
        .size:           8
        .value_kind:     hidden_global_offset_x
      - .offset:         256
        .size:           8
        .value_kind:     hidden_global_offset_y
      - .offset:         264
        .size:           8
        .value_kind:     hidden_global_offset_z
      - .offset:         272
        .size:           2
        .value_kind:     hidden_grid_dims
      - .offset:         288
        .size:           8
        .value_kind:     hidden_hostcall_buffer
    .group_segment_fixed_size: 0
    .kernarg_segment_align: 8
    .kernarg_segment_size: 464
    .language:       OpenCL C
    .language_version:
      - 2
      - 0
    .max_flat_workgroup_size: 64
    .name:           _ZL15flash_attn_tileILi64ELi64ELi2ELi2ELb1EEvPKcS1_S1_S1_S1_PKiPfP15HIP_vector_typeIfLj2EEffffjfiS5_IjLj3EEiiiiiiiiiiiliiliiiiil
    .private_segment_fixed_size: 16
    .sgpr_count:     36
    .sgpr_spill_count: 0
    .symbol:         _ZL15flash_attn_tileILi64ELi64ELi2ELi2ELb1EEvPKcS1_S1_S1_S1_PKiPfP15HIP_vector_typeIfLj2EEffffjfiS5_IjLj3EEiiiiiiiiiiiliiliiiiil.kd
    .uniform_work_group_size: 1
    .uses_dynamic_stack: false
    .vgpr_count:     37
    .vgpr_spill_count: 0
    .wavefront_size: 32
    .workgroup_processor_mode: 1
  - .args:
      - .address_space:  global
        .offset:         0
        .size:           8
        .value_kind:     global_buffer
      - .address_space:  global
        .offset:         8
        .size:           8
        .value_kind:     global_buffer
      - .address_space:  global
        .offset:         16
        .size:           8
        .value_kind:     global_buffer
      - .address_space:  global
        .offset:         24
        .size:           8
        .value_kind:     global_buffer
      - .address_space:  global
        .offset:         32
        .size:           8
        .value_kind:     global_buffer
      - .address_space:  global
        .offset:         40
        .size:           8
        .value_kind:     global_buffer
      - .address_space:  global
        .offset:         48
        .size:           8
        .value_kind:     global_buffer
      - .address_space:  global
        .offset:         56
        .size:           8
        .value_kind:     global_buffer
      - .offset:         64
        .size:           4
        .value_kind:     by_value
      - .offset:         68
        .size:           4
        .value_kind:     by_value
      - .offset:         72
        .size:           4
        .value_kind:     by_value
      - .offset:         76
        .size:           4
        .value_kind:     by_value
      - .offset:         80
        .size:           4
        .value_kind:     by_value
      - .offset:         84
        .size:           4
        .value_kind:     by_value
      - .offset:         88
        .size:           4
        .value_kind:     by_value
      - .offset:         92
        .size:           12
        .value_kind:     by_value
      - .offset:         104
        .size:           4
        .value_kind:     by_value
      - .offset:         108
        .size:           4
        .value_kind:     by_value
      - .offset:         112
        .size:           4
        .value_kind:     by_value
      - .offset:         116
        .size:           4
        .value_kind:     by_value
      - .offset:         120
        .size:           4
        .value_kind:     by_value
      - .offset:         124
        .size:           4
        .value_kind:     by_value
      - .offset:         128
        .size:           4
        .value_kind:     by_value
      - .offset:         132
        .size:           4
        .value_kind:     by_value
      - .offset:         136
        .size:           4
        .value_kind:     by_value
      - .offset:         140
        .size:           4
        .value_kind:     by_value
      - .offset:         144
        .size:           4
        .value_kind:     by_value
      - .offset:         152
        .size:           8
        .value_kind:     by_value
      - .offset:         160
        .size:           4
        .value_kind:     by_value
      - .offset:         164
        .size:           4
        .value_kind:     by_value
      - .offset:         168
        .size:           8
        .value_kind:     by_value
      - .offset:         176
        .size:           4
        .value_kind:     by_value
      - .offset:         180
        .size:           4
        .value_kind:     by_value
      - .offset:         184
        .size:           4
        .value_kind:     by_value
      - .offset:         188
        .size:           4
        .value_kind:     by_value
      - .offset:         192
        .size:           4
        .value_kind:     by_value
      - .offset:         200
        .size:           8
        .value_kind:     by_value
      - .offset:         208
        .size:           4
        .value_kind:     hidden_block_count_x
      - .offset:         212
        .size:           4
        .value_kind:     hidden_block_count_y
      - .offset:         216
        .size:           4
        .value_kind:     hidden_block_count_z
      - .offset:         220
        .size:           2
        .value_kind:     hidden_group_size_x
      - .offset:         222
        .size:           2
        .value_kind:     hidden_group_size_y
      - .offset:         224
        .size:           2
        .value_kind:     hidden_group_size_z
      - .offset:         226
        .size:           2
        .value_kind:     hidden_remainder_x
      - .offset:         228
        .size:           2
        .value_kind:     hidden_remainder_y
      - .offset:         230
        .size:           2
        .value_kind:     hidden_remainder_z
      - .offset:         248
        .size:           8
        .value_kind:     hidden_global_offset_x
      - .offset:         256
        .size:           8
        .value_kind:     hidden_global_offset_y
      - .offset:         264
        .size:           8
        .value_kind:     hidden_global_offset_z
      - .offset:         272
        .size:           2
        .value_kind:     hidden_grid_dims
      - .offset:         288
        .size:           8
        .value_kind:     hidden_hostcall_buffer
    .group_segment_fixed_size: 0
    .kernarg_segment_align: 8
    .kernarg_segment_size: 464
    .language:       OpenCL C
    .language_version:
      - 2
      - 0
    .max_flat_workgroup_size: 64
    .name:           _ZL15flash_attn_tileILi64ELi64ELi1ELi2ELb1EEvPKcS1_S1_S1_S1_PKiPfP15HIP_vector_typeIfLj2EEffffjfiS5_IjLj3EEiiiiiiiiiiiliiliiiiil
    .private_segment_fixed_size: 16
    .sgpr_count:     36
    .sgpr_spill_count: 0
    .symbol:         _ZL15flash_attn_tileILi64ELi64ELi1ELi2ELb1EEvPKcS1_S1_S1_S1_PKiPfP15HIP_vector_typeIfLj2EEffffjfiS5_IjLj3EEiiiiiiiiiiiliiliiiiil.kd
    .uniform_work_group_size: 1
    .uses_dynamic_stack: false
    .vgpr_count:     37
    .vgpr_spill_count: 0
    .wavefront_size: 32
    .workgroup_processor_mode: 1
  - .args:
      - .address_space:  global
        .offset:         0
        .size:           8
        .value_kind:     global_buffer
      - .address_space:  global
        .offset:         8
        .size:           8
        .value_kind:     global_buffer
      - .address_space:  global
        .offset:         16
        .size:           8
        .value_kind:     global_buffer
      - .address_space:  global
        .offset:         24
        .size:           8
        .value_kind:     global_buffer
      - .address_space:  global
        .offset:         32
        .size:           8
        .value_kind:     global_buffer
      - .address_space:  global
        .offset:         40
        .size:           8
        .value_kind:     global_buffer
      - .address_space:  global
        .offset:         48
        .size:           8
        .value_kind:     global_buffer
      - .address_space:  global
        .offset:         56
        .size:           8
        .value_kind:     global_buffer
      - .offset:         64
        .size:           4
        .value_kind:     by_value
      - .offset:         68
        .size:           4
        .value_kind:     by_value
      - .offset:         72
        .size:           4
        .value_kind:     by_value
      - .offset:         76
        .size:           4
        .value_kind:     by_value
      - .offset:         80
        .size:           4
        .value_kind:     by_value
      - .offset:         84
        .size:           4
        .value_kind:     by_value
      - .offset:         88
        .size:           4
        .value_kind:     by_value
      - .offset:         92
        .size:           12
        .value_kind:     by_value
      - .offset:         104
        .size:           4
        .value_kind:     by_value
      - .offset:         108
        .size:           4
        .value_kind:     by_value
      - .offset:         112
        .size:           4
        .value_kind:     by_value
      - .offset:         116
        .size:           4
        .value_kind:     by_value
      - .offset:         120
        .size:           4
        .value_kind:     by_value
      - .offset:         124
        .size:           4
        .value_kind:     by_value
      - .offset:         128
        .size:           4
        .value_kind:     by_value
      - .offset:         132
        .size:           4
        .value_kind:     by_value
      - .offset:         136
        .size:           4
        .value_kind:     by_value
      - .offset:         140
        .size:           4
        .value_kind:     by_value
      - .offset:         144
        .size:           4
        .value_kind:     by_value
      - .offset:         152
        .size:           8
        .value_kind:     by_value
      - .offset:         160
        .size:           4
        .value_kind:     by_value
      - .offset:         164
        .size:           4
        .value_kind:     by_value
      - .offset:         168
        .size:           8
        .value_kind:     by_value
      - .offset:         176
        .size:           4
        .value_kind:     by_value
      - .offset:         180
        .size:           4
        .value_kind:     by_value
      - .offset:         184
        .size:           4
        .value_kind:     by_value
      - .offset:         188
        .size:           4
        .value_kind:     by_value
      - .offset:         192
        .size:           4
        .value_kind:     by_value
      - .offset:         200
        .size:           8
        .value_kind:     by_value
      - .offset:         208
        .size:           4
        .value_kind:     hidden_block_count_x
      - .offset:         212
        .size:           4
        .value_kind:     hidden_block_count_y
      - .offset:         216
        .size:           4
        .value_kind:     hidden_block_count_z
      - .offset:         220
        .size:           2
        .value_kind:     hidden_group_size_x
      - .offset:         222
        .size:           2
        .value_kind:     hidden_group_size_y
      - .offset:         224
        .size:           2
        .value_kind:     hidden_group_size_z
      - .offset:         226
        .size:           2
        .value_kind:     hidden_remainder_x
      - .offset:         228
        .size:           2
        .value_kind:     hidden_remainder_y
      - .offset:         230
        .size:           2
        .value_kind:     hidden_remainder_z
      - .offset:         248
        .size:           8
        .value_kind:     hidden_global_offset_x
      - .offset:         256
        .size:           8
        .value_kind:     hidden_global_offset_y
      - .offset:         264
        .size:           8
        .value_kind:     hidden_global_offset_z
      - .offset:         272
        .size:           2
        .value_kind:     hidden_grid_dims
      - .offset:         288
        .size:           8
        .value_kind:     hidden_hostcall_buffer
    .group_segment_fixed_size: 0
    .kernarg_segment_align: 8
    .kernarg_segment_size: 464
    .language:       OpenCL C
    .language_version:
      - 2
      - 0
    .max_flat_workgroup_size: 128
    .name:           _ZL15flash_attn_tileILi64ELi64ELi64ELi1ELb1EEvPKcS1_S1_S1_S1_PKiPfP15HIP_vector_typeIfLj2EEffffjfiS5_IjLj3EEiiiiiiiiiiiliiliiiiil
    .private_segment_fixed_size: 16
    .sgpr_count:     36
    .sgpr_spill_count: 0
    .symbol:         _ZL15flash_attn_tileILi64ELi64ELi64ELi1ELb1EEvPKcS1_S1_S1_S1_PKiPfP15HIP_vector_typeIfLj2EEffffjfiS5_IjLj3EEiiiiiiiiiiiliiliiiiil.kd
    .uniform_work_group_size: 1
    .uses_dynamic_stack: false
    .vgpr_count:     37
    .vgpr_spill_count: 0
    .wavefront_size: 32
    .workgroup_processor_mode: 1
  - .args:
      - .address_space:  global
        .offset:         0
        .size:           8
        .value_kind:     global_buffer
      - .address_space:  global
        .offset:         8
        .size:           8
        .value_kind:     global_buffer
      - .address_space:  global
        .offset:         16
        .size:           8
        .value_kind:     global_buffer
      - .address_space:  global
        .offset:         24
        .size:           8
        .value_kind:     global_buffer
      - .address_space:  global
        .offset:         32
        .size:           8
        .value_kind:     global_buffer
      - .address_space:  global
        .offset:         40
        .size:           8
        .value_kind:     global_buffer
      - .address_space:  global
        .offset:         48
        .size:           8
        .value_kind:     global_buffer
      - .address_space:  global
        .offset:         56
        .size:           8
        .value_kind:     global_buffer
      - .offset:         64
        .size:           4
        .value_kind:     by_value
      - .offset:         68
        .size:           4
        .value_kind:     by_value
      - .offset:         72
        .size:           4
        .value_kind:     by_value
      - .offset:         76
        .size:           4
        .value_kind:     by_value
      - .offset:         80
        .size:           4
        .value_kind:     by_value
      - .offset:         84
        .size:           4
        .value_kind:     by_value
      - .offset:         88
        .size:           4
        .value_kind:     by_value
      - .offset:         92
        .size:           12
        .value_kind:     by_value
      - .offset:         104
        .size:           4
        .value_kind:     by_value
      - .offset:         108
        .size:           4
        .value_kind:     by_value
      - .offset:         112
        .size:           4
        .value_kind:     by_value
      - .offset:         116
        .size:           4
        .value_kind:     by_value
      - .offset:         120
        .size:           4
        .value_kind:     by_value
      - .offset:         124
        .size:           4
        .value_kind:     by_value
      - .offset:         128
        .size:           4
        .value_kind:     by_value
      - .offset:         132
        .size:           4
        .value_kind:     by_value
      - .offset:         136
        .size:           4
        .value_kind:     by_value
      - .offset:         140
        .size:           4
        .value_kind:     by_value
      - .offset:         144
        .size:           4
        .value_kind:     by_value
      - .offset:         152
        .size:           8
        .value_kind:     by_value
      - .offset:         160
        .size:           4
        .value_kind:     by_value
      - .offset:         164
        .size:           4
        .value_kind:     by_value
      - .offset:         168
        .size:           8
        .value_kind:     by_value
      - .offset:         176
        .size:           4
        .value_kind:     by_value
      - .offset:         180
        .size:           4
        .value_kind:     by_value
      - .offset:         184
        .size:           4
        .value_kind:     by_value
      - .offset:         188
        .size:           4
        .value_kind:     by_value
      - .offset:         192
        .size:           4
        .value_kind:     by_value
      - .offset:         200
        .size:           8
        .value_kind:     by_value
      - .offset:         208
        .size:           4
        .value_kind:     hidden_block_count_x
      - .offset:         212
        .size:           4
        .value_kind:     hidden_block_count_y
      - .offset:         216
        .size:           4
        .value_kind:     hidden_block_count_z
      - .offset:         220
        .size:           2
        .value_kind:     hidden_group_size_x
      - .offset:         222
        .size:           2
        .value_kind:     hidden_group_size_y
      - .offset:         224
        .size:           2
        .value_kind:     hidden_group_size_z
      - .offset:         226
        .size:           2
        .value_kind:     hidden_remainder_x
      - .offset:         228
        .size:           2
        .value_kind:     hidden_remainder_y
      - .offset:         230
        .size:           2
        .value_kind:     hidden_remainder_z
      - .offset:         248
        .size:           8
        .value_kind:     hidden_global_offset_x
      - .offset:         256
        .size:           8
        .value_kind:     hidden_global_offset_y
      - .offset:         264
        .size:           8
        .value_kind:     hidden_global_offset_z
      - .offset:         272
        .size:           2
        .value_kind:     hidden_grid_dims
      - .offset:         288
        .size:           8
        .value_kind:     hidden_hostcall_buffer
    .group_segment_fixed_size: 0
    .kernarg_segment_align: 8
    .kernarg_segment_size: 464
    .language:       OpenCL C
    .language_version:
      - 2
      - 0
    .max_flat_workgroup_size: 128
    .name:           _ZL15flash_attn_tileILi64ELi64ELi32ELi1ELb1EEvPKcS1_S1_S1_S1_PKiPfP15HIP_vector_typeIfLj2EEffffjfiS5_IjLj3EEiiiiiiiiiiiliiliiiiil
    .private_segment_fixed_size: 16
    .sgpr_count:     36
    .sgpr_spill_count: 0
    .symbol:         _ZL15flash_attn_tileILi64ELi64ELi32ELi1ELb1EEvPKcS1_S1_S1_S1_PKiPfP15HIP_vector_typeIfLj2EEffffjfiS5_IjLj3EEiiiiiiiiiiiliiliiiiil.kd
    .uniform_work_group_size: 1
    .uses_dynamic_stack: false
    .vgpr_count:     37
    .vgpr_spill_count: 0
    .wavefront_size: 32
    .workgroup_processor_mode: 1
  - .args:
      - .address_space:  global
        .offset:         0
        .size:           8
        .value_kind:     global_buffer
      - .address_space:  global
        .offset:         8
        .size:           8
        .value_kind:     global_buffer
      - .address_space:  global
        .offset:         16
        .size:           8
        .value_kind:     global_buffer
      - .address_space:  global
        .offset:         24
        .size:           8
        .value_kind:     global_buffer
      - .address_space:  global
        .offset:         32
        .size:           8
        .value_kind:     global_buffer
      - .address_space:  global
        .offset:         40
        .size:           8
        .value_kind:     global_buffer
      - .address_space:  global
        .offset:         48
        .size:           8
        .value_kind:     global_buffer
      - .address_space:  global
        .offset:         56
        .size:           8
        .value_kind:     global_buffer
      - .offset:         64
        .size:           4
        .value_kind:     by_value
      - .offset:         68
        .size:           4
        .value_kind:     by_value
      - .offset:         72
        .size:           4
        .value_kind:     by_value
      - .offset:         76
        .size:           4
        .value_kind:     by_value
      - .offset:         80
        .size:           4
        .value_kind:     by_value
      - .offset:         84
        .size:           4
        .value_kind:     by_value
      - .offset:         88
        .size:           4
        .value_kind:     by_value
      - .offset:         92
        .size:           12
        .value_kind:     by_value
      - .offset:         104
        .size:           4
        .value_kind:     by_value
      - .offset:         108
        .size:           4
        .value_kind:     by_value
      - .offset:         112
        .size:           4
        .value_kind:     by_value
      - .offset:         116
        .size:           4
        .value_kind:     by_value
      - .offset:         120
        .size:           4
        .value_kind:     by_value
      - .offset:         124
        .size:           4
        .value_kind:     by_value
      - .offset:         128
        .size:           4
        .value_kind:     by_value
      - .offset:         132
        .size:           4
        .value_kind:     by_value
      - .offset:         136
        .size:           4
        .value_kind:     by_value
      - .offset:         140
        .size:           4
        .value_kind:     by_value
      - .offset:         144
        .size:           4
        .value_kind:     by_value
      - .offset:         152
        .size:           8
        .value_kind:     by_value
      - .offset:         160
        .size:           4
        .value_kind:     by_value
      - .offset:         164
        .size:           4
        .value_kind:     by_value
      - .offset:         168
        .size:           8
        .value_kind:     by_value
      - .offset:         176
        .size:           4
        .value_kind:     by_value
      - .offset:         180
        .size:           4
        .value_kind:     by_value
      - .offset:         184
        .size:           4
        .value_kind:     by_value
      - .offset:         188
        .size:           4
        .value_kind:     by_value
      - .offset:         192
        .size:           4
        .value_kind:     by_value
      - .offset:         200
        .size:           8
        .value_kind:     by_value
      - .offset:         208
        .size:           4
        .value_kind:     hidden_block_count_x
      - .offset:         212
        .size:           4
        .value_kind:     hidden_block_count_y
      - .offset:         216
        .size:           4
        .value_kind:     hidden_block_count_z
      - .offset:         220
        .size:           2
        .value_kind:     hidden_group_size_x
      - .offset:         222
        .size:           2
        .value_kind:     hidden_group_size_y
      - .offset:         224
        .size:           2
        .value_kind:     hidden_group_size_z
      - .offset:         226
        .size:           2
        .value_kind:     hidden_remainder_x
      - .offset:         228
        .size:           2
        .value_kind:     hidden_remainder_y
      - .offset:         230
        .size:           2
        .value_kind:     hidden_remainder_z
      - .offset:         248
        .size:           8
        .value_kind:     hidden_global_offset_x
      - .offset:         256
        .size:           8
        .value_kind:     hidden_global_offset_y
      - .offset:         264
        .size:           8
        .value_kind:     hidden_global_offset_z
      - .offset:         272
        .size:           2
        .value_kind:     hidden_grid_dims
      - .offset:         288
        .size:           8
        .value_kind:     hidden_hostcall_buffer
    .group_segment_fixed_size: 0
    .kernarg_segment_align: 8
    .kernarg_segment_size: 464
    .language:       OpenCL C
    .language_version:
      - 2
      - 0
    .max_flat_workgroup_size: 128
    .name:           _ZL15flash_attn_tileILi64ELi64ELi16ELi1ELb1EEvPKcS1_S1_S1_S1_PKiPfP15HIP_vector_typeIfLj2EEffffjfiS5_IjLj3EEiiiiiiiiiiiliiliiiiil
    .private_segment_fixed_size: 16
    .sgpr_count:     36
    .sgpr_spill_count: 0
    .symbol:         _ZL15flash_attn_tileILi64ELi64ELi16ELi1ELb1EEvPKcS1_S1_S1_S1_PKiPfP15HIP_vector_typeIfLj2EEffffjfiS5_IjLj3EEiiiiiiiiiiiliiliiiiil.kd
    .uniform_work_group_size: 1
    .uses_dynamic_stack: false
    .vgpr_count:     37
    .vgpr_spill_count: 0
    .wavefront_size: 32
    .workgroup_processor_mode: 1
  - .args:
      - .address_space:  global
        .offset:         0
        .size:           8
        .value_kind:     global_buffer
      - .address_space:  global
        .offset:         8
        .size:           8
        .value_kind:     global_buffer
      - .address_space:  global
        .offset:         16
        .size:           8
        .value_kind:     global_buffer
      - .address_space:  global
        .offset:         24
        .size:           8
        .value_kind:     global_buffer
      - .address_space:  global
        .offset:         32
        .size:           8
        .value_kind:     global_buffer
      - .address_space:  global
        .offset:         40
        .size:           8
        .value_kind:     global_buffer
      - .address_space:  global
        .offset:         48
        .size:           8
        .value_kind:     global_buffer
      - .address_space:  global
        .offset:         56
        .size:           8
        .value_kind:     global_buffer
      - .offset:         64
        .size:           4
        .value_kind:     by_value
      - .offset:         68
        .size:           4
        .value_kind:     by_value
      - .offset:         72
        .size:           4
        .value_kind:     by_value
      - .offset:         76
        .size:           4
        .value_kind:     by_value
      - .offset:         80
        .size:           4
        .value_kind:     by_value
      - .offset:         84
        .size:           4
        .value_kind:     by_value
      - .offset:         88
        .size:           4
        .value_kind:     by_value
      - .offset:         92
        .size:           12
        .value_kind:     by_value
      - .offset:         104
        .size:           4
        .value_kind:     by_value
      - .offset:         108
        .size:           4
        .value_kind:     by_value
      - .offset:         112
        .size:           4
        .value_kind:     by_value
      - .offset:         116
        .size:           4
        .value_kind:     by_value
      - .offset:         120
        .size:           4
        .value_kind:     by_value
      - .offset:         124
        .size:           4
        .value_kind:     by_value
      - .offset:         128
        .size:           4
        .value_kind:     by_value
      - .offset:         132
        .size:           4
        .value_kind:     by_value
      - .offset:         136
        .size:           4
        .value_kind:     by_value
      - .offset:         140
        .size:           4
        .value_kind:     by_value
      - .offset:         144
        .size:           4
        .value_kind:     by_value
      - .offset:         152
        .size:           8
        .value_kind:     by_value
      - .offset:         160
        .size:           4
        .value_kind:     by_value
      - .offset:         164
        .size:           4
        .value_kind:     by_value
      - .offset:         168
        .size:           8
        .value_kind:     by_value
      - .offset:         176
        .size:           4
        .value_kind:     by_value
      - .offset:         180
        .size:           4
        .value_kind:     by_value
      - .offset:         184
        .size:           4
        .value_kind:     by_value
      - .offset:         188
        .size:           4
        .value_kind:     by_value
      - .offset:         192
        .size:           4
        .value_kind:     by_value
      - .offset:         200
        .size:           8
        .value_kind:     by_value
      - .offset:         208
        .size:           4
        .value_kind:     hidden_block_count_x
      - .offset:         212
        .size:           4
        .value_kind:     hidden_block_count_y
      - .offset:         216
        .size:           4
        .value_kind:     hidden_block_count_z
      - .offset:         220
        .size:           2
        .value_kind:     hidden_group_size_x
      - .offset:         222
        .size:           2
        .value_kind:     hidden_group_size_y
      - .offset:         224
        .size:           2
        .value_kind:     hidden_group_size_z
      - .offset:         226
        .size:           2
        .value_kind:     hidden_remainder_x
      - .offset:         228
        .size:           2
        .value_kind:     hidden_remainder_y
      - .offset:         230
        .size:           2
        .value_kind:     hidden_remainder_z
      - .offset:         248
        .size:           8
        .value_kind:     hidden_global_offset_x
      - .offset:         256
        .size:           8
        .value_kind:     hidden_global_offset_y
      - .offset:         264
        .size:           8
        .value_kind:     hidden_global_offset_z
      - .offset:         272
        .size:           2
        .value_kind:     hidden_grid_dims
      - .offset:         288
        .size:           8
        .value_kind:     hidden_hostcall_buffer
    .group_segment_fixed_size: 0
    .kernarg_segment_align: 8
    .kernarg_segment_size: 464
    .language:       OpenCL C
    .language_version:
      - 2
      - 0
    .max_flat_workgroup_size: 128
    .name:           _ZL15flash_attn_tileILi64ELi64ELi8ELi1ELb1EEvPKcS1_S1_S1_S1_PKiPfP15HIP_vector_typeIfLj2EEffffjfiS5_IjLj3EEiiiiiiiiiiiliiliiiiil
    .private_segment_fixed_size: 16
    .sgpr_count:     36
    .sgpr_spill_count: 0
    .symbol:         _ZL15flash_attn_tileILi64ELi64ELi8ELi1ELb1EEvPKcS1_S1_S1_S1_PKiPfP15HIP_vector_typeIfLj2EEffffjfiS5_IjLj3EEiiiiiiiiiiiliiliiiiil.kd
    .uniform_work_group_size: 1
    .uses_dynamic_stack: false
    .vgpr_count:     37
    .vgpr_spill_count: 0
    .wavefront_size: 32
    .workgroup_processor_mode: 1
  - .args:
      - .address_space:  global
        .offset:         0
        .size:           8
        .value_kind:     global_buffer
      - .address_space:  global
        .offset:         8
        .size:           8
        .value_kind:     global_buffer
      - .address_space:  global
        .offset:         16
        .size:           8
        .value_kind:     global_buffer
      - .address_space:  global
        .offset:         24
        .size:           8
        .value_kind:     global_buffer
      - .address_space:  global
        .offset:         32
        .size:           8
        .value_kind:     global_buffer
      - .address_space:  global
        .offset:         40
        .size:           8
        .value_kind:     global_buffer
      - .address_space:  global
        .offset:         48
        .size:           8
        .value_kind:     global_buffer
      - .address_space:  global
        .offset:         56
        .size:           8
        .value_kind:     global_buffer
      - .offset:         64
        .size:           4
        .value_kind:     by_value
      - .offset:         68
        .size:           4
        .value_kind:     by_value
      - .offset:         72
        .size:           4
        .value_kind:     by_value
      - .offset:         76
        .size:           4
        .value_kind:     by_value
      - .offset:         80
        .size:           4
        .value_kind:     by_value
      - .offset:         84
        .size:           4
        .value_kind:     by_value
      - .offset:         88
        .size:           4
        .value_kind:     by_value
      - .offset:         92
        .size:           12
        .value_kind:     by_value
      - .offset:         104
        .size:           4
        .value_kind:     by_value
      - .offset:         108
        .size:           4
        .value_kind:     by_value
      - .offset:         112
        .size:           4
        .value_kind:     by_value
      - .offset:         116
        .size:           4
        .value_kind:     by_value
      - .offset:         120
        .size:           4
        .value_kind:     by_value
      - .offset:         124
        .size:           4
        .value_kind:     by_value
      - .offset:         128
        .size:           4
        .value_kind:     by_value
      - .offset:         132
        .size:           4
        .value_kind:     by_value
      - .offset:         136
        .size:           4
        .value_kind:     by_value
      - .offset:         140
        .size:           4
        .value_kind:     by_value
      - .offset:         144
        .size:           4
        .value_kind:     by_value
      - .offset:         152
        .size:           8
        .value_kind:     by_value
      - .offset:         160
        .size:           4
        .value_kind:     by_value
      - .offset:         164
        .size:           4
        .value_kind:     by_value
      - .offset:         168
        .size:           8
        .value_kind:     by_value
      - .offset:         176
        .size:           4
        .value_kind:     by_value
      - .offset:         180
        .size:           4
        .value_kind:     by_value
      - .offset:         184
        .size:           4
        .value_kind:     by_value
      - .offset:         188
        .size:           4
        .value_kind:     by_value
      - .offset:         192
        .size:           4
        .value_kind:     by_value
      - .offset:         200
        .size:           8
        .value_kind:     by_value
      - .offset:         208
        .size:           4
        .value_kind:     hidden_block_count_x
      - .offset:         212
        .size:           4
        .value_kind:     hidden_block_count_y
      - .offset:         216
        .size:           4
        .value_kind:     hidden_block_count_z
      - .offset:         220
        .size:           2
        .value_kind:     hidden_group_size_x
      - .offset:         222
        .size:           2
        .value_kind:     hidden_group_size_y
      - .offset:         224
        .size:           2
        .value_kind:     hidden_group_size_z
      - .offset:         226
        .size:           2
        .value_kind:     hidden_remainder_x
      - .offset:         228
        .size:           2
        .value_kind:     hidden_remainder_y
      - .offset:         230
        .size:           2
        .value_kind:     hidden_remainder_z
      - .offset:         248
        .size:           8
        .value_kind:     hidden_global_offset_x
      - .offset:         256
        .size:           8
        .value_kind:     hidden_global_offset_y
      - .offset:         264
        .size:           8
        .value_kind:     hidden_global_offset_z
      - .offset:         272
        .size:           2
        .value_kind:     hidden_grid_dims
      - .offset:         288
        .size:           8
        .value_kind:     hidden_hostcall_buffer
    .group_segment_fixed_size: 0
    .kernarg_segment_align: 8
    .kernarg_segment_size: 464
    .language:       OpenCL C
    .language_version:
      - 2
      - 0
    .max_flat_workgroup_size: 64
    .name:           _ZL15flash_attn_tileILi64ELi64ELi4ELi1ELb1EEvPKcS1_S1_S1_S1_PKiPfP15HIP_vector_typeIfLj2EEffffjfiS5_IjLj3EEiiiiiiiiiiiliiliiiiil
    .private_segment_fixed_size: 16
    .sgpr_count:     36
    .sgpr_spill_count: 0
    .symbol:         _ZL15flash_attn_tileILi64ELi64ELi4ELi1ELb1EEvPKcS1_S1_S1_S1_PKiPfP15HIP_vector_typeIfLj2EEffffjfiS5_IjLj3EEiiiiiiiiiiiliiliiiiil.kd
    .uniform_work_group_size: 1
    .uses_dynamic_stack: false
    .vgpr_count:     37
    .vgpr_spill_count: 0
    .wavefront_size: 32
    .workgroup_processor_mode: 1
  - .args:
      - .address_space:  global
        .offset:         0
        .size:           8
        .value_kind:     global_buffer
      - .address_space:  global
        .offset:         8
        .size:           8
        .value_kind:     global_buffer
      - .address_space:  global
        .offset:         16
        .size:           8
        .value_kind:     global_buffer
      - .address_space:  global
        .offset:         24
        .size:           8
        .value_kind:     global_buffer
      - .address_space:  global
        .offset:         32
        .size:           8
        .value_kind:     global_buffer
      - .address_space:  global
        .offset:         40
        .size:           8
        .value_kind:     global_buffer
      - .address_space:  global
        .offset:         48
        .size:           8
        .value_kind:     global_buffer
      - .address_space:  global
        .offset:         56
        .size:           8
        .value_kind:     global_buffer
      - .offset:         64
        .size:           4
        .value_kind:     by_value
      - .offset:         68
        .size:           4
        .value_kind:     by_value
      - .offset:         72
        .size:           4
        .value_kind:     by_value
      - .offset:         76
        .size:           4
        .value_kind:     by_value
      - .offset:         80
        .size:           4
        .value_kind:     by_value
      - .offset:         84
        .size:           4
        .value_kind:     by_value
      - .offset:         88
        .size:           4
        .value_kind:     by_value
      - .offset:         92
        .size:           12
        .value_kind:     by_value
      - .offset:         104
        .size:           4
        .value_kind:     by_value
      - .offset:         108
        .size:           4
        .value_kind:     by_value
      - .offset:         112
        .size:           4
        .value_kind:     by_value
      - .offset:         116
        .size:           4
        .value_kind:     by_value
      - .offset:         120
        .size:           4
        .value_kind:     by_value
      - .offset:         124
        .size:           4
        .value_kind:     by_value
      - .offset:         128
        .size:           4
        .value_kind:     by_value
      - .offset:         132
        .size:           4
        .value_kind:     by_value
      - .offset:         136
        .size:           4
        .value_kind:     by_value
      - .offset:         140
        .size:           4
        .value_kind:     by_value
      - .offset:         144
        .size:           4
        .value_kind:     by_value
      - .offset:         152
        .size:           8
        .value_kind:     by_value
      - .offset:         160
        .size:           4
        .value_kind:     by_value
      - .offset:         164
        .size:           4
        .value_kind:     by_value
      - .offset:         168
        .size:           8
        .value_kind:     by_value
      - .offset:         176
        .size:           4
        .value_kind:     by_value
      - .offset:         180
        .size:           4
        .value_kind:     by_value
      - .offset:         184
        .size:           4
        .value_kind:     by_value
      - .offset:         188
        .size:           4
        .value_kind:     by_value
      - .offset:         192
        .size:           4
        .value_kind:     by_value
      - .offset:         200
        .size:           8
        .value_kind:     by_value
      - .offset:         208
        .size:           4
        .value_kind:     hidden_block_count_x
      - .offset:         212
        .size:           4
        .value_kind:     hidden_block_count_y
      - .offset:         216
        .size:           4
        .value_kind:     hidden_block_count_z
      - .offset:         220
        .size:           2
        .value_kind:     hidden_group_size_x
      - .offset:         222
        .size:           2
        .value_kind:     hidden_group_size_y
      - .offset:         224
        .size:           2
        .value_kind:     hidden_group_size_z
      - .offset:         226
        .size:           2
        .value_kind:     hidden_remainder_x
      - .offset:         228
        .size:           2
        .value_kind:     hidden_remainder_y
      - .offset:         230
        .size:           2
        .value_kind:     hidden_remainder_z
      - .offset:         248
        .size:           8
        .value_kind:     hidden_global_offset_x
      - .offset:         256
        .size:           8
        .value_kind:     hidden_global_offset_y
      - .offset:         264
        .size:           8
        .value_kind:     hidden_global_offset_z
      - .offset:         272
        .size:           2
        .value_kind:     hidden_grid_dims
      - .offset:         288
        .size:           8
        .value_kind:     hidden_hostcall_buffer
    .group_segment_fixed_size: 0
    .kernarg_segment_align: 8
    .kernarg_segment_size: 464
    .language:       OpenCL C
    .language_version:
      - 2
      - 0
    .max_flat_workgroup_size: 64
    .name:           _ZL15flash_attn_tileILi64ELi64ELi2ELi1ELb1EEvPKcS1_S1_S1_S1_PKiPfP15HIP_vector_typeIfLj2EEffffjfiS5_IjLj3EEiiiiiiiiiiiliiliiiiil
    .private_segment_fixed_size: 16
    .sgpr_count:     36
    .sgpr_spill_count: 0
    .symbol:         _ZL15flash_attn_tileILi64ELi64ELi2ELi1ELb1EEvPKcS1_S1_S1_S1_PKiPfP15HIP_vector_typeIfLj2EEffffjfiS5_IjLj3EEiiiiiiiiiiiliiliiiiil.kd
    .uniform_work_group_size: 1
    .uses_dynamic_stack: false
    .vgpr_count:     37
    .vgpr_spill_count: 0
    .wavefront_size: 32
    .workgroup_processor_mode: 1
amdhsa.target:   amdgcn-amd-amdhsa--gfx1100
amdhsa.version:
  - 1
  - 2
...

	.end_amdgpu_metadata
